;; amdgpu-corpus repo=pytorch/pytorch kind=compiled arch=gfx906 opt=O3
	.amdgcn_target "amdgcn-amd-amdhsa--gfx906"
	.amdhsa_code_object_version 6
	.section	.text._ZN7rocprim17ROCPRIM_304000_NS6detail28radix_sort_block_sort_kernelINS1_36wrapped_radix_sort_block_sort_configINS0_13kernel_configILj256ELj4ELj4294967295EEEhN2at4cuda3cub6detail10OpaqueTypeILi8EEEEELb1EPKhPhPKSB_PSB_NS0_19identity_decomposerEEEvT1_T2_T3_T4_jT5_jj,"axG",@progbits,_ZN7rocprim17ROCPRIM_304000_NS6detail28radix_sort_block_sort_kernelINS1_36wrapped_radix_sort_block_sort_configINS0_13kernel_configILj256ELj4ELj4294967295EEEhN2at4cuda3cub6detail10OpaqueTypeILi8EEEEELb1EPKhPhPKSB_PSB_NS0_19identity_decomposerEEEvT1_T2_T3_T4_jT5_jj,comdat
	.protected	_ZN7rocprim17ROCPRIM_304000_NS6detail28radix_sort_block_sort_kernelINS1_36wrapped_radix_sort_block_sort_configINS0_13kernel_configILj256ELj4ELj4294967295EEEhN2at4cuda3cub6detail10OpaqueTypeILi8EEEEELb1EPKhPhPKSB_PSB_NS0_19identity_decomposerEEEvT1_T2_T3_T4_jT5_jj ; -- Begin function _ZN7rocprim17ROCPRIM_304000_NS6detail28radix_sort_block_sort_kernelINS1_36wrapped_radix_sort_block_sort_configINS0_13kernel_configILj256ELj4ELj4294967295EEEhN2at4cuda3cub6detail10OpaqueTypeILi8EEEEELb1EPKhPhPKSB_PSB_NS0_19identity_decomposerEEEvT1_T2_T3_T4_jT5_jj
	.globl	_ZN7rocprim17ROCPRIM_304000_NS6detail28radix_sort_block_sort_kernelINS1_36wrapped_radix_sort_block_sort_configINS0_13kernel_configILj256ELj4ELj4294967295EEEhN2at4cuda3cub6detail10OpaqueTypeILi8EEEEELb1EPKhPhPKSB_PSB_NS0_19identity_decomposerEEEvT1_T2_T3_T4_jT5_jj
	.p2align	8
	.type	_ZN7rocprim17ROCPRIM_304000_NS6detail28radix_sort_block_sort_kernelINS1_36wrapped_radix_sort_block_sort_configINS0_13kernel_configILj256ELj4ELj4294967295EEEhN2at4cuda3cub6detail10OpaqueTypeILi8EEEEELb1EPKhPhPKSB_PSB_NS0_19identity_decomposerEEEvT1_T2_T3_T4_jT5_jj,@function
_ZN7rocprim17ROCPRIM_304000_NS6detail28radix_sort_block_sort_kernelINS1_36wrapped_radix_sort_block_sort_configINS0_13kernel_configILj256ELj4ELj4294967295EEEhN2at4cuda3cub6detail10OpaqueTypeILi8EEEEELb1EPKhPhPKSB_PSB_NS0_19identity_decomposerEEEvT1_T2_T3_T4_jT5_jj: ; @_ZN7rocprim17ROCPRIM_304000_NS6detail28radix_sort_block_sort_kernelINS1_36wrapped_radix_sort_block_sort_configINS0_13kernel_configILj256ELj4ELj4294967295EEEhN2at4cuda3cub6detail10OpaqueTypeILi8EEEEELb1EPKhPhPKSB_PSB_NS0_19identity_decomposerEEEvT1_T2_T3_T4_jT5_jj
; %bb.0:
	s_load_dword s2, s[4:5], 0x20
	s_load_dwordx8 s[36:43], s[4:5], 0x0
	s_lshl_b32 s28, s6, 10
	v_mbcnt_lo_u32_b32 v3, -1, 0
	v_mbcnt_hi_u32_b32 v7, -1, v3
	s_waitcnt lgkmcnt(0)
	s_lshr_b32 s0, s2, 10
	s_cmp_lg_u32 s6, s0
	s_cselect_b64 s[30:31], -1, 0
	s_add_u32 s1, s36, s28
	s_addc_u32 s3, s37, 0
	v_lshlrev_b32_e32 v8, 2, v0
	v_mov_b32_e32 v3, s3
	v_add_co_u32_e32 v4, vcc, s1, v7
	v_and_b32_e32 v16, 0x300, v8
	v_addc_co_u32_e32 v3, vcc, 0, v3, vcc
	v_add_co_u32_e32 v5, vcc, v4, v16
	s_mov_b32 s29, 0
	s_cmp_eq_u32 s6, s0
	v_addc_co_u32_e32 v6, vcc, 0, v3, vcc
	v_lshlrev_b32_e32 v15, 3, v7
	v_lshlrev_b32_e32 v14, 3, v16
	v_add_u32_e32 v12, v7, v16
	s_cbranch_scc1 .LBB0_2
; %bb.1:
	s_lshl_b64 s[0:1], s[28:29], 3
	s_add_u32 s0, s40, s0
	s_addc_u32 s1, s41, s1
	v_mov_b32_e32 v3, s1
	v_add_co_u32_e32 v4, vcc, s0, v15
	v_addc_co_u32_e32 v3, vcc, 0, v3, vcc
	v_add_co_u32_e32 v24, vcc, v4, v14
	v_addc_co_u32_e32 v25, vcc, 0, v3, vcc
	global_load_ubyte v10, v[5:6], off offset:192
	global_load_ubyte v9, v[5:6], off offset:128
	;; [unrolled: 1-line block ×3, first 2 shown]
	global_load_ubyte v11, v[5:6], off
	global_load_dwordx2 v[3:4], v[24:25], off
	global_load_dwordx2 v[18:19], v[24:25], off offset:512
	global_load_dwordx2 v[20:21], v[24:25], off offset:1024
	;; [unrolled: 1-line block ×3, first 2 shown]
	v_add_u32_e32 v28, v7, v16
	v_add_u32_e32 v25, 64, v28
	v_add_u32_e32 v26, 0x80, v28
	v_add_u32_e32 v27, 0xc0, v28
	s_sub_i32 s33, s2, s28
	s_cbranch_execz .LBB0_3
	s_branch .LBB0_17
.LBB0_2:
                                        ; implicit-def: $vgpr11
                                        ; implicit-def: $vgpr13
                                        ; implicit-def: $vgpr9
                                        ; implicit-def: $vgpr10
                                        ; implicit-def: $vgpr3_vgpr4
                                        ; implicit-def: $vgpr18_vgpr19
                                        ; implicit-def: $vgpr20_vgpr21
                                        ; implicit-def: $vgpr22_vgpr23
                                        ; implicit-def: $vgpr28
                                        ; implicit-def: $vgpr25
                                        ; implicit-def: $vgpr26
                                        ; implicit-def: $vgpr27
	s_sub_i32 s33, s2, s28
.LBB0_3:
	v_cmp_gt_u32_e32 vcc, s33, v12
	s_waitcnt vmcnt(6)
	v_mov_b32_e32 v9, 0
	s_waitcnt vmcnt(4)
	v_mov_b32_e32 v11, 0
	v_mov_b32_e32 v10, 0
	s_and_saveexec_b64 s[0:1], vcc
	s_cbranch_execz .LBB0_5
; %bb.4:
	global_load_ubyte v11, v[5:6], off
	v_mov_b32_e32 v10, 0
.LBB0_5:
	s_or_b64 exec, exec, s[0:1]
	v_add_u32_e32 v25, 64, v12
	v_cmp_gt_u32_e64 s[0:1], s33, v25
	v_mov_b32_e32 v13, v9
	s_and_saveexec_b64 s[2:3], s[0:1]
	s_cbranch_execz .LBB0_7
; %bb.6:
	global_load_ubyte v13, v[5:6], off offset:64
.LBB0_7:
	s_or_b64 exec, exec, s[2:3]
	v_add_u32_e32 v26, 0x80, v12
	v_cmp_gt_u32_e64 s[2:3], s33, v26
	s_and_saveexec_b64 s[6:7], s[2:3]
	s_cbranch_execz .LBB0_9
; %bb.8:
	global_load_ubyte v9, v[5:6], off offset:128
.LBB0_9:
	s_or_b64 exec, exec, s[6:7]
	v_add_u32_e32 v27, 0xc0, v12
	v_cmp_gt_u32_e64 s[6:7], s33, v27
	s_and_saveexec_b64 s[8:9], s[6:7]
	s_cbranch_execz .LBB0_11
; %bb.10:
	global_load_ubyte v10, v[5:6], off offset:192
.LBB0_11:
	s_or_b64 exec, exec, s[8:9]
	s_lshl_b64 s[8:9], s[28:29], 3
	s_add_u32 s8, s40, s8
	s_addc_u32 s9, s41, s9
	s_waitcnt vmcnt(3)
	v_mov_b32_e32 v3, s9
	v_add_co_u32_e64 v4, s[8:9], s8, v15
	v_addc_co_u32_e64 v3, s[8:9], 0, v3, s[8:9]
	v_add_co_u32_e64 v5, s[8:9], v4, v14
	v_addc_co_u32_e64 v6, s[8:9], 0, v3, s[8:9]
                                        ; implicit-def: $vgpr3_vgpr4
	s_and_saveexec_b64 s[8:9], vcc
	s_cbranch_execnz .LBB0_54
; %bb.12:
	s_or_b64 exec, exec, s[8:9]
                                        ; implicit-def: $vgpr18_vgpr19
	s_and_saveexec_b64 s[8:9], s[0:1]
	s_cbranch_execnz .LBB0_55
.LBB0_13:
	s_or_b64 exec, exec, s[8:9]
                                        ; implicit-def: $vgpr20_vgpr21
	s_and_saveexec_b64 s[0:1], s[2:3]
	s_cbranch_execnz .LBB0_56
.LBB0_14:
	s_or_b64 exec, exec, s[0:1]
                                        ; implicit-def: $vgpr22_vgpr23
	s_and_saveexec_b64 s[0:1], s[6:7]
	s_cbranch_execz .LBB0_16
.LBB0_15:
	global_load_dwordx2 v[22:23], v[5:6], off offset:1536
.LBB0_16:
	s_or_b64 exec, exec, s[0:1]
	v_mov_b32_e32 v28, v12
.LBB0_17:
	s_load_dwordx2 s[34:35], s[4:5], 0x28
	s_load_dword s0, s[4:5], 0x3c
	v_mov_b32_e32 v6, -1
	s_waitcnt vmcnt(0)
	v_xor_b32_e32 v5, -1, v11
	v_xor_b32_sdwa v11, v13, v6 dst_sel:BYTE_1 dst_unused:UNUSED_PAD src0_sel:DWORD src1_sel:DWORD
	v_xor_b32_e32 v9, -1, v9
	s_waitcnt lgkmcnt(0)
	s_lshr_b32 s1, s0, 16
	s_and_b32 s0, s0, 0xffff
	v_mad_u32_u24 v1, v2, s1, v1
	v_mad_u64_u32 v[1:2], s[0:1], v1, s0, v[0:1]
	v_xor_b32_sdwa v6, v10, v6 dst_sel:BYTE_1 dst_unused:UNUSED_PAD src0_sel:DWORD src1_sel:DWORD
	v_or_b32_sdwa v5, v5, v11 dst_sel:DWORD dst_unused:UNUSED_PAD src0_sel:BYTE_0 src1_sel:DWORD
	v_lshrrev_b32_e32 v1, 4, v1
	v_and_b32_e32 v30, 0xffffffc, v1
	v_and_b32_e32 v1, 15, v7
	v_cmp_eq_u32_e64 s[0:1], 0, v1
	v_cmp_lt_u32_e64 s[2:3], 1, v1
	v_cmp_lt_u32_e64 s[4:5], 3, v1
	;; [unrolled: 1-line block ×3, first 2 shown]
	v_and_b32_e32 v1, 16, v7
	v_or_b32_sdwa v2, v9, v6 dst_sel:WORD_1 dst_unused:UNUSED_PAD src0_sel:BYTE_0 src1_sel:DWORD
	v_cmp_eq_u32_e64 s[8:9], 0, v1
	v_or_b32_e32 v1, 63, v0
	v_or_b32_sdwa v31, v5, v2 dst_sel:DWORD dst_unused:UNUSED_PAD src0_sel:WORD_0 src1_sel:DWORD
	v_cmp_eq_u32_e64 s[12:13], v0, v1
	v_subrev_co_u32_e64 v1, s[18:19], 1, v7
	v_and_b32_e32 v2, 64, v7
	v_cmp_lt_i32_e32 vcc, v1, v2
	v_and_b32_e32 v2, 3, v7
	v_cmp_lt_u32_e64 s[10:11], 31, v7
	v_cndmask_b32_e32 v1, v1, v7, vcc
	v_cmp_eq_u32_e64 s[22:23], 0, v2
	v_cmp_lt_u32_e64 s[24:25], 1, v2
	v_mul_lo_u32 v2, v28, 7
	v_mul_lo_u32 v5, v25, 7
	;; [unrolled: 1-line block ×4, first 2 shown]
	s_mov_b32 s26, 0
	v_lshlrev_b32_e32 v32, 2, v1
	v_lshrrev_b32_e32 v1, 4, v0
	s_mov_b32 s40, s26
	v_lshlrev_b32_e32 v29, 2, v8
	v_and_b32_e32 v33, 12, v1
	v_mul_i32_i24_e32 v1, -12, v0
	s_mov_b32 s27, s26
	s_mov_b32 s41, s26
	v_mov_b32_e32 v13, s26
	v_mov_b32_e32 v15, s40
	s_add_i32 s36, s35, s34
	v_cmp_gt_u32_e64 s[14:15], 4, v0
	v_cmp_lt_u32_e64 s[16:17], 63, v0
	v_cmp_eq_u32_e64 s[20:21], 0, v0
	v_mov_b32_e32 v14, s27
	v_mov_b32_e32 v16, s41
	;; [unrolled: 1-line block ×3, first 2 shown]
	v_add_u32_e32 v34, v29, v1
	s_mov_b32 s37, 0xc0c0004
	v_add_u32_e32 v35, v28, v2
	v_add_u32_e32 v36, v25, v5
	;; [unrolled: 1-line block ×4, first 2 shown]
	s_branch .LBB0_19
.LBB0_18:                               ;   in Loop: Header=BB0_19 Depth=1
	s_andn2_b64 vcc, exec, s[26:27]
	s_mov_b32 s35, s40
	s_cbranch_vccz .LBB0_35
.LBB0_19:                               ; =>This Inner Loop Header: Depth=1
	s_min_u32 s26, s35, 8
	s_lshl_b32 s26, -1, s26
	s_not_b32 s40, s26
	v_lshrrev_b32_sdwa v1, s34, v31 dst_sel:DWORD dst_unused:UNUSED_PAD src0_sel:DWORD src1_sel:BYTE_0
	v_and_b32_e32 v1, s40, v1
	v_mov_b32_e32 v12, v4
	v_and_b32_e32 v2, 1, v1
	v_mov_b32_e32 v11, v3
	v_mov_b32_e32 v9, v18
	v_add_co_u32_e32 v4, vcc, -1, v2
	v_mov_b32_e32 v10, v19
	v_addc_co_u32_e64 v18, s[26:27], 0, -1, vcc
	v_cmp_ne_u32_e32 vcc, 0, v2
	v_xor_b32_e32 v2, vcc_hi, v18
	v_lshlrev_b32_e32 v18, 30, v1
	v_xor_b32_e32 v4, vcc_lo, v4
	v_cmp_gt_i64_e32 vcc, 0, v[17:18]
	v_not_b32_e32 v18, v18
	v_ashrrev_i32_e32 v18, 31, v18
	v_and_b32_e32 v4, exec_lo, v4
	v_xor_b32_e32 v19, vcc_hi, v18
	v_xor_b32_e32 v18, vcc_lo, v18
	v_and_b32_e32 v4, v4, v18
	v_lshlrev_b32_e32 v18, 29, v1
	v_cmp_gt_i64_e32 vcc, 0, v[17:18]
	v_not_b32_e32 v18, v18
	v_and_b32_e32 v2, exec_hi, v2
	v_ashrrev_i32_e32 v18, 31, v18
	v_and_b32_e32 v2, v2, v19
	v_xor_b32_e32 v19, vcc_hi, v18
	v_xor_b32_e32 v18, vcc_lo, v18
	v_and_b32_e32 v4, v4, v18
	v_lshlrev_b32_e32 v18, 28, v1
	v_cmp_gt_i64_e32 vcc, 0, v[17:18]
	v_not_b32_e32 v18, v18
	v_ashrrev_i32_e32 v18, 31, v18
	v_and_b32_e32 v2, v2, v19
	v_xor_b32_e32 v19, vcc_hi, v18
	v_xor_b32_e32 v18, vcc_lo, v18
	v_and_b32_e32 v4, v4, v18
	v_lshlrev_b32_e32 v18, 27, v1
	v_cmp_gt_i64_e32 vcc, 0, v[17:18]
	v_not_b32_e32 v18, v18
	v_ashrrev_i32_e32 v18, 31, v18
	v_and_b32_e32 v2, v2, v19
	v_xor_b32_e32 v19, vcc_hi, v18
	v_xor_b32_e32 v18, vcc_lo, v18
	v_and_b32_e32 v4, v4, v18
	v_lshlrev_b32_e32 v18, 26, v1
	v_cmp_gt_i64_e32 vcc, 0, v[17:18]
	v_not_b32_e32 v18, v18
	v_ashrrev_i32_e32 v18, 31, v18
	v_and_b32_e32 v2, v2, v19
	v_xor_b32_e32 v19, vcc_hi, v18
	v_xor_b32_e32 v18, vcc_lo, v18
	v_and_b32_e32 v4, v4, v18
	v_lshlrev_b32_e32 v18, 25, v1
	v_cmp_gt_i64_e32 vcc, 0, v[17:18]
	v_not_b32_e32 v18, v18
	v_ashrrev_i32_e32 v18, 31, v18
	v_and_b32_e32 v2, v2, v19
	v_xor_b32_e32 v19, vcc_hi, v18
	v_xor_b32_e32 v18, vcc_lo, v18
	v_and_b32_e32 v4, v4, v18
	v_lshlrev_b32_e32 v18, 24, v1
	v_lshlrev_b32_e32 v3, 4, v1
	v_cmp_gt_i64_e32 vcc, 0, v[17:18]
	v_not_b32_e32 v1, v18
	v_ashrrev_i32_e32 v1, 31, v1
	v_xor_b32_e32 v18, vcc_hi, v1
	v_xor_b32_e32 v1, vcc_lo, v1
	v_and_b32_e32 v2, v2, v19
	v_and_b32_e32 v1, v4, v1
	;; [unrolled: 1-line block ×3, first 2 shown]
	v_mbcnt_lo_u32_b32 v4, v1, 0
	v_mbcnt_hi_u32_b32 v19, v2, v4
	v_cmp_ne_u64_e32 vcc, 0, v[1:2]
	v_mov_b32_e32 v7, v20
	v_mov_b32_e32 v5, v22
	v_cmp_eq_u32_e64 s[26:27], 0, v19
	v_mov_b32_e32 v8, v21
	v_mov_b32_e32 v6, v23
	s_and_b64 s[44:45], vcc, s[26:27]
	v_add_u32_e32 v20, v30, v3
	ds_write2_b64 v29, v[13:14], v[15:16] offset0:2 offset1:3
	s_waitcnt lgkmcnt(0)
	s_barrier
	; wave barrier
	s_and_saveexec_b64 s[26:27], s[44:45]
; %bb.20:                               ;   in Loop: Header=BB0_19 Depth=1
	v_bcnt_u32_b32 v1, v1, 0
	v_bcnt_u32_b32 v1, v2, v1
	ds_write_b32 v20, v1 offset:16
; %bb.21:                               ;   in Loop: Header=BB0_19 Depth=1
	s_or_b64 exec, exec, s[26:27]
	v_lshrrev_b32_sdwa v1, s34, v31 dst_sel:DWORD dst_unused:UNUSED_PAD src0_sel:DWORD src1_sel:BYTE_1
	v_and_b32_e32 v1, s40, v1
	v_lshlrev_b32_e32 v2, 4, v1
	v_add_u32_e32 v22, v30, v2
	v_and_b32_e32 v2, 1, v1
	v_add_co_u32_e32 v3, vcc, -1, v2
	v_addc_co_u32_e64 v4, s[26:27], 0, -1, vcc
	v_cmp_ne_u32_e32 vcc, 0, v2
	v_lshlrev_b32_e32 v18, 30, v1
	v_xor_b32_e32 v2, vcc_hi, v4
	v_xor_b32_e32 v3, vcc_lo, v3
	v_cmp_gt_i64_e32 vcc, 0, v[17:18]
	v_not_b32_e32 v4, v18
	v_ashrrev_i32_e32 v4, 31, v4
	v_and_b32_e32 v2, exec_hi, v2
	v_xor_b32_e32 v18, vcc_hi, v4
	v_and_b32_e32 v3, exec_lo, v3
	v_xor_b32_e32 v4, vcc_lo, v4
	v_and_b32_e32 v2, v2, v18
	v_lshlrev_b32_e32 v18, 29, v1
	v_and_b32_e32 v3, v3, v4
	v_cmp_gt_i64_e32 vcc, 0, v[17:18]
	v_not_b32_e32 v4, v18
	v_ashrrev_i32_e32 v4, 31, v4
	v_xor_b32_e32 v18, vcc_hi, v4
	v_xor_b32_e32 v4, vcc_lo, v4
	v_and_b32_e32 v2, v2, v18
	v_lshlrev_b32_e32 v18, 28, v1
	v_and_b32_e32 v3, v3, v4
	v_cmp_gt_i64_e32 vcc, 0, v[17:18]
	v_not_b32_e32 v4, v18
	v_ashrrev_i32_e32 v4, 31, v4
	v_xor_b32_e32 v18, vcc_hi, v4
	;; [unrolled: 8-line block ×5, first 2 shown]
	v_and_b32_e32 v2, v2, v18
	v_lshlrev_b32_e32 v18, 24, v1
	v_xor_b32_e32 v4, vcc_lo, v4
	v_cmp_gt_i64_e32 vcc, 0, v[17:18]
	v_not_b32_e32 v1, v18
	v_ashrrev_i32_e32 v1, 31, v1
	v_and_b32_e32 v3, v3, v4
	v_xor_b32_e32 v4, vcc_hi, v1
	v_xor_b32_e32 v1, vcc_lo, v1
	; wave barrier
	ds_read_b32 v21, v22 offset:16
	v_and_b32_e32 v1, v3, v1
	v_and_b32_e32 v2, v2, v4
	v_mbcnt_lo_u32_b32 v3, v1, 0
	v_mbcnt_hi_u32_b32 v23, v2, v3
	v_cmp_ne_u64_e32 vcc, 0, v[1:2]
	v_cmp_eq_u32_e64 s[26:27], 0, v23
	s_and_b64 s[44:45], vcc, s[26:27]
	; wave barrier
	s_and_saveexec_b64 s[26:27], s[44:45]
	s_cbranch_execz .LBB0_23
; %bb.22:                               ;   in Loop: Header=BB0_19 Depth=1
	v_bcnt_u32_b32 v1, v1, 0
	v_bcnt_u32_b32 v1, v2, v1
	s_waitcnt lgkmcnt(0)
	v_add_u32_e32 v1, v21, v1
	ds_write_b32 v22, v1 offset:16
.LBB0_23:                               ;   in Loop: Header=BB0_19 Depth=1
	s_or_b64 exec, exec, s[26:27]
	v_lshrrev_b32_sdwa v1, s34, v31 dst_sel:DWORD dst_unused:UNUSED_PAD src0_sel:DWORD src1_sel:BYTE_2
	v_and_b32_e32 v1, s40, v1
	v_lshlrev_b32_e32 v2, 4, v1
	v_add_u32_e32 v24, v30, v2
	v_and_b32_e32 v2, 1, v1
	v_add_co_u32_e32 v3, vcc, -1, v2
	v_addc_co_u32_e64 v4, s[26:27], 0, -1, vcc
	v_cmp_ne_u32_e32 vcc, 0, v2
	v_lshlrev_b32_e32 v18, 30, v1
	v_xor_b32_e32 v2, vcc_hi, v4
	v_xor_b32_e32 v3, vcc_lo, v3
	v_cmp_gt_i64_e32 vcc, 0, v[17:18]
	v_not_b32_e32 v4, v18
	v_ashrrev_i32_e32 v4, 31, v4
	v_and_b32_e32 v2, exec_hi, v2
	v_xor_b32_e32 v18, vcc_hi, v4
	v_and_b32_e32 v3, exec_lo, v3
	v_xor_b32_e32 v4, vcc_lo, v4
	v_and_b32_e32 v2, v2, v18
	v_lshlrev_b32_e32 v18, 29, v1
	v_and_b32_e32 v3, v3, v4
	v_cmp_gt_i64_e32 vcc, 0, v[17:18]
	v_not_b32_e32 v4, v18
	v_ashrrev_i32_e32 v4, 31, v4
	v_xor_b32_e32 v18, vcc_hi, v4
	v_xor_b32_e32 v4, vcc_lo, v4
	v_and_b32_e32 v2, v2, v18
	v_lshlrev_b32_e32 v18, 28, v1
	v_and_b32_e32 v3, v3, v4
	v_cmp_gt_i64_e32 vcc, 0, v[17:18]
	v_not_b32_e32 v4, v18
	v_ashrrev_i32_e32 v4, 31, v4
	v_xor_b32_e32 v18, vcc_hi, v4
	;; [unrolled: 8-line block ×5, first 2 shown]
	v_and_b32_e32 v2, v2, v18
	v_lshlrev_b32_e32 v18, 24, v1
	v_xor_b32_e32 v4, vcc_lo, v4
	v_cmp_gt_i64_e32 vcc, 0, v[17:18]
	v_not_b32_e32 v1, v18
	v_ashrrev_i32_e32 v1, 31, v1
	v_and_b32_e32 v3, v3, v4
	v_xor_b32_e32 v4, vcc_hi, v1
	v_xor_b32_e32 v1, vcc_lo, v1
	; wave barrier
	ds_read_b32 v39, v24 offset:16
	v_and_b32_e32 v1, v3, v1
	v_and_b32_e32 v2, v2, v4
	v_mbcnt_lo_u32_b32 v3, v1, 0
	v_mbcnt_hi_u32_b32 v41, v2, v3
	v_cmp_ne_u64_e32 vcc, 0, v[1:2]
	v_cmp_eq_u32_e64 s[26:27], 0, v41
	s_and_b64 s[44:45], vcc, s[26:27]
	; wave barrier
	s_and_saveexec_b64 s[26:27], s[44:45]
	s_cbranch_execz .LBB0_25
; %bb.24:                               ;   in Loop: Header=BB0_19 Depth=1
	v_bcnt_u32_b32 v1, v1, 0
	v_bcnt_u32_b32 v1, v2, v1
	s_waitcnt lgkmcnt(0)
	v_add_u32_e32 v1, v39, v1
	ds_write_b32 v24, v1 offset:16
.LBB0_25:                               ;   in Loop: Header=BB0_19 Depth=1
	s_or_b64 exec, exec, s[26:27]
	v_lshrrev_b32_e32 v40, 24, v31
	v_lshrrev_b32_e32 v1, s34, v40
	v_and_b32_e32 v1, s40, v1
	v_lshlrev_b32_e32 v2, 4, v1
	v_add_u32_e32 v43, v30, v2
	v_and_b32_e32 v2, 1, v1
	v_add_co_u32_e32 v3, vcc, -1, v2
	v_addc_co_u32_e64 v4, s[26:27], 0, -1, vcc
	v_cmp_ne_u32_e32 vcc, 0, v2
	v_lshlrev_b32_e32 v18, 30, v1
	v_xor_b32_e32 v2, vcc_hi, v4
	v_xor_b32_e32 v3, vcc_lo, v3
	v_cmp_gt_i64_e32 vcc, 0, v[17:18]
	v_not_b32_e32 v4, v18
	v_ashrrev_i32_e32 v4, 31, v4
	v_and_b32_e32 v2, exec_hi, v2
	v_xor_b32_e32 v18, vcc_hi, v4
	v_and_b32_e32 v3, exec_lo, v3
	v_xor_b32_e32 v4, vcc_lo, v4
	v_and_b32_e32 v2, v2, v18
	v_lshlrev_b32_e32 v18, 29, v1
	v_and_b32_e32 v3, v3, v4
	v_cmp_gt_i64_e32 vcc, 0, v[17:18]
	v_not_b32_e32 v4, v18
	v_ashrrev_i32_e32 v4, 31, v4
	v_xor_b32_e32 v18, vcc_hi, v4
	v_xor_b32_e32 v4, vcc_lo, v4
	v_and_b32_e32 v2, v2, v18
	v_lshlrev_b32_e32 v18, 28, v1
	v_and_b32_e32 v3, v3, v4
	v_cmp_gt_i64_e32 vcc, 0, v[17:18]
	v_not_b32_e32 v4, v18
	v_ashrrev_i32_e32 v4, 31, v4
	v_xor_b32_e32 v18, vcc_hi, v4
	;; [unrolled: 8-line block ×5, first 2 shown]
	v_and_b32_e32 v2, v2, v18
	v_lshlrev_b32_e32 v18, 24, v1
	v_xor_b32_e32 v4, vcc_lo, v4
	v_cmp_gt_i64_e32 vcc, 0, v[17:18]
	v_not_b32_e32 v1, v18
	v_ashrrev_i32_e32 v1, 31, v1
	v_and_b32_e32 v3, v3, v4
	v_xor_b32_e32 v4, vcc_hi, v1
	v_xor_b32_e32 v1, vcc_lo, v1
	; wave barrier
	ds_read_b32 v42, v43 offset:16
	v_and_b32_e32 v1, v3, v1
	v_and_b32_e32 v2, v2, v4
	v_mbcnt_lo_u32_b32 v3, v1, 0
	v_mbcnt_hi_u32_b32 v18, v2, v3
	v_cmp_ne_u64_e32 vcc, 0, v[1:2]
	v_cmp_eq_u32_e64 s[26:27], 0, v18
	s_and_b64 s[40:41], vcc, s[26:27]
	; wave barrier
	s_and_saveexec_b64 s[26:27], s[40:41]
	s_cbranch_execz .LBB0_27
; %bb.26:                               ;   in Loop: Header=BB0_19 Depth=1
	v_bcnt_u32_b32 v1, v1, 0
	v_bcnt_u32_b32 v1, v2, v1
	s_waitcnt lgkmcnt(0)
	v_add_u32_e32 v1, v42, v1
	ds_write_b32 v43, v1 offset:16
.LBB0_27:                               ;   in Loop: Header=BB0_19 Depth=1
	s_or_b64 exec, exec, s[26:27]
	; wave barrier
	s_waitcnt lgkmcnt(0)
	s_barrier
	ds_read2_b64 v[1:4], v29 offset0:2 offset1:3
	s_waitcnt lgkmcnt(0)
	v_add_u32_e32 v44, v2, v1
	v_add3_u32 v4, v44, v3, v4
	s_nop 1
	v_mov_b32_dpp v44, v4 row_shr:1 row_mask:0xf bank_mask:0xf
	v_cndmask_b32_e64 v44, v44, 0, s[0:1]
	v_add_u32_e32 v4, v44, v4
	s_nop 1
	v_mov_b32_dpp v44, v4 row_shr:2 row_mask:0xf bank_mask:0xf
	v_cndmask_b32_e64 v44, 0, v44, s[2:3]
	v_add_u32_e32 v4, v4, v44
	s_nop 1
	v_mov_b32_dpp v44, v4 row_shr:4 row_mask:0xf bank_mask:0xf
	v_cndmask_b32_e64 v44, 0, v44, s[4:5]
	v_add_u32_e32 v4, v4, v44
	s_nop 1
	v_mov_b32_dpp v44, v4 row_shr:8 row_mask:0xf bank_mask:0xf
	v_cndmask_b32_e64 v44, 0, v44, s[6:7]
	v_add_u32_e32 v4, v4, v44
	s_nop 1
	v_mov_b32_dpp v44, v4 row_bcast:15 row_mask:0xf bank_mask:0xf
	v_cndmask_b32_e64 v44, v44, 0, s[8:9]
	v_add_u32_e32 v4, v4, v44
	s_nop 1
	v_mov_b32_dpp v44, v4 row_bcast:31 row_mask:0xf bank_mask:0xf
	v_cndmask_b32_e64 v44, 0, v44, s[10:11]
	v_add_u32_e32 v4, v4, v44
	s_and_saveexec_b64 s[26:27], s[12:13]
; %bb.28:                               ;   in Loop: Header=BB0_19 Depth=1
	ds_write_b32 v33, v4
; %bb.29:                               ;   in Loop: Header=BB0_19 Depth=1
	s_or_b64 exec, exec, s[26:27]
	s_waitcnt lgkmcnt(0)
	s_barrier
	s_and_saveexec_b64 s[26:27], s[14:15]
	s_cbranch_execz .LBB0_31
; %bb.30:                               ;   in Loop: Header=BB0_19 Depth=1
	ds_read_b32 v44, v34
	s_waitcnt lgkmcnt(0)
	s_nop 0
	v_mov_b32_dpp v45, v44 row_shr:1 row_mask:0xf bank_mask:0xf
	v_cndmask_b32_e64 v45, v45, 0, s[22:23]
	v_add_u32_e32 v44, v45, v44
	s_nop 1
	v_mov_b32_dpp v45, v44 row_shr:2 row_mask:0xf bank_mask:0xf
	v_cndmask_b32_e64 v45, 0, v45, s[24:25]
	v_add_u32_e32 v44, v44, v45
	ds_write_b32 v34, v44
.LBB0_31:                               ;   in Loop: Header=BB0_19 Depth=1
	s_or_b64 exec, exec, s[26:27]
	v_mov_b32_e32 v46, 0
	s_waitcnt lgkmcnt(0)
	s_barrier
	s_and_saveexec_b64 s[26:27], s[16:17]
; %bb.32:                               ;   in Loop: Header=BB0_19 Depth=1
	v_add_u32_e32 v44, -4, v33
	ds_read_b32 v46, v44
; %bb.33:                               ;   in Loop: Header=BB0_19 Depth=1
	s_or_b64 exec, exec, s[26:27]
	s_waitcnt lgkmcnt(0)
	v_add_u32_e32 v4, v46, v4
	ds_bpermute_b32 v4, v32, v4
	s_add_i32 s34, s34, 8
	v_mov_b32_e32 v44, v31
	v_lshrrev_b32_e32 v45, 8, v31
	s_cmp_ge_u32 s34, s36
	s_waitcnt lgkmcnt(0)
	v_cndmask_b32_e64 v4, v4, v46, s[18:19]
	v_cndmask_b32_e64 v46, v4, 0, s[20:21]
	v_add_u32_e32 v47, v46, v1
	v_add_u32_e32 v1, v47, v2
	;; [unrolled: 1-line block ×3, first 2 shown]
	ds_write2_b64 v29, v[46:47], v[1:2] offset0:2 offset1:3
	s_waitcnt lgkmcnt(0)
	s_barrier
	ds_read_b32 v1, v20 offset:16
	ds_read_b32 v2, v22 offset:16
	;; [unrolled: 1-line block ×4, first 2 shown]
	v_lshrrev_b32_e32 v46, 16, v31
	s_waitcnt lgkmcnt(3)
	v_add_u32_e32 v43, v1, v19
	s_waitcnt lgkmcnt(2)
	v_add3_u32 v24, v23, v21, v2
	s_waitcnt lgkmcnt(1)
	v_add3_u32 v2, v41, v39, v3
	v_mul_lo_u32 v39, v43, 7
	s_waitcnt lgkmcnt(0)
	v_add3_u32 v1, v18, v42, v4
	s_mov_b64 s[26:27], -1
	v_readfirstlane_b32 s40, v0
                                        ; implicit-def: $vgpr3_vgpr4
                                        ; implicit-def: $vgpr18_vgpr19
                                        ; implicit-def: $vgpr20_vgpr21
                                        ; implicit-def: $vgpr22_vgpr23
	s_cbranch_scc1 .LBB0_18
; %bb.34:                               ;   in Loop: Header=BB0_19 Depth=1
	s_barrier
	ds_write_b8 v43, v31
	ds_write_b8 v24, v45
	ds_write_b8 v2, v46
	ds_write_b8 v1, v40
	s_waitcnt lgkmcnt(0)
	s_barrier
	ds_read_u8 v3, v25
	ds_read_u8 v4, v26
	;; [unrolled: 1-line block ×4, first 2 shown]
	v_add_u32_e32 v21, v43, v39
	s_waitcnt lgkmcnt(0)
	s_barrier
	v_perm_b32 v3, v18, v3, s37
	v_perm_b32 v4, v4, v19, s37
	v_lshl_or_b32 v31, v4, 16, v3
	v_mad_u64_u32 v[3:4], s[26:27], v24, 7, v[24:25]
	s_add_i32 s40, s35, -8
	v_mad_u64_u32 v[18:19], s[26:27], v2, 7, v[2:3]
	v_mad_u64_u32 v[19:20], s[26:27], v1, 7, v[1:2]
	ds_write_b64 v21, v[11:12]
	ds_write_b64 v3, v[9:10]
	;; [unrolled: 1-line block ×4, first 2 shown]
	s_waitcnt lgkmcnt(0)
	s_barrier
	ds_read_b64 v[3:4], v35
	ds_read_b64 v[18:19], v36
	;; [unrolled: 1-line block ×4, first 2 shown]
	s_mov_b64 s[26:27], 0
	s_waitcnt lgkmcnt(0)
	s_barrier
	s_branch .LBB0_18
.LBB0_35:
	v_mad_u64_u32 v[3:4], s[0:1], v24, 7, v[24:25]
	s_barrier
	v_mad_u64_u32 v[13:14], s[0:1], v2, 7, v[2:3]
	ds_write_b8 v43, v44
	ds_write_b8 v24, v45
	;; [unrolled: 1-line block ×4, first 2 shown]
	v_add_u32_e32 v19, v43, v39
	v_mad_u64_u32 v[1:2], s[0:1], v1, 7, v[1:2]
	s_waitcnt lgkmcnt(0)
	s_barrier
	ds_read_u8 v15, v0
	ds_read_u8 v16, v0 offset:256
	ds_read_u8 v17, v0 offset:512
	;; [unrolled: 1-line block ×3, first 2 shown]
	s_waitcnt lgkmcnt(0)
	s_barrier
	ds_write_b64 v19, v[11:12]
	ds_write_b64 v3, v[9:10]
	;; [unrolled: 1-line block ×4, first 2 shown]
	v_mad_u32_u24 v1, v0, 7, v0
	s_waitcnt lgkmcnt(0)
	s_barrier
	ds_read2st64_b64 v[5:8], v1 offset1:4
	ds_read2st64_b64 v[1:4], v1 offset0:8 offset1:12
	s_add_u32 s0, s38, s28
	s_addc_u32 s1, s39, 0
	v_mov_b32_e32 v10, s1
	v_add_co_u32_e32 v9, vcc, s0, v0
	v_addc_co_u32_e32 v10, vcc, 0, v10, vcc
	v_xor_b32_e32 v15, -1, v15
	v_xor_b32_e32 v14, -1, v16
	;; [unrolled: 1-line block ×4, first 2 shown]
	s_andn2_b64 vcc, exec, s[30:31]
	v_lshlrev_b32_e32 v11, 3, v0
	s_cbranch_vccnz .LBB0_37
; %bb.36:
	s_lshl_b64 s[0:1], s[28:29], 3
	s_add_u32 s0, s42, s0
	s_addc_u32 s1, s43, s1
	v_mov_b32_e32 v16, s1
	v_add_co_u32_e32 v17, vcc, s0, v11
	v_addc_co_u32_e32 v18, vcc, 0, v16, vcc
	v_add_co_u32_e32 v16, vcc, 0x1000, v17
	global_store_byte v[9:10], v15, off
	global_store_byte v[9:10], v14, off offset:256
	global_store_byte v[9:10], v13, off offset:512
	global_store_byte v[9:10], v12, off offset:768
	s_waitcnt lgkmcnt(1)
	global_store_dwordx2 v11, v[5:6], s[0:1]
	global_store_dwordx2 v11, v[7:8], s[0:1] offset:2048
	v_addc_co_u32_e32 v17, vcc, 0, v18, vcc
	s_mov_b64 s[6:7], -1
	s_waitcnt lgkmcnt(0)
	global_store_dwordx2 v[16:17], v[1:2], off
	s_cbranch_execz .LBB0_38
	s_branch .LBB0_51
.LBB0_37:
	s_mov_b64 s[6:7], 0
.LBB0_38:
	v_cmp_gt_u32_e32 vcc, s33, v0
	s_and_saveexec_b64 s[0:1], vcc
	s_cbranch_execz .LBB0_40
; %bb.39:
	global_store_byte v[9:10], v15, off
.LBB0_40:
	s_or_b64 exec, exec, s[0:1]
	v_or_b32_e32 v15, 0x100, v0
	v_cmp_gt_u32_e64 s[0:1], s33, v15
	s_and_saveexec_b64 s[2:3], s[0:1]
	s_cbranch_execz .LBB0_42
; %bb.41:
	global_store_byte v[9:10], v14, off offset:256
.LBB0_42:
	s_or_b64 exec, exec, s[2:3]
	v_or_b32_e32 v14, 0x200, v0
	v_cmp_gt_u32_e64 s[2:3], s33, v14
	s_and_saveexec_b64 s[4:5], s[2:3]
	s_cbranch_execz .LBB0_44
; %bb.43:
	global_store_byte v[9:10], v13, off offset:512
.LBB0_44:
	;; [unrolled: 8-line block ×3, first 2 shown]
	s_or_b64 exec, exec, s[4:5]
	s_lshl_b64 s[4:5], s[28:29], 3
	s_add_u32 s4, s42, s4
	s_addc_u32 s5, s43, s5
	v_mov_b32_e32 v0, s5
	v_add_co_u32_e64 v9, s[4:5], s4, v11
	v_addc_co_u32_e64 v10, s[4:5], 0, v0, s[4:5]
	s_and_saveexec_b64 s[4:5], vcc
	s_cbranch_execnz .LBB0_57
; %bb.47:
	s_or_b64 exec, exec, s[4:5]
	s_and_saveexec_b64 s[4:5], s[0:1]
	s_cbranch_execnz .LBB0_58
.LBB0_48:
	s_or_b64 exec, exec, s[4:5]
	s_and_saveexec_b64 s[0:1], s[2:3]
	s_cbranch_execz .LBB0_50
.LBB0_49:
	s_waitcnt lgkmcnt(1)
	v_add_co_u32_e32 v5, vcc, 0x1000, v9
	v_addc_co_u32_e32 v6, vcc, 0, v10, vcc
	s_waitcnt lgkmcnt(0)
	global_store_dwordx2 v[5:6], v[1:2], off
.LBB0_50:
	s_or_b64 exec, exec, s[0:1]
.LBB0_51:
	s_and_saveexec_b64 s[0:1], s[6:7]
	s_cbranch_execnz .LBB0_53
; %bb.52:
	s_endpgm
.LBB0_53:
	s_lshl_b64 s[0:1], s[28:29], 3
	s_add_u32 s0, s42, s0
	s_addc_u32 s1, s43, s1
	v_mov_b32_e32 v0, s1
	s_waitcnt lgkmcnt(0)
	v_add_co_u32_e32 v1, vcc, s0, v11
	v_addc_co_u32_e32 v2, vcc, 0, v0, vcc
	v_add_co_u32_e32 v0, vcc, 0x1000, v1
	v_addc_co_u32_e32 v1, vcc, 0, v2, vcc
	global_store_dwordx2 v[0:1], v[3:4], off offset:2048
	s_endpgm
.LBB0_54:
	global_load_dwordx2 v[3:4], v[5:6], off
	s_or_b64 exec, exec, s[8:9]
                                        ; implicit-def: $vgpr18_vgpr19
	s_and_saveexec_b64 s[8:9], s[0:1]
	s_cbranch_execz .LBB0_13
.LBB0_55:
	global_load_dwordx2 v[18:19], v[5:6], off offset:512
	s_or_b64 exec, exec, s[8:9]
                                        ; implicit-def: $vgpr20_vgpr21
	s_and_saveexec_b64 s[0:1], s[2:3]
	s_cbranch_execz .LBB0_14
.LBB0_56:
	global_load_dwordx2 v[20:21], v[5:6], off offset:1024
	s_or_b64 exec, exec, s[0:1]
                                        ; implicit-def: $vgpr22_vgpr23
	s_and_saveexec_b64 s[0:1], s[6:7]
	s_cbranch_execnz .LBB0_15
	s_branch .LBB0_16
.LBB0_57:
	s_waitcnt lgkmcnt(1)
	global_store_dwordx2 v[9:10], v[5:6], off
	s_or_b64 exec, exec, s[4:5]
	s_and_saveexec_b64 s[4:5], s[0:1]
	s_cbranch_execz .LBB0_48
.LBB0_58:
	s_waitcnt lgkmcnt(1)
	global_store_dwordx2 v[9:10], v[7:8], off offset:2048
	s_or_b64 exec, exec, s[4:5]
	s_and_saveexec_b64 s[0:1], s[2:3]
	s_cbranch_execnz .LBB0_49
	s_branch .LBB0_50
	.section	.rodata,"a",@progbits
	.p2align	6, 0x0
	.amdhsa_kernel _ZN7rocprim17ROCPRIM_304000_NS6detail28radix_sort_block_sort_kernelINS1_36wrapped_radix_sort_block_sort_configINS0_13kernel_configILj256ELj4ELj4294967295EEEhN2at4cuda3cub6detail10OpaqueTypeILi8EEEEELb1EPKhPhPKSB_PSB_NS0_19identity_decomposerEEEvT1_T2_T3_T4_jT5_jj
		.amdhsa_group_segment_fixed_size 8192
		.amdhsa_private_segment_fixed_size 0
		.amdhsa_kernarg_size 304
		.amdhsa_user_sgpr_count 6
		.amdhsa_user_sgpr_private_segment_buffer 1
		.amdhsa_user_sgpr_dispatch_ptr 0
		.amdhsa_user_sgpr_queue_ptr 0
		.amdhsa_user_sgpr_kernarg_segment_ptr 1
		.amdhsa_user_sgpr_dispatch_id 0
		.amdhsa_user_sgpr_flat_scratch_init 0
		.amdhsa_user_sgpr_private_segment_size 0
		.amdhsa_uses_dynamic_stack 0
		.amdhsa_system_sgpr_private_segment_wavefront_offset 0
		.amdhsa_system_sgpr_workgroup_id_x 1
		.amdhsa_system_sgpr_workgroup_id_y 0
		.amdhsa_system_sgpr_workgroup_id_z 0
		.amdhsa_system_sgpr_workgroup_info 0
		.amdhsa_system_vgpr_workitem_id 2
		.amdhsa_next_free_vgpr 48
		.amdhsa_next_free_sgpr 61
		.amdhsa_reserve_vcc 1
		.amdhsa_reserve_flat_scratch 0
		.amdhsa_float_round_mode_32 0
		.amdhsa_float_round_mode_16_64 0
		.amdhsa_float_denorm_mode_32 3
		.amdhsa_float_denorm_mode_16_64 3
		.amdhsa_dx10_clamp 1
		.amdhsa_ieee_mode 1
		.amdhsa_fp16_overflow 0
		.amdhsa_exception_fp_ieee_invalid_op 0
		.amdhsa_exception_fp_denorm_src 0
		.amdhsa_exception_fp_ieee_div_zero 0
		.amdhsa_exception_fp_ieee_overflow 0
		.amdhsa_exception_fp_ieee_underflow 0
		.amdhsa_exception_fp_ieee_inexact 0
		.amdhsa_exception_int_div_zero 0
	.end_amdhsa_kernel
	.section	.text._ZN7rocprim17ROCPRIM_304000_NS6detail28radix_sort_block_sort_kernelINS1_36wrapped_radix_sort_block_sort_configINS0_13kernel_configILj256ELj4ELj4294967295EEEhN2at4cuda3cub6detail10OpaqueTypeILi8EEEEELb1EPKhPhPKSB_PSB_NS0_19identity_decomposerEEEvT1_T2_T3_T4_jT5_jj,"axG",@progbits,_ZN7rocprim17ROCPRIM_304000_NS6detail28radix_sort_block_sort_kernelINS1_36wrapped_radix_sort_block_sort_configINS0_13kernel_configILj256ELj4ELj4294967295EEEhN2at4cuda3cub6detail10OpaqueTypeILi8EEEEELb1EPKhPhPKSB_PSB_NS0_19identity_decomposerEEEvT1_T2_T3_T4_jT5_jj,comdat
.Lfunc_end0:
	.size	_ZN7rocprim17ROCPRIM_304000_NS6detail28radix_sort_block_sort_kernelINS1_36wrapped_radix_sort_block_sort_configINS0_13kernel_configILj256ELj4ELj4294967295EEEhN2at4cuda3cub6detail10OpaqueTypeILi8EEEEELb1EPKhPhPKSB_PSB_NS0_19identity_decomposerEEEvT1_T2_T3_T4_jT5_jj, .Lfunc_end0-_ZN7rocprim17ROCPRIM_304000_NS6detail28radix_sort_block_sort_kernelINS1_36wrapped_radix_sort_block_sort_configINS0_13kernel_configILj256ELj4ELj4294967295EEEhN2at4cuda3cub6detail10OpaqueTypeILi8EEEEELb1EPKhPhPKSB_PSB_NS0_19identity_decomposerEEEvT1_T2_T3_T4_jT5_jj
                                        ; -- End function
	.set _ZN7rocprim17ROCPRIM_304000_NS6detail28radix_sort_block_sort_kernelINS1_36wrapped_radix_sort_block_sort_configINS0_13kernel_configILj256ELj4ELj4294967295EEEhN2at4cuda3cub6detail10OpaqueTypeILi8EEEEELb1EPKhPhPKSB_PSB_NS0_19identity_decomposerEEEvT1_T2_T3_T4_jT5_jj.num_vgpr, 48
	.set _ZN7rocprim17ROCPRIM_304000_NS6detail28radix_sort_block_sort_kernelINS1_36wrapped_radix_sort_block_sort_configINS0_13kernel_configILj256ELj4ELj4294967295EEEhN2at4cuda3cub6detail10OpaqueTypeILi8EEEEELb1EPKhPhPKSB_PSB_NS0_19identity_decomposerEEEvT1_T2_T3_T4_jT5_jj.num_agpr, 0
	.set _ZN7rocprim17ROCPRIM_304000_NS6detail28radix_sort_block_sort_kernelINS1_36wrapped_radix_sort_block_sort_configINS0_13kernel_configILj256ELj4ELj4294967295EEEhN2at4cuda3cub6detail10OpaqueTypeILi8EEEEELb1EPKhPhPKSB_PSB_NS0_19identity_decomposerEEEvT1_T2_T3_T4_jT5_jj.numbered_sgpr, 46
	.set _ZN7rocprim17ROCPRIM_304000_NS6detail28radix_sort_block_sort_kernelINS1_36wrapped_radix_sort_block_sort_configINS0_13kernel_configILj256ELj4ELj4294967295EEEhN2at4cuda3cub6detail10OpaqueTypeILi8EEEEELb1EPKhPhPKSB_PSB_NS0_19identity_decomposerEEEvT1_T2_T3_T4_jT5_jj.num_named_barrier, 0
	.set _ZN7rocprim17ROCPRIM_304000_NS6detail28radix_sort_block_sort_kernelINS1_36wrapped_radix_sort_block_sort_configINS0_13kernel_configILj256ELj4ELj4294967295EEEhN2at4cuda3cub6detail10OpaqueTypeILi8EEEEELb1EPKhPhPKSB_PSB_NS0_19identity_decomposerEEEvT1_T2_T3_T4_jT5_jj.private_seg_size, 0
	.set _ZN7rocprim17ROCPRIM_304000_NS6detail28radix_sort_block_sort_kernelINS1_36wrapped_radix_sort_block_sort_configINS0_13kernel_configILj256ELj4ELj4294967295EEEhN2at4cuda3cub6detail10OpaqueTypeILi8EEEEELb1EPKhPhPKSB_PSB_NS0_19identity_decomposerEEEvT1_T2_T3_T4_jT5_jj.uses_vcc, 1
	.set _ZN7rocprim17ROCPRIM_304000_NS6detail28radix_sort_block_sort_kernelINS1_36wrapped_radix_sort_block_sort_configINS0_13kernel_configILj256ELj4ELj4294967295EEEhN2at4cuda3cub6detail10OpaqueTypeILi8EEEEELb1EPKhPhPKSB_PSB_NS0_19identity_decomposerEEEvT1_T2_T3_T4_jT5_jj.uses_flat_scratch, 0
	.set _ZN7rocprim17ROCPRIM_304000_NS6detail28radix_sort_block_sort_kernelINS1_36wrapped_radix_sort_block_sort_configINS0_13kernel_configILj256ELj4ELj4294967295EEEhN2at4cuda3cub6detail10OpaqueTypeILi8EEEEELb1EPKhPhPKSB_PSB_NS0_19identity_decomposerEEEvT1_T2_T3_T4_jT5_jj.has_dyn_sized_stack, 0
	.set _ZN7rocprim17ROCPRIM_304000_NS6detail28radix_sort_block_sort_kernelINS1_36wrapped_radix_sort_block_sort_configINS0_13kernel_configILj256ELj4ELj4294967295EEEhN2at4cuda3cub6detail10OpaqueTypeILi8EEEEELb1EPKhPhPKSB_PSB_NS0_19identity_decomposerEEEvT1_T2_T3_T4_jT5_jj.has_recursion, 0
	.set _ZN7rocprim17ROCPRIM_304000_NS6detail28radix_sort_block_sort_kernelINS1_36wrapped_radix_sort_block_sort_configINS0_13kernel_configILj256ELj4ELj4294967295EEEhN2at4cuda3cub6detail10OpaqueTypeILi8EEEEELb1EPKhPhPKSB_PSB_NS0_19identity_decomposerEEEvT1_T2_T3_T4_jT5_jj.has_indirect_call, 0
	.section	.AMDGPU.csdata,"",@progbits
; Kernel info:
; codeLenInByte = 3868
; TotalNumSgprs: 50
; NumVgprs: 48
; ScratchSize: 0
; MemoryBound: 0
; FloatMode: 240
; IeeeMode: 1
; LDSByteSize: 8192 bytes/workgroup (compile time only)
; SGPRBlocks: 8
; VGPRBlocks: 11
; NumSGPRsForWavesPerEU: 65
; NumVGPRsForWavesPerEU: 48
; Occupancy: 5
; WaveLimiterHint : 1
; COMPUTE_PGM_RSRC2:SCRATCH_EN: 0
; COMPUTE_PGM_RSRC2:USER_SGPR: 6
; COMPUTE_PGM_RSRC2:TRAP_HANDLER: 0
; COMPUTE_PGM_RSRC2:TGID_X_EN: 1
; COMPUTE_PGM_RSRC2:TGID_Y_EN: 0
; COMPUTE_PGM_RSRC2:TGID_Z_EN: 0
; COMPUTE_PGM_RSRC2:TIDIG_COMP_CNT: 2
	.section	.text._ZN7rocprim17ROCPRIM_304000_NS6detail39device_merge_sort_compile_time_verifierINS1_36wrapped_merge_sort_block_sort_configINS1_28merge_sort_block_sort_configILj256ELj4ELNS0_20block_sort_algorithmE0EEEhN2at4cuda3cub6detail10OpaqueTypeILi8EEEEENS1_37wrapped_merge_sort_block_merge_configINS0_14default_configEhSC_EEEEvv,"axG",@progbits,_ZN7rocprim17ROCPRIM_304000_NS6detail39device_merge_sort_compile_time_verifierINS1_36wrapped_merge_sort_block_sort_configINS1_28merge_sort_block_sort_configILj256ELj4ELNS0_20block_sort_algorithmE0EEEhN2at4cuda3cub6detail10OpaqueTypeILi8EEEEENS1_37wrapped_merge_sort_block_merge_configINS0_14default_configEhSC_EEEEvv,comdat
	.protected	_ZN7rocprim17ROCPRIM_304000_NS6detail39device_merge_sort_compile_time_verifierINS1_36wrapped_merge_sort_block_sort_configINS1_28merge_sort_block_sort_configILj256ELj4ELNS0_20block_sort_algorithmE0EEEhN2at4cuda3cub6detail10OpaqueTypeILi8EEEEENS1_37wrapped_merge_sort_block_merge_configINS0_14default_configEhSC_EEEEvv ; -- Begin function _ZN7rocprim17ROCPRIM_304000_NS6detail39device_merge_sort_compile_time_verifierINS1_36wrapped_merge_sort_block_sort_configINS1_28merge_sort_block_sort_configILj256ELj4ELNS0_20block_sort_algorithmE0EEEhN2at4cuda3cub6detail10OpaqueTypeILi8EEEEENS1_37wrapped_merge_sort_block_merge_configINS0_14default_configEhSC_EEEEvv
	.globl	_ZN7rocprim17ROCPRIM_304000_NS6detail39device_merge_sort_compile_time_verifierINS1_36wrapped_merge_sort_block_sort_configINS1_28merge_sort_block_sort_configILj256ELj4ELNS0_20block_sort_algorithmE0EEEhN2at4cuda3cub6detail10OpaqueTypeILi8EEEEENS1_37wrapped_merge_sort_block_merge_configINS0_14default_configEhSC_EEEEvv
	.p2align	8
	.type	_ZN7rocprim17ROCPRIM_304000_NS6detail39device_merge_sort_compile_time_verifierINS1_36wrapped_merge_sort_block_sort_configINS1_28merge_sort_block_sort_configILj256ELj4ELNS0_20block_sort_algorithmE0EEEhN2at4cuda3cub6detail10OpaqueTypeILi8EEEEENS1_37wrapped_merge_sort_block_merge_configINS0_14default_configEhSC_EEEEvv,@function
_ZN7rocprim17ROCPRIM_304000_NS6detail39device_merge_sort_compile_time_verifierINS1_36wrapped_merge_sort_block_sort_configINS1_28merge_sort_block_sort_configILj256ELj4ELNS0_20block_sort_algorithmE0EEEhN2at4cuda3cub6detail10OpaqueTypeILi8EEEEENS1_37wrapped_merge_sort_block_merge_configINS0_14default_configEhSC_EEEEvv: ; @_ZN7rocprim17ROCPRIM_304000_NS6detail39device_merge_sort_compile_time_verifierINS1_36wrapped_merge_sort_block_sort_configINS1_28merge_sort_block_sort_configILj256ELj4ELNS0_20block_sort_algorithmE0EEEhN2at4cuda3cub6detail10OpaqueTypeILi8EEEEENS1_37wrapped_merge_sort_block_merge_configINS0_14default_configEhSC_EEEEvv
; %bb.0:
	s_endpgm
	.section	.rodata,"a",@progbits
	.p2align	6, 0x0
	.amdhsa_kernel _ZN7rocprim17ROCPRIM_304000_NS6detail39device_merge_sort_compile_time_verifierINS1_36wrapped_merge_sort_block_sort_configINS1_28merge_sort_block_sort_configILj256ELj4ELNS0_20block_sort_algorithmE0EEEhN2at4cuda3cub6detail10OpaqueTypeILi8EEEEENS1_37wrapped_merge_sort_block_merge_configINS0_14default_configEhSC_EEEEvv
		.amdhsa_group_segment_fixed_size 0
		.amdhsa_private_segment_fixed_size 0
		.amdhsa_kernarg_size 0
		.amdhsa_user_sgpr_count 4
		.amdhsa_user_sgpr_private_segment_buffer 1
		.amdhsa_user_sgpr_dispatch_ptr 0
		.amdhsa_user_sgpr_queue_ptr 0
		.amdhsa_user_sgpr_kernarg_segment_ptr 0
		.amdhsa_user_sgpr_dispatch_id 0
		.amdhsa_user_sgpr_flat_scratch_init 0
		.amdhsa_user_sgpr_private_segment_size 0
		.amdhsa_uses_dynamic_stack 0
		.amdhsa_system_sgpr_private_segment_wavefront_offset 0
		.amdhsa_system_sgpr_workgroup_id_x 1
		.amdhsa_system_sgpr_workgroup_id_y 0
		.amdhsa_system_sgpr_workgroup_id_z 0
		.amdhsa_system_sgpr_workgroup_info 0
		.amdhsa_system_vgpr_workitem_id 0
		.amdhsa_next_free_vgpr 1
		.amdhsa_next_free_sgpr 0
		.amdhsa_reserve_vcc 0
		.amdhsa_reserve_flat_scratch 0
		.amdhsa_float_round_mode_32 0
		.amdhsa_float_round_mode_16_64 0
		.amdhsa_float_denorm_mode_32 3
		.amdhsa_float_denorm_mode_16_64 3
		.amdhsa_dx10_clamp 1
		.amdhsa_ieee_mode 1
		.amdhsa_fp16_overflow 0
		.amdhsa_exception_fp_ieee_invalid_op 0
		.amdhsa_exception_fp_denorm_src 0
		.amdhsa_exception_fp_ieee_div_zero 0
		.amdhsa_exception_fp_ieee_overflow 0
		.amdhsa_exception_fp_ieee_underflow 0
		.amdhsa_exception_fp_ieee_inexact 0
		.amdhsa_exception_int_div_zero 0
	.end_amdhsa_kernel
	.section	.text._ZN7rocprim17ROCPRIM_304000_NS6detail39device_merge_sort_compile_time_verifierINS1_36wrapped_merge_sort_block_sort_configINS1_28merge_sort_block_sort_configILj256ELj4ELNS0_20block_sort_algorithmE0EEEhN2at4cuda3cub6detail10OpaqueTypeILi8EEEEENS1_37wrapped_merge_sort_block_merge_configINS0_14default_configEhSC_EEEEvv,"axG",@progbits,_ZN7rocprim17ROCPRIM_304000_NS6detail39device_merge_sort_compile_time_verifierINS1_36wrapped_merge_sort_block_sort_configINS1_28merge_sort_block_sort_configILj256ELj4ELNS0_20block_sort_algorithmE0EEEhN2at4cuda3cub6detail10OpaqueTypeILi8EEEEENS1_37wrapped_merge_sort_block_merge_configINS0_14default_configEhSC_EEEEvv,comdat
.Lfunc_end1:
	.size	_ZN7rocprim17ROCPRIM_304000_NS6detail39device_merge_sort_compile_time_verifierINS1_36wrapped_merge_sort_block_sort_configINS1_28merge_sort_block_sort_configILj256ELj4ELNS0_20block_sort_algorithmE0EEEhN2at4cuda3cub6detail10OpaqueTypeILi8EEEEENS1_37wrapped_merge_sort_block_merge_configINS0_14default_configEhSC_EEEEvv, .Lfunc_end1-_ZN7rocprim17ROCPRIM_304000_NS6detail39device_merge_sort_compile_time_verifierINS1_36wrapped_merge_sort_block_sort_configINS1_28merge_sort_block_sort_configILj256ELj4ELNS0_20block_sort_algorithmE0EEEhN2at4cuda3cub6detail10OpaqueTypeILi8EEEEENS1_37wrapped_merge_sort_block_merge_configINS0_14default_configEhSC_EEEEvv
                                        ; -- End function
	.set _ZN7rocprim17ROCPRIM_304000_NS6detail39device_merge_sort_compile_time_verifierINS1_36wrapped_merge_sort_block_sort_configINS1_28merge_sort_block_sort_configILj256ELj4ELNS0_20block_sort_algorithmE0EEEhN2at4cuda3cub6detail10OpaqueTypeILi8EEEEENS1_37wrapped_merge_sort_block_merge_configINS0_14default_configEhSC_EEEEvv.num_vgpr, 0
	.set _ZN7rocprim17ROCPRIM_304000_NS6detail39device_merge_sort_compile_time_verifierINS1_36wrapped_merge_sort_block_sort_configINS1_28merge_sort_block_sort_configILj256ELj4ELNS0_20block_sort_algorithmE0EEEhN2at4cuda3cub6detail10OpaqueTypeILi8EEEEENS1_37wrapped_merge_sort_block_merge_configINS0_14default_configEhSC_EEEEvv.num_agpr, 0
	.set _ZN7rocprim17ROCPRIM_304000_NS6detail39device_merge_sort_compile_time_verifierINS1_36wrapped_merge_sort_block_sort_configINS1_28merge_sort_block_sort_configILj256ELj4ELNS0_20block_sort_algorithmE0EEEhN2at4cuda3cub6detail10OpaqueTypeILi8EEEEENS1_37wrapped_merge_sort_block_merge_configINS0_14default_configEhSC_EEEEvv.numbered_sgpr, 0
	.set _ZN7rocprim17ROCPRIM_304000_NS6detail39device_merge_sort_compile_time_verifierINS1_36wrapped_merge_sort_block_sort_configINS1_28merge_sort_block_sort_configILj256ELj4ELNS0_20block_sort_algorithmE0EEEhN2at4cuda3cub6detail10OpaqueTypeILi8EEEEENS1_37wrapped_merge_sort_block_merge_configINS0_14default_configEhSC_EEEEvv.num_named_barrier, 0
	.set _ZN7rocprim17ROCPRIM_304000_NS6detail39device_merge_sort_compile_time_verifierINS1_36wrapped_merge_sort_block_sort_configINS1_28merge_sort_block_sort_configILj256ELj4ELNS0_20block_sort_algorithmE0EEEhN2at4cuda3cub6detail10OpaqueTypeILi8EEEEENS1_37wrapped_merge_sort_block_merge_configINS0_14default_configEhSC_EEEEvv.private_seg_size, 0
	.set _ZN7rocprim17ROCPRIM_304000_NS6detail39device_merge_sort_compile_time_verifierINS1_36wrapped_merge_sort_block_sort_configINS1_28merge_sort_block_sort_configILj256ELj4ELNS0_20block_sort_algorithmE0EEEhN2at4cuda3cub6detail10OpaqueTypeILi8EEEEENS1_37wrapped_merge_sort_block_merge_configINS0_14default_configEhSC_EEEEvv.uses_vcc, 0
	.set _ZN7rocprim17ROCPRIM_304000_NS6detail39device_merge_sort_compile_time_verifierINS1_36wrapped_merge_sort_block_sort_configINS1_28merge_sort_block_sort_configILj256ELj4ELNS0_20block_sort_algorithmE0EEEhN2at4cuda3cub6detail10OpaqueTypeILi8EEEEENS1_37wrapped_merge_sort_block_merge_configINS0_14default_configEhSC_EEEEvv.uses_flat_scratch, 0
	.set _ZN7rocprim17ROCPRIM_304000_NS6detail39device_merge_sort_compile_time_verifierINS1_36wrapped_merge_sort_block_sort_configINS1_28merge_sort_block_sort_configILj256ELj4ELNS0_20block_sort_algorithmE0EEEhN2at4cuda3cub6detail10OpaqueTypeILi8EEEEENS1_37wrapped_merge_sort_block_merge_configINS0_14default_configEhSC_EEEEvv.has_dyn_sized_stack, 0
	.set _ZN7rocprim17ROCPRIM_304000_NS6detail39device_merge_sort_compile_time_verifierINS1_36wrapped_merge_sort_block_sort_configINS1_28merge_sort_block_sort_configILj256ELj4ELNS0_20block_sort_algorithmE0EEEhN2at4cuda3cub6detail10OpaqueTypeILi8EEEEENS1_37wrapped_merge_sort_block_merge_configINS0_14default_configEhSC_EEEEvv.has_recursion, 0
	.set _ZN7rocprim17ROCPRIM_304000_NS6detail39device_merge_sort_compile_time_verifierINS1_36wrapped_merge_sort_block_sort_configINS1_28merge_sort_block_sort_configILj256ELj4ELNS0_20block_sort_algorithmE0EEEhN2at4cuda3cub6detail10OpaqueTypeILi8EEEEENS1_37wrapped_merge_sort_block_merge_configINS0_14default_configEhSC_EEEEvv.has_indirect_call, 0
	.section	.AMDGPU.csdata,"",@progbits
; Kernel info:
; codeLenInByte = 4
; TotalNumSgprs: 4
; NumVgprs: 0
; ScratchSize: 0
; MemoryBound: 0
; FloatMode: 240
; IeeeMode: 1
; LDSByteSize: 0 bytes/workgroup (compile time only)
; SGPRBlocks: 0
; VGPRBlocks: 0
; NumSGPRsForWavesPerEU: 4
; NumVGPRsForWavesPerEU: 1
; Occupancy: 10
; WaveLimiterHint : 0
; COMPUTE_PGM_RSRC2:SCRATCH_EN: 0
; COMPUTE_PGM_RSRC2:USER_SGPR: 4
; COMPUTE_PGM_RSRC2:TRAP_HANDLER: 0
; COMPUTE_PGM_RSRC2:TGID_X_EN: 1
; COMPUTE_PGM_RSRC2:TGID_Y_EN: 0
; COMPUTE_PGM_RSRC2:TGID_Z_EN: 0
; COMPUTE_PGM_RSRC2:TIDIG_COMP_CNT: 0
	.section	.text._ZN7rocprim17ROCPRIM_304000_NS6detail45device_block_merge_mergepath_partition_kernelINS1_37wrapped_merge_sort_block_merge_configINS0_14default_configEhN2at4cuda3cub6detail10OpaqueTypeILi8EEEEEPhjNS1_19radix_merge_compareILb1ELb0EhNS0_19identity_decomposerEEEEEvT0_T1_jPSH_T2_SH_,"axG",@progbits,_ZN7rocprim17ROCPRIM_304000_NS6detail45device_block_merge_mergepath_partition_kernelINS1_37wrapped_merge_sort_block_merge_configINS0_14default_configEhN2at4cuda3cub6detail10OpaqueTypeILi8EEEEEPhjNS1_19radix_merge_compareILb1ELb0EhNS0_19identity_decomposerEEEEEvT0_T1_jPSH_T2_SH_,comdat
	.protected	_ZN7rocprim17ROCPRIM_304000_NS6detail45device_block_merge_mergepath_partition_kernelINS1_37wrapped_merge_sort_block_merge_configINS0_14default_configEhN2at4cuda3cub6detail10OpaqueTypeILi8EEEEEPhjNS1_19radix_merge_compareILb1ELb0EhNS0_19identity_decomposerEEEEEvT0_T1_jPSH_T2_SH_ ; -- Begin function _ZN7rocprim17ROCPRIM_304000_NS6detail45device_block_merge_mergepath_partition_kernelINS1_37wrapped_merge_sort_block_merge_configINS0_14default_configEhN2at4cuda3cub6detail10OpaqueTypeILi8EEEEEPhjNS1_19radix_merge_compareILb1ELb0EhNS0_19identity_decomposerEEEEEvT0_T1_jPSH_T2_SH_
	.globl	_ZN7rocprim17ROCPRIM_304000_NS6detail45device_block_merge_mergepath_partition_kernelINS1_37wrapped_merge_sort_block_merge_configINS0_14default_configEhN2at4cuda3cub6detail10OpaqueTypeILi8EEEEEPhjNS1_19radix_merge_compareILb1ELb0EhNS0_19identity_decomposerEEEEEvT0_T1_jPSH_T2_SH_
	.p2align	8
	.type	_ZN7rocprim17ROCPRIM_304000_NS6detail45device_block_merge_mergepath_partition_kernelINS1_37wrapped_merge_sort_block_merge_configINS0_14default_configEhN2at4cuda3cub6detail10OpaqueTypeILi8EEEEEPhjNS1_19radix_merge_compareILb1ELb0EhNS0_19identity_decomposerEEEEEvT0_T1_jPSH_T2_SH_,@function
_ZN7rocprim17ROCPRIM_304000_NS6detail45device_block_merge_mergepath_partition_kernelINS1_37wrapped_merge_sort_block_merge_configINS0_14default_configEhN2at4cuda3cub6detail10OpaqueTypeILi8EEEEEPhjNS1_19radix_merge_compareILb1ELb0EhNS0_19identity_decomposerEEEEEvT0_T1_jPSH_T2_SH_: ; @_ZN7rocprim17ROCPRIM_304000_NS6detail45device_block_merge_mergepath_partition_kernelINS1_37wrapped_merge_sort_block_merge_configINS0_14default_configEhN2at4cuda3cub6detail10OpaqueTypeILi8EEEEEPhjNS1_19radix_merge_compareILb1ELb0EhNS0_19identity_decomposerEEEEEvT0_T1_jPSH_T2_SH_
; %bb.0:
	s_load_dwordx2 s[0:1], s[4:5], 0x8
	v_lshl_or_b32 v0, s6, 7, v0
	s_waitcnt lgkmcnt(0)
	v_cmp_gt_u32_e32 vcc, s1, v0
	s_and_saveexec_b64 s[2:3], vcc
	s_cbranch_execz .LBB2_6
; %bb.1:
	s_load_dword s1, s[4:5], 0x1c
	s_waitcnt lgkmcnt(0)
	s_lshr_b32 s2, s1, 9
	s_and_b32 s2, s2, 0x7ffffe
	s_add_i32 s3, s2, -1
	s_sub_i32 s2, 0, s2
	v_and_b32_e32 v1, s2, v0
	v_lshlrev_b32_e32 v3, 10, v1
	v_min_u32_e32 v1, s0, v3
	v_add_u32_e32 v3, s1, v3
	v_min_u32_e32 v7, s0, v3
	v_add_u32_e32 v3, s1, v7
	v_and_b32_e32 v2, s3, v0
	v_min_u32_e32 v4, s0, v3
	v_lshlrev_b32_e32 v2, 10, v2
	v_sub_u32_e32 v3, v4, v1
	v_min_u32_e32 v3, v3, v2
	v_sub_u32_e32 v5, v7, v1
	v_sub_u32_e32 v2, v4, v7
	v_sub_u32_e64 v2, v3, v2 clamp
	v_min_u32_e32 v4, v3, v5
	v_cmp_lt_u32_e32 vcc, v2, v4
	s_and_saveexec_b64 s[0:1], vcc
	s_cbranch_execz .LBB2_5
; %bb.2:
	s_load_dwordx2 s[2:3], s[4:5], 0x0
	s_waitcnt lgkmcnt(0)
	v_mov_b32_e32 v8, s3
	v_add_co_u32_e32 v5, vcc, s2, v1
	v_addc_co_u32_e32 v6, vcc, 0, v8, vcc
	v_add_co_u32_e32 v7, vcc, s2, v7
	v_addc_co_u32_e32 v8, vcc, 0, v8, vcc
	s_mov_b64 s[2:3], 0
.LBB2_3:                                ; =>This Inner Loop Header: Depth=1
	v_add_u32_e32 v9, v4, v2
	v_lshrrev_b32_e32 v13, 1, v9
	v_add_co_u32_e32 v9, vcc, v5, v13
	v_xad_u32 v11, v13, -1, v3
	v_addc_co_u32_e32 v10, vcc, 0, v6, vcc
	v_add_co_u32_e32 v11, vcc, v7, v11
	v_addc_co_u32_e32 v12, vcc, 0, v8, vcc
	global_load_ubyte v14, v[9:10], off
	global_load_ubyte v15, v[11:12], off
	v_add_u32_e32 v9, 1, v13
	s_waitcnt vmcnt(0)
	v_cmp_gt_u16_e32 vcc, v15, v14
	v_cndmask_b32_e32 v4, v4, v13, vcc
	v_cndmask_b32_e32 v2, v9, v2, vcc
	v_cmp_ge_u32_e32 vcc, v2, v4
	s_or_b64 s[2:3], vcc, s[2:3]
	s_andn2_b64 exec, exec, s[2:3]
	s_cbranch_execnz .LBB2_3
; %bb.4:
	s_or_b64 exec, exec, s[2:3]
.LBB2_5:
	s_or_b64 exec, exec, s[0:1]
	s_load_dwordx2 s[0:1], s[4:5], 0x10
	v_add_u32_e32 v2, v2, v1
	v_mov_b32_e32 v1, 0
	v_lshlrev_b64 v[0:1], 2, v[0:1]
	s_waitcnt lgkmcnt(0)
	v_mov_b32_e32 v3, s1
	v_add_co_u32_e32 v0, vcc, s0, v0
	v_addc_co_u32_e32 v1, vcc, v3, v1, vcc
	global_store_dword v[0:1], v2, off
.LBB2_6:
	s_endpgm
	.section	.rodata,"a",@progbits
	.p2align	6, 0x0
	.amdhsa_kernel _ZN7rocprim17ROCPRIM_304000_NS6detail45device_block_merge_mergepath_partition_kernelINS1_37wrapped_merge_sort_block_merge_configINS0_14default_configEhN2at4cuda3cub6detail10OpaqueTypeILi8EEEEEPhjNS1_19radix_merge_compareILb1ELb0EhNS0_19identity_decomposerEEEEEvT0_T1_jPSH_T2_SH_
		.amdhsa_group_segment_fixed_size 0
		.amdhsa_private_segment_fixed_size 0
		.amdhsa_kernarg_size 32
		.amdhsa_user_sgpr_count 6
		.amdhsa_user_sgpr_private_segment_buffer 1
		.amdhsa_user_sgpr_dispatch_ptr 0
		.amdhsa_user_sgpr_queue_ptr 0
		.amdhsa_user_sgpr_kernarg_segment_ptr 1
		.amdhsa_user_sgpr_dispatch_id 0
		.amdhsa_user_sgpr_flat_scratch_init 0
		.amdhsa_user_sgpr_private_segment_size 0
		.amdhsa_uses_dynamic_stack 0
		.amdhsa_system_sgpr_private_segment_wavefront_offset 0
		.amdhsa_system_sgpr_workgroup_id_x 1
		.amdhsa_system_sgpr_workgroup_id_y 0
		.amdhsa_system_sgpr_workgroup_id_z 0
		.amdhsa_system_sgpr_workgroup_info 0
		.amdhsa_system_vgpr_workitem_id 0
		.amdhsa_next_free_vgpr 16
		.amdhsa_next_free_sgpr 7
		.amdhsa_reserve_vcc 1
		.amdhsa_reserve_flat_scratch 0
		.amdhsa_float_round_mode_32 0
		.amdhsa_float_round_mode_16_64 0
		.amdhsa_float_denorm_mode_32 3
		.amdhsa_float_denorm_mode_16_64 3
		.amdhsa_dx10_clamp 1
		.amdhsa_ieee_mode 1
		.amdhsa_fp16_overflow 0
		.amdhsa_exception_fp_ieee_invalid_op 0
		.amdhsa_exception_fp_denorm_src 0
		.amdhsa_exception_fp_ieee_div_zero 0
		.amdhsa_exception_fp_ieee_overflow 0
		.amdhsa_exception_fp_ieee_underflow 0
		.amdhsa_exception_fp_ieee_inexact 0
		.amdhsa_exception_int_div_zero 0
	.end_amdhsa_kernel
	.section	.text._ZN7rocprim17ROCPRIM_304000_NS6detail45device_block_merge_mergepath_partition_kernelINS1_37wrapped_merge_sort_block_merge_configINS0_14default_configEhN2at4cuda3cub6detail10OpaqueTypeILi8EEEEEPhjNS1_19radix_merge_compareILb1ELb0EhNS0_19identity_decomposerEEEEEvT0_T1_jPSH_T2_SH_,"axG",@progbits,_ZN7rocprim17ROCPRIM_304000_NS6detail45device_block_merge_mergepath_partition_kernelINS1_37wrapped_merge_sort_block_merge_configINS0_14default_configEhN2at4cuda3cub6detail10OpaqueTypeILi8EEEEEPhjNS1_19radix_merge_compareILb1ELb0EhNS0_19identity_decomposerEEEEEvT0_T1_jPSH_T2_SH_,comdat
.Lfunc_end2:
	.size	_ZN7rocprim17ROCPRIM_304000_NS6detail45device_block_merge_mergepath_partition_kernelINS1_37wrapped_merge_sort_block_merge_configINS0_14default_configEhN2at4cuda3cub6detail10OpaqueTypeILi8EEEEEPhjNS1_19radix_merge_compareILb1ELb0EhNS0_19identity_decomposerEEEEEvT0_T1_jPSH_T2_SH_, .Lfunc_end2-_ZN7rocprim17ROCPRIM_304000_NS6detail45device_block_merge_mergepath_partition_kernelINS1_37wrapped_merge_sort_block_merge_configINS0_14default_configEhN2at4cuda3cub6detail10OpaqueTypeILi8EEEEEPhjNS1_19radix_merge_compareILb1ELb0EhNS0_19identity_decomposerEEEEEvT0_T1_jPSH_T2_SH_
                                        ; -- End function
	.set _ZN7rocprim17ROCPRIM_304000_NS6detail45device_block_merge_mergepath_partition_kernelINS1_37wrapped_merge_sort_block_merge_configINS0_14default_configEhN2at4cuda3cub6detail10OpaqueTypeILi8EEEEEPhjNS1_19radix_merge_compareILb1ELb0EhNS0_19identity_decomposerEEEEEvT0_T1_jPSH_T2_SH_.num_vgpr, 16
	.set _ZN7rocprim17ROCPRIM_304000_NS6detail45device_block_merge_mergepath_partition_kernelINS1_37wrapped_merge_sort_block_merge_configINS0_14default_configEhN2at4cuda3cub6detail10OpaqueTypeILi8EEEEEPhjNS1_19radix_merge_compareILb1ELb0EhNS0_19identity_decomposerEEEEEvT0_T1_jPSH_T2_SH_.num_agpr, 0
	.set _ZN7rocprim17ROCPRIM_304000_NS6detail45device_block_merge_mergepath_partition_kernelINS1_37wrapped_merge_sort_block_merge_configINS0_14default_configEhN2at4cuda3cub6detail10OpaqueTypeILi8EEEEEPhjNS1_19radix_merge_compareILb1ELb0EhNS0_19identity_decomposerEEEEEvT0_T1_jPSH_T2_SH_.numbered_sgpr, 7
	.set _ZN7rocprim17ROCPRIM_304000_NS6detail45device_block_merge_mergepath_partition_kernelINS1_37wrapped_merge_sort_block_merge_configINS0_14default_configEhN2at4cuda3cub6detail10OpaqueTypeILi8EEEEEPhjNS1_19radix_merge_compareILb1ELb0EhNS0_19identity_decomposerEEEEEvT0_T1_jPSH_T2_SH_.num_named_barrier, 0
	.set _ZN7rocprim17ROCPRIM_304000_NS6detail45device_block_merge_mergepath_partition_kernelINS1_37wrapped_merge_sort_block_merge_configINS0_14default_configEhN2at4cuda3cub6detail10OpaqueTypeILi8EEEEEPhjNS1_19radix_merge_compareILb1ELb0EhNS0_19identity_decomposerEEEEEvT0_T1_jPSH_T2_SH_.private_seg_size, 0
	.set _ZN7rocprim17ROCPRIM_304000_NS6detail45device_block_merge_mergepath_partition_kernelINS1_37wrapped_merge_sort_block_merge_configINS0_14default_configEhN2at4cuda3cub6detail10OpaqueTypeILi8EEEEEPhjNS1_19radix_merge_compareILb1ELb0EhNS0_19identity_decomposerEEEEEvT0_T1_jPSH_T2_SH_.uses_vcc, 1
	.set _ZN7rocprim17ROCPRIM_304000_NS6detail45device_block_merge_mergepath_partition_kernelINS1_37wrapped_merge_sort_block_merge_configINS0_14default_configEhN2at4cuda3cub6detail10OpaqueTypeILi8EEEEEPhjNS1_19radix_merge_compareILb1ELb0EhNS0_19identity_decomposerEEEEEvT0_T1_jPSH_T2_SH_.uses_flat_scratch, 0
	.set _ZN7rocprim17ROCPRIM_304000_NS6detail45device_block_merge_mergepath_partition_kernelINS1_37wrapped_merge_sort_block_merge_configINS0_14default_configEhN2at4cuda3cub6detail10OpaqueTypeILi8EEEEEPhjNS1_19radix_merge_compareILb1ELb0EhNS0_19identity_decomposerEEEEEvT0_T1_jPSH_T2_SH_.has_dyn_sized_stack, 0
	.set _ZN7rocprim17ROCPRIM_304000_NS6detail45device_block_merge_mergepath_partition_kernelINS1_37wrapped_merge_sort_block_merge_configINS0_14default_configEhN2at4cuda3cub6detail10OpaqueTypeILi8EEEEEPhjNS1_19radix_merge_compareILb1ELb0EhNS0_19identity_decomposerEEEEEvT0_T1_jPSH_T2_SH_.has_recursion, 0
	.set _ZN7rocprim17ROCPRIM_304000_NS6detail45device_block_merge_mergepath_partition_kernelINS1_37wrapped_merge_sort_block_merge_configINS0_14default_configEhN2at4cuda3cub6detail10OpaqueTypeILi8EEEEEPhjNS1_19radix_merge_compareILb1ELb0EhNS0_19identity_decomposerEEEEEvT0_T1_jPSH_T2_SH_.has_indirect_call, 0
	.section	.AMDGPU.csdata,"",@progbits
; Kernel info:
; codeLenInByte = 320
; TotalNumSgprs: 11
; NumVgprs: 16
; ScratchSize: 0
; MemoryBound: 0
; FloatMode: 240
; IeeeMode: 1
; LDSByteSize: 0 bytes/workgroup (compile time only)
; SGPRBlocks: 1
; VGPRBlocks: 3
; NumSGPRsForWavesPerEU: 11
; NumVGPRsForWavesPerEU: 16
; Occupancy: 10
; WaveLimiterHint : 0
; COMPUTE_PGM_RSRC2:SCRATCH_EN: 0
; COMPUTE_PGM_RSRC2:USER_SGPR: 6
; COMPUTE_PGM_RSRC2:TRAP_HANDLER: 0
; COMPUTE_PGM_RSRC2:TGID_X_EN: 1
; COMPUTE_PGM_RSRC2:TGID_Y_EN: 0
; COMPUTE_PGM_RSRC2:TGID_Z_EN: 0
; COMPUTE_PGM_RSRC2:TIDIG_COMP_CNT: 0
	.section	.text._ZN7rocprim17ROCPRIM_304000_NS6detail35device_block_merge_mergepath_kernelINS1_37wrapped_merge_sort_block_merge_configINS0_14default_configEhN2at4cuda3cub6detail10OpaqueTypeILi8EEEEEPhSC_PSA_SD_jNS1_19radix_merge_compareILb1ELb0EhNS0_19identity_decomposerEEEEEvT0_T1_T2_T3_T4_SL_jT5_PKSL_NS1_7vsmem_tE,"axG",@progbits,_ZN7rocprim17ROCPRIM_304000_NS6detail35device_block_merge_mergepath_kernelINS1_37wrapped_merge_sort_block_merge_configINS0_14default_configEhN2at4cuda3cub6detail10OpaqueTypeILi8EEEEEPhSC_PSA_SD_jNS1_19radix_merge_compareILb1ELb0EhNS0_19identity_decomposerEEEEEvT0_T1_T2_T3_T4_SL_jT5_PKSL_NS1_7vsmem_tE,comdat
	.protected	_ZN7rocprim17ROCPRIM_304000_NS6detail35device_block_merge_mergepath_kernelINS1_37wrapped_merge_sort_block_merge_configINS0_14default_configEhN2at4cuda3cub6detail10OpaqueTypeILi8EEEEEPhSC_PSA_SD_jNS1_19radix_merge_compareILb1ELb0EhNS0_19identity_decomposerEEEEEvT0_T1_T2_T3_T4_SL_jT5_PKSL_NS1_7vsmem_tE ; -- Begin function _ZN7rocprim17ROCPRIM_304000_NS6detail35device_block_merge_mergepath_kernelINS1_37wrapped_merge_sort_block_merge_configINS0_14default_configEhN2at4cuda3cub6detail10OpaqueTypeILi8EEEEEPhSC_PSA_SD_jNS1_19radix_merge_compareILb1ELb0EhNS0_19identity_decomposerEEEEEvT0_T1_T2_T3_T4_SL_jT5_PKSL_NS1_7vsmem_tE
	.globl	_ZN7rocprim17ROCPRIM_304000_NS6detail35device_block_merge_mergepath_kernelINS1_37wrapped_merge_sort_block_merge_configINS0_14default_configEhN2at4cuda3cub6detail10OpaqueTypeILi8EEEEEPhSC_PSA_SD_jNS1_19radix_merge_compareILb1ELb0EhNS0_19identity_decomposerEEEEEvT0_T1_T2_T3_T4_SL_jT5_PKSL_NS1_7vsmem_tE
	.p2align	8
	.type	_ZN7rocprim17ROCPRIM_304000_NS6detail35device_block_merge_mergepath_kernelINS1_37wrapped_merge_sort_block_merge_configINS0_14default_configEhN2at4cuda3cub6detail10OpaqueTypeILi8EEEEEPhSC_PSA_SD_jNS1_19radix_merge_compareILb1ELb0EhNS0_19identity_decomposerEEEEEvT0_T1_T2_T3_T4_SL_jT5_PKSL_NS1_7vsmem_tE,@function
_ZN7rocprim17ROCPRIM_304000_NS6detail35device_block_merge_mergepath_kernelINS1_37wrapped_merge_sort_block_merge_configINS0_14default_configEhN2at4cuda3cub6detail10OpaqueTypeILi8EEEEEPhSC_PSA_SD_jNS1_19radix_merge_compareILb1ELb0EhNS0_19identity_decomposerEEEEEvT0_T1_T2_T3_T4_SL_jT5_PKSL_NS1_7vsmem_tE: ; @_ZN7rocprim17ROCPRIM_304000_NS6detail35device_block_merge_mergepath_kernelINS1_37wrapped_merge_sort_block_merge_configINS0_14default_configEhN2at4cuda3cub6detail10OpaqueTypeILi8EEEEEPhSC_PSA_SD_jNS1_19radix_merge_compareILb1ELb0EhNS0_19identity_decomposerEEEEEvT0_T1_T2_T3_T4_SL_jT5_PKSL_NS1_7vsmem_tE
; %bb.0:
	s_load_dwordx2 s[10:11], s[4:5], 0x40
	s_load_dwordx4 s[20:23], s[4:5], 0x20
	s_add_u32 s2, s4, 64
	s_addc_u32 s3, s5, 0
	s_waitcnt lgkmcnt(0)
	s_mul_i32 s0, s11, s8
	s_add_i32 s0, s0, s7
	s_mul_i32 s0, s0, s10
	s_add_i32 s0, s0, s6
	s_cmp_ge_u32 s0, s22
	s_cbranch_scc1 .LBB3_109
; %bb.1:
	s_load_dwordx8 s[12:19], s[4:5], 0x0
	s_load_dwordx2 s[8:9], s[4:5], 0x30
	s_lshr_b32 s11, s20, 10
	s_cmp_lg_u32 s0, s11
	s_mov_b32 s1, 0
	s_cselect_b64 s[22:23], -1, 0
	s_lshl_b64 s[4:5], s[0:1], 2
	s_waitcnt lgkmcnt(0)
	s_add_u32 s4, s8, s4
	s_addc_u32 s5, s9, s5
	s_load_dwordx2 s[24:25], s[4:5], 0x0
	s_lshr_b32 s4, s21, 9
	s_and_b32 s4, s4, 0x7ffffe
	s_sub_i32 s4, 0, s4
	s_and_b32 s5, s0, s4
	s_lshl_b32 s7, s5, 10
	s_lshl_b32 s28, s0, 10
	;; [unrolled: 1-line block ×3, first 2 shown]
	s_sub_i32 s8, s28, s7
	s_add_i32 s5, s5, s21
	s_add_i32 s8, s5, s8
	s_waitcnt lgkmcnt(0)
	s_sub_i32 s9, s8, s24
	s_sub_i32 s8, s8, s25
	;; [unrolled: 1-line block ×3, first 2 shown]
	s_min_u32 s26, s20, s9
	s_addk_i32 s8, 0x400
	s_or_b32 s4, s0, s4
	s_min_u32 s7, s20, s5
	s_add_i32 s5, s5, s21
	s_cmp_eq_u32 s4, -1
	s_cselect_b32 s4, s5, s8
	s_cselect_b32 s5, s7, s25
	s_min_u32 s4, s4, s20
	s_sub_i32 s29, s5, s24
	s_sub_i32 s30, s4, s26
	s_add_u32 s5, s12, s24
	s_addc_u32 s7, s13, 0
	s_add_u32 s4, s12, s26
	v_mov_b32_e32 v1, 0
	global_load_dword v2, v1, s[2:3] offset:14
	s_addc_u32 s8, s13, 0
	s_cmp_lt_u32 s6, s10
	s_cselect_b32 s6, 12, 18
	s_add_u32 s2, s2, s6
	s_addc_u32 s3, s3, 0
	global_load_ushort v1, v1, s[2:3]
	s_mov_b32 s25, s1
	s_mov_b32 s27, s1
	s_cmp_eq_u32 s0, s11
	s_waitcnt vmcnt(1)
	v_lshrrev_b32_e32 v3, 16, v2
	v_and_b32_e32 v2, 0xffff, v2
	v_mul_lo_u32 v2, v2, v3
	s_waitcnt vmcnt(0)
	v_mul_lo_u32 v3, v2, v1
	v_add_u32_e32 v5, v3, v0
	v_add_u32_e32 v4, v5, v3
	s_cbranch_scc1 .LBB3_3
; %bb.2:
	v_mov_b32_e32 v1, s7
	v_add_co_u32_e32 v6, vcc, s5, v0
	v_addc_co_u32_e32 v1, vcc, 0, v1, vcc
	v_subrev_co_u32_e32 v2, vcc, s29, v0
	v_mov_b32_e32 v7, s8
	v_add_co_u32_e64 v8, s[0:1], s4, v2
	v_addc_co_u32_e64 v2, s[0:1], 0, v7, s[0:1]
	v_cndmask_b32_e32 v2, v2, v1, vcc
	v_cndmask_b32_e32 v1, v8, v6, vcc
	v_mov_b32_e32 v6, s7
	v_add_co_u32_e32 v8, vcc, s5, v5
	v_addc_co_u32_e32 v6, vcc, 0, v6, vcc
	v_subrev_co_u32_e32 v7, vcc, s29, v5
	v_mov_b32_e32 v9, s8
	v_add_co_u32_e64 v10, s[0:1], s4, v7
	v_addc_co_u32_e64 v7, s[0:1], 0, v9, s[0:1]
	v_cndmask_b32_e32 v7, v7, v6, vcc
	v_cndmask_b32_e32 v6, v10, v8, vcc
	;; [unrolled: 9-line block ×3, first 2 shown]
	v_add_u32_e32 v12, v4, v3
	v_mov_b32_e32 v10, s7
	v_add_co_u32_e32 v13, vcc, s5, v12
	v_addc_co_u32_e32 v10, vcc, 0, v10, vcc
	v_subrev_co_u32_e32 v11, vcc, s29, v12
	v_mov_b32_e32 v14, s8
	v_add_co_u32_e64 v15, s[0:1], s4, v11
	v_addc_co_u32_e64 v11, s[0:1], 0, v14, s[0:1]
	v_add_u32_e32 v14, v12, v3
	v_cndmask_b32_e32 v11, v11, v10, vcc
	v_cndmask_b32_e32 v10, v15, v13, vcc
	v_mov_b32_e32 v12, s7
	v_add_co_u32_e32 v15, vcc, s5, v14
	v_addc_co_u32_e32 v12, vcc, 0, v12, vcc
	v_subrev_co_u32_e32 v13, vcc, s29, v14
	v_mov_b32_e32 v16, s8
	v_add_co_u32_e64 v17, s[0:1], s4, v13
	v_addc_co_u32_e64 v13, s[0:1], 0, v16, s[0:1]
	v_add_u32_e32 v16, v14, v3
	v_cndmask_b32_e32 v13, v13, v12, vcc
	v_cndmask_b32_e32 v12, v17, v15, vcc
	;; [unrolled: 10-line block ×4, first 2 shown]
	v_mov_b32_e32 v19, s7
	v_add_co_u32_e32 v20, vcc, s5, v18
	v_addc_co_u32_e32 v19, vcc, 0, v19, vcc
	v_subrev_co_u32_e32 v18, vcc, s29, v18
	v_mov_b32_e32 v21, s8
	v_add_co_u32_e64 v18, s[0:1], s4, v18
	v_addc_co_u32_e64 v21, s[0:1], 0, v21, s[0:1]
	v_cndmask_b32_e32 v19, v21, v19, vcc
	v_cndmask_b32_e32 v18, v18, v20, vcc
	global_load_ubyte v20, v[1:2], off
	global_load_ubyte v21, v[6:7], off
	;; [unrolled: 1-line block ×8, first 2 shown]
	s_mov_b32 s0, 0xc0c0004
	s_add_i32 s21, s30, s29
	s_waitcnt vmcnt(6)
	v_perm_b32 v1, v20, v21, s0
	s_waitcnt vmcnt(4)
	v_perm_b32 v2, v22, v23, s0
	v_lshl_or_b32 v1, v2, 16, v1
	s_waitcnt vmcnt(2)
	v_perm_b32 v2, v24, v25, s0
	s_waitcnt vmcnt(0)
	v_perm_b32 v6, v26, v27, s0
	v_lshl_or_b32 v2, v6, 16, v2
	s_cbranch_execz .LBB3_4
	s_branch .LBB3_19
.LBB3_3:
                                        ; implicit-def: $vgpr1_vgpr2
                                        ; implicit-def: $sgpr21
.LBB3_4:
	s_add_i32 s21, s30, s29
	v_mov_b32_e32 v1, 0
	v_cmp_gt_u32_e32 vcc, s21, v0
	s_mov_b32 s6, 0
	v_mov_b32_e32 v2, v1
	s_and_saveexec_b64 s[2:3], vcc
	s_cbranch_execnz .LBB3_110
; %bb.5:
	s_or_b64 exec, exec, s[2:3]
	v_cmp_gt_u32_e32 vcc, s21, v5
	s_and_saveexec_b64 s[2:3], vcc
	s_cbranch_execnz .LBB3_111
.LBB3_6:
	s_or_b64 exec, exec, s[2:3]
	v_cmp_gt_u32_e32 vcc, s21, v4
	s_and_saveexec_b64 s[2:3], vcc
	s_cbranch_execz .LBB3_8
.LBB3_7:
	v_mov_b32_e32 v5, s7
	v_add_co_u32_e32 v7, vcc, s5, v4
	v_addc_co_u32_e32 v5, vcc, 0, v5, vcc
	v_subrev_co_u32_e32 v6, vcc, s29, v4
	v_mov_b32_e32 v8, s8
	v_add_co_u32_e64 v9, s[0:1], s4, v6
	v_addc_co_u32_e64 v6, s[0:1], 0, v8, s[0:1]
	v_cndmask_b32_e32 v6, v6, v5, vcc
	v_cndmask_b32_e32 v5, v9, v7, vcc
	global_load_ubyte v5, v[5:6], off
	s_mov_b32 s0, 0xc0c0304
	s_waitcnt vmcnt(0)
	v_perm_b32 v5, v5, v1, s0
	v_lshlrev_b32_e32 v5, 16, v5
	s_mov_b32 s0, 0xffff
	v_and_or_b32 v1, v1, s0, v5
.LBB3_8:
	s_or_b64 exec, exec, s[2:3]
	v_add_u32_e32 v4, v4, v3
	v_cmp_gt_u32_e32 vcc, s21, v4
	s_and_saveexec_b64 s[2:3], vcc
	s_cbranch_execz .LBB3_10
; %bb.9:
	v_mov_b32_e32 v5, s7
	v_add_co_u32_e32 v7, vcc, s5, v4
	v_addc_co_u32_e32 v5, vcc, 0, v5, vcc
	v_subrev_co_u32_e32 v6, vcc, s29, v4
	v_mov_b32_e32 v8, s8
	v_add_co_u32_e64 v9, s[0:1], s4, v6
	v_addc_co_u32_e64 v6, s[0:1], 0, v8, s[0:1]
	v_cndmask_b32_e32 v6, v6, v5, vcc
	v_cndmask_b32_e32 v5, v9, v7, vcc
	global_load_ubyte v5, v[5:6], off
	s_mov_b32 s0, 0xc0c0006
	s_waitcnt vmcnt(0)
	v_perm_b32 v5, v1, v5, s0
	v_lshlrev_b32_e32 v5, 16, v5
	s_mov_b32 s0, 0xffff
	v_and_or_b32 v1, v1, s0, v5
.LBB3_10:
	s_or_b64 exec, exec, s[2:3]
	v_add_u32_e32 v4, v4, v3
	v_cmp_gt_u32_e32 vcc, s21, v4
	s_and_saveexec_b64 s[2:3], vcc
	s_cbranch_execz .LBB3_12
; %bb.11:
	v_mov_b32_e32 v5, s7
	v_add_co_u32_e32 v7, vcc, s5, v4
	v_addc_co_u32_e32 v5, vcc, 0, v5, vcc
	v_subrev_co_u32_e32 v6, vcc, s29, v4
	v_mov_b32_e32 v8, s8
	v_add_co_u32_e64 v9, s[0:1], s4, v6
	v_addc_co_u32_e64 v6, s[0:1], 0, v8, s[0:1]
	v_cndmask_b32_e32 v6, v6, v5, vcc
	v_cndmask_b32_e32 v5, v9, v7, vcc
	global_load_ubyte v5, v[5:6], off
	s_mov_b32 s0, 0x3020104
	s_waitcnt vmcnt(0)
	v_perm_b32 v2, v5, v2, s0
.LBB3_12:
	s_or_b64 exec, exec, s[2:3]
	v_add_u32_e32 v4, v4, v3
	v_cmp_gt_u32_e32 vcc, s21, v4
	s_and_saveexec_b64 s[2:3], vcc
	s_cbranch_execz .LBB3_14
; %bb.13:
	v_mov_b32_e32 v5, s7
	v_add_co_u32_e32 v7, vcc, s5, v4
	v_addc_co_u32_e32 v5, vcc, 0, v5, vcc
	v_subrev_co_u32_e32 v6, vcc, s29, v4
	v_mov_b32_e32 v8, s8
	v_add_co_u32_e64 v9, s[0:1], s4, v6
	v_addc_co_u32_e64 v6, s[0:1], 0, v8, s[0:1]
	v_cndmask_b32_e32 v6, v6, v5, vcc
	v_cndmask_b32_e32 v5, v9, v7, vcc
	global_load_ubyte v5, v[5:6], off
	s_mov_b32 s0, 0x7060004
	s_waitcnt vmcnt(0)
	v_perm_b32 v2, v2, v5, s0
.LBB3_14:
	;; [unrolled: 20-line block ×4, first 2 shown]
	s_or_b64 exec, exec, s[2:3]
.LBB3_19:
	v_lshrrev_b32_e32 v3, 8, v1
	ds_write_b8 v0, v1
	ds_write_b8 v0, v3 offset:128
	ds_write_b8_d16_hi v0, v1 offset:256
	v_lshrrev_b32_e32 v3, 24, v1
	ds_write_b8 v0, v3 offset:384
	ds_write_b8 v0, v2 offset:512
	v_lshrrev_b32_e32 v3, 8, v2
	v_lshlrev_b32_e32 v7, 3, v0
	ds_write_b8 v0, v3 offset:640
	ds_write_b8_d16_hi v0, v2 offset:768
	v_lshrrev_b32_e32 v3, 24, v2
	v_min_u32_e32 v4, s21, v7
	ds_write_b8 v0, v3 offset:896
	v_sub_u32_e64 v3, v4, s30 clamp
	v_min_u32_e32 v5, s29, v4
	v_cmp_lt_u32_e32 vcc, v3, v5
	s_waitcnt lgkmcnt(0)
	s_barrier
	s_and_saveexec_b64 s[0:1], vcc
	s_cbranch_execz .LBB3_23
; %bb.20:
	v_add_u32_e32 v6, s29, v4
	s_mov_b64 s[2:3], 0
.LBB3_21:                               ; =>This Inner Loop Header: Depth=1
	v_add_u32_e32 v8, v5, v3
	v_lshrrev_b32_e32 v8, 1, v8
	v_xad_u32 v9, v8, -1, v6
	ds_read_u8 v10, v8
	ds_read_u8 v9, v9
	v_add_u32_e32 v11, 1, v8
	s_waitcnt lgkmcnt(0)
	v_cmp_gt_u16_e32 vcc, v9, v10
	v_cndmask_b32_e32 v5, v5, v8, vcc
	v_cndmask_b32_e32 v3, v11, v3, vcc
	v_cmp_ge_u32_e32 vcc, v3, v5
	s_or_b64 s[2:3], vcc, s[2:3]
	s_andn2_b64 exec, exec, s[2:3]
	s_cbranch_execnz .LBB3_21
; %bb.22:
	s_or_b64 exec, exec, s[2:3]
.LBB3_23:
	s_or_b64 exec, exec, s[0:1]
	v_sub_u32_e32 v4, v4, v3
	v_add_u32_e32 v4, s29, v4
	v_cmp_ge_u32_e32 vcc, s29, v3
	v_cmp_ge_u32_e64 s[0:1], s21, v4
	s_or_b64 s[0:1], vcc, s[0:1]
	v_mov_b32_e32 v8, 0
	v_mov_b32_e32 v9, 0
	;; [unrolled: 1-line block ×8, first 2 shown]
	s_and_saveexec_b64 s[12:13], s[0:1]
	s_cbranch_execz .LBB3_29
; %bb.24:
	v_cmp_gt_u32_e32 vcc, s29, v3
                                        ; implicit-def: $vgpr1
	s_and_saveexec_b64 s[0:1], vcc
; %bb.25:
	ds_read_u8 v1, v3
; %bb.26:
	s_or_b64 exec, exec, s[0:1]
	v_cmp_le_u32_e64 s[0:1], s21, v4
	v_cmp_gt_u32_e64 s[2:3], s21, v4
                                        ; implicit-def: $vgpr2
	s_and_saveexec_b64 s[4:5], s[2:3]
; %bb.27:
	ds_read_u8 v2, v4
; %bb.28:
	s_or_b64 exec, exec, s[4:5]
	s_waitcnt lgkmcnt(0)
	v_cmp_le_u16_sdwa s[2:3], v2, v1 src0_sel:BYTE_0 src1_sel:BYTE_0
	s_and_b64 s[2:3], vcc, s[2:3]
	s_or_b64 vcc, s[0:1], s[2:3]
	v_mov_b32_e32 v5, s21
	v_mov_b32_e32 v6, s29
	v_cndmask_b32_e32 v15, v4, v3, vcc
	v_cndmask_b32_e32 v8, v5, v6, vcc
	v_add_u32_e32 v9, 1, v15
	v_add_u32_e32 v8, -1, v8
	v_min_u32_e32 v8, v9, v8
	ds_read_u8 v8, v8
	v_cndmask_b32_e32 v3, v3, v9, vcc
	v_cndmask_b32_e32 v4, v9, v4, vcc
	v_cmp_gt_u32_e64 s[2:3], s29, v3
	v_cmp_le_u32_e64 s[0:1], s21, v4
	s_waitcnt lgkmcnt(0)
	v_cndmask_b32_e32 v16, v8, v2, vcc
	v_cndmask_b32_e32 v8, v1, v8, vcc
	v_cmp_le_u16_sdwa s[4:5], v16, v8 src0_sel:BYTE_0 src1_sel:BYTE_0
	s_and_b64 s[2:3], s[2:3], s[4:5]
	s_or_b64 s[0:1], s[0:1], s[2:3]
	v_cndmask_b32_e64 v14, v4, v3, s[0:1]
	v_cndmask_b32_e64 v9, v5, v6, s[0:1]
	v_add_u32_e32 v10, 1, v14
	v_add_u32_e32 v9, -1, v9
	v_min_u32_e32 v9, v10, v9
	ds_read_u8 v9, v9
	v_cndmask_b32_e64 v3, v3, v10, s[0:1]
	v_cndmask_b32_e64 v4, v10, v4, s[0:1]
	v_cmp_gt_u32_e64 s[4:5], s29, v3
	v_cmp_le_u32_e64 s[2:3], s21, v4
	s_waitcnt lgkmcnt(0)
	v_cndmask_b32_e64 v17, v9, v16, s[0:1]
	v_cndmask_b32_e64 v9, v8, v9, s[0:1]
	v_cmp_le_u16_sdwa s[6:7], v17, v9 src0_sel:BYTE_0 src1_sel:BYTE_0
	s_and_b64 s[4:5], s[4:5], s[6:7]
	s_or_b64 s[2:3], s[2:3], s[4:5]
	v_cndmask_b32_e64 v13, v4, v3, s[2:3]
	v_cndmask_b32_e64 v10, v5, v6, s[2:3]
	v_add_u32_e32 v11, 1, v13
	v_add_u32_e32 v10, -1, v10
	v_min_u32_e32 v10, v11, v10
	ds_read_u8 v10, v10
	v_cndmask_b32_e64 v3, v3, v11, s[2:3]
	v_cndmask_b32_e64 v4, v11, v4, s[2:3]
	v_cmp_gt_u32_e64 s[6:7], s29, v3
	v_cmp_le_u32_e64 s[4:5], s21, v4
	s_waitcnt lgkmcnt(0)
	v_cndmask_b32_e64 v18, v10, v17, s[2:3]
	v_cndmask_b32_e64 v19, v9, v10, s[2:3]
	;; [unrolled: 16-line block ×4, first 2 shown]
	v_cmp_le_u16_sdwa s[34:35], v23, v24 src0_sel:BYTE_0 src1_sel:BYTE_0
	s_and_b64 s[10:11], s[10:11], s[34:35]
	s_or_b64 s[8:9], s[8:9], s[10:11]
	v_cndmask_b32_e64 v10, v4, v3, s[8:9]
	v_cndmask_b32_e64 v22, v5, v6, s[8:9]
	v_add_u32_e32 v25, 1, v10
	v_add_u32_e32 v22, -1, v22
	v_min_u32_e32 v22, v25, v22
	ds_read_u8 v22, v22
	v_cndmask_b32_e32 v1, v2, v1, vcc
	v_cndmask_b32_e64 v16, v16, v8, s[0:1]
	v_cndmask_b32_e64 v3, v3, v25, s[8:9]
	;; [unrolled: 1-line block ×3, first 2 shown]
	s_waitcnt lgkmcnt(0)
	v_cndmask_b32_e64 v2, v22, v23, s[8:9]
	v_cndmask_b32_e64 v8, v24, v22, s[8:9]
	v_cndmask_b32_e64 v4, v25, v4, s[8:9]
	v_cmp_gt_u32_e64 s[0:1], s29, v3
	v_cmp_le_u16_sdwa s[2:3], v2, v8 src0_sel:BYTE_0 src1_sel:BYTE_0
	v_cmp_le_u32_e32 vcc, s21, v4
	s_and_b64 s[0:1], s[0:1], s[2:3]
	s_or_b64 vcc, vcc, s[0:1]
	v_cndmask_b32_e32 v9, v4, v3, vcc
	v_cndmask_b32_e32 v5, v5, v6, vcc
	v_add_u32_e32 v6, 1, v9
	v_add_u32_e32 v5, -1, v5
	v_min_u32_e32 v5, v6, v5
	ds_read_u8 v5, v5
	v_cndmask_b32_e64 v18, v18, v19, s[4:5]
	v_cndmask_b32_e64 v19, v20, v21, s[6:7]
	v_cndmask_b32_e32 v21, v2, v8, vcc
	v_cndmask_b32_e32 v3, v3, v6, vcc
	s_waitcnt lgkmcnt(0)
	v_cndmask_b32_e32 v2, v5, v2, vcc
	v_cndmask_b32_e32 v5, v8, v5, vcc
	;; [unrolled: 1-line block ×3, first 2 shown]
	v_cmp_gt_u32_e64 s[0:1], s29, v3
	v_cmp_le_u16_sdwa s[2:3], v2, v5 src0_sel:BYTE_0 src1_sel:BYTE_0
	v_cmp_le_u32_e32 vcc, s21, v4
	s_and_b64 s[0:1], s[0:1], s[2:3]
	s_or_b64 vcc, vcc, s[0:1]
	v_cndmask_b32_e64 v20, v23, v24, s[8:9]
	v_cndmask_b32_e32 v2, v2, v5, vcc
	v_cndmask_b32_e32 v8, v4, v3, vcc
	v_lshlrev_b16_e32 v2, 8, v2
	v_lshlrev_b16_e32 v3, 8, v20
	v_or_b32_sdwa v2, v21, v2 dst_sel:WORD_1 dst_unused:UNUSED_PAD src0_sel:BYTE_0 src1_sel:DWORD
	v_or_b32_sdwa v3, v19, v3 dst_sel:DWORD dst_unused:UNUSED_PAD src0_sel:BYTE_0 src1_sel:DWORD
	v_or_b32_sdwa v2, v3, v2 dst_sel:DWORD dst_unused:UNUSED_PAD src0_sel:WORD_0 src1_sel:DWORD
	v_lshlrev_b16_e32 v3, 8, v18
	v_lshlrev_b16_e32 v4, 8, v16
	v_or_b32_sdwa v3, v17, v3 dst_sel:WORD_1 dst_unused:UNUSED_PAD src0_sel:BYTE_0 src1_sel:DWORD
	v_or_b32_sdwa v1, v1, v4 dst_sel:DWORD dst_unused:UNUSED_PAD src0_sel:BYTE_0 src1_sel:DWORD
	v_or_b32_sdwa v1, v1, v3 dst_sel:DWORD dst_unused:UNUSED_PAD src0_sel:WORD_0 src1_sel:DWORD
.LBB3_29:
	s_or_b64 exec, exec, s[12:13]
	s_lshl_b64 s[0:1], s[24:25], 3
	s_add_u32 s8, s16, s0
	s_addc_u32 s9, s17, s1
	s_lshl_b64 s[0:1], s[26:27], 3
	s_add_u32 s6, s16, s0
	v_cndmask_b32_e64 v3, 0, 1, s[22:23]
	s_addc_u32 s7, s17, s1
	v_cmp_gt_u32_e64 s[4:5], s29, v0
	v_cmp_ne_u32_e64 s[0:1], 1, v3
	s_andn2_b64 vcc, exec, s[22:23]
	v_cmp_le_u32_e64 s[2:3], s29, v0
	s_barrier
	s_cbranch_vccnz .LBB3_31
; %bb.30:
	v_mov_b32_e32 v3, s9
	v_add_co_u32_e32 v5, vcc, s8, v7
	v_subrev_u32_e32 v4, s29, v0
	v_addc_co_u32_e32 v3, vcc, 0, v3, vcc
	v_lshlrev_b32_e32 v4, 3, v4
	v_mov_b32_e32 v6, s7
	v_add_co_u32_e32 v16, vcc, s6, v4
	v_addc_co_u32_e32 v4, vcc, 0, v6, vcc
	v_cndmask_b32_e64 v4, v4, v3, s[4:5]
	v_cndmask_b32_e64 v3, v16, v5, s[4:5]
	v_or_b32_e32 v5, 0x80, v0
	v_subrev_u32_e32 v6, s29, v5
	v_min_u32_e32 v6, v5, v6
	v_cmp_gt_u32_e32 vcc, s29, v5
	v_mov_b32_e32 v28, s6
	v_mov_b32_e32 v29, s8
	;; [unrolled: 1-line block ×4, first 2 shown]
	v_cndmask_b32_e32 v5, v28, v29, vcc
	v_lshlrev_b32_e32 v6, 3, v6
	v_cndmask_b32_e32 v16, v26, v27, vcc
	v_add_co_u32_e32 v5, vcc, v5, v6
	v_addc_co_u32_e32 v6, vcc, 0, v16, vcc
	v_or_b32_e32 v16, 0x100, v0
	v_subrev_u32_e32 v17, s29, v16
	v_min_u32_e32 v17, v16, v17
	v_cmp_gt_u32_e32 vcc, s29, v16
	v_cndmask_b32_e32 v16, v28, v29, vcc
	v_lshlrev_b32_e32 v17, 3, v17
	v_cndmask_b32_e32 v18, v26, v27, vcc
	v_add_co_u32_e32 v16, vcc, v16, v17
	v_addc_co_u32_e32 v17, vcc, 0, v18, vcc
	v_or_b32_e32 v18, 0x180, v0
	v_subrev_u32_e32 v19, s29, v18
	v_min_u32_e32 v19, v18, v19
	v_cmp_gt_u32_e32 vcc, s29, v18
	v_cndmask_b32_e32 v18, v28, v29, vcc
	v_lshlrev_b32_e32 v19, 3, v19
	v_cndmask_b32_e32 v20, v26, v27, vcc
	v_add_co_u32_e32 v18, vcc, v18, v19
	v_addc_co_u32_e32 v19, vcc, 0, v20, vcc
	v_or_b32_e32 v20, 0x200, v0
	v_subrev_u32_e32 v21, s29, v20
	v_min_u32_e32 v21, v20, v21
	v_cmp_gt_u32_e32 vcc, s29, v20
	v_cndmask_b32_e32 v20, v28, v29, vcc
	v_lshlrev_b32_e32 v21, 3, v21
	v_cndmask_b32_e32 v22, v26, v27, vcc
	v_add_co_u32_e32 v20, vcc, v20, v21
	v_addc_co_u32_e32 v21, vcc, 0, v22, vcc
	v_or_b32_e32 v22, 0x280, v0
	v_subrev_u32_e32 v23, s29, v22
	v_min_u32_e32 v23, v22, v23
	v_cmp_gt_u32_e32 vcc, s29, v22
	v_cndmask_b32_e32 v22, v28, v29, vcc
	v_lshlrev_b32_e32 v23, 3, v23
	v_cndmask_b32_e32 v24, v26, v27, vcc
	v_add_co_u32_e32 v22, vcc, v22, v23
	v_addc_co_u32_e32 v23, vcc, 0, v24, vcc
	v_or_b32_e32 v24, 0x300, v0
	v_subrev_u32_e32 v25, s29, v24
	v_min_u32_e32 v25, v24, v25
	v_cmp_gt_u32_e32 vcc, s29, v24
	global_load_dwordx2 v[3:4], v[3:4], off
	v_cndmask_b32_e32 v24, v28, v29, vcc
	global_load_dwordx2 v[5:6], v[5:6], off
	v_lshlrev_b32_e32 v25, 3, v25
	global_load_dwordx2 v[16:17], v[16:17], off
	v_cndmask_b32_e32 v30, v26, v27, vcc
	global_load_dwordx2 v[18:19], v[18:19], off
	v_add_co_u32_e32 v24, vcc, v24, v25
	global_load_dwordx2 v[20:21], v[20:21], off
	v_addc_co_u32_e32 v25, vcc, 0, v30, vcc
	global_load_dwordx2 v[22:23], v[22:23], off
	s_nop 0
	global_load_dwordx2 v[24:25], v[24:25], off
	s_mov_b64 s[4:5], -1
	s_waitcnt vmcnt(5)
	ds_write2st64_b64 v7, v[3:4], v[5:6] offset1:2
	s_waitcnt vmcnt(3)
	ds_write2st64_b64 v7, v[16:17], v[18:19] offset0:4 offset1:6
	s_waitcnt vmcnt(1)
	ds_write2st64_b64 v7, v[20:21], v[22:23] offset0:8 offset1:10
	s_waitcnt vmcnt(0)
	ds_write_b64 v7, v[24:25] offset:6144
	v_or_b32_e32 v16, 0x380, v0
	v_subrev_u32_e32 v3, s29, v16
	v_cmp_gt_u32_e32 vcc, s29, v16
	v_min_u32_e32 v5, v16, v3
	v_cndmask_b32_e32 v4, v26, v27, vcc
	v_cndmask_b32_e32 v3, v28, v29, vcc
	s_cbranch_execz .LBB3_32
	s_branch .LBB3_65
.LBB3_31:
	s_mov_b64 s[4:5], 0
                                        ; implicit-def: $vgpr16
                                        ; implicit-def: $vgpr3_vgpr4
                                        ; implicit-def: $vgpr5
.LBB3_32:
	s_and_saveexec_b64 s[4:5], s[2:3]
	s_xor_b64 s[2:3], exec, s[4:5]
	s_cbranch_execz .LBB3_36
; %bb.33:
	v_subrev_u32_e32 v3, s29, v0
	v_cmp_gt_u32_e32 vcc, s30, v3
	s_and_saveexec_b64 s[4:5], vcc
	s_cbranch_execz .LBB3_35
; %bb.34:
	v_lshlrev_b32_e32 v3, 3, v3
	global_load_dwordx2 v[3:4], v3, s[6:7]
	s_waitcnt vmcnt(0)
	ds_write_b64 v7, v[3:4]
.LBB3_35:
	s_or_b64 exec, exec, s[4:5]
.LBB3_36:
	s_or_saveexec_b64 s[2:3], s[2:3]
	v_mad_u32_u24 v5, v0, 7, v0
	s_xor_b64 exec, exec, s[2:3]
	s_cbranch_execz .LBB3_38
; %bb.37:
	global_load_dwordx2 v[3:4], v7, s[8:9]
	s_waitcnt vmcnt(0)
	ds_write_b64 v5, v[3:4]
.LBB3_38:
	s_or_b64 exec, exec, s[2:3]
	v_or_b32_e32 v6, 0x80, v0
	v_mov_b32_e32 v3, s24
	v_cmp_le_u32_e32 vcc, s29, v6
	s_mov_b64 s[2:3], -1
	v_mov_b32_e32 v4, s25
	s_and_saveexec_b64 s[4:5], vcc
; %bb.39:
	v_subrev_u32_e32 v6, s29, v6
	v_cmp_gt_u32_e32 vcc, s30, v6
	v_mov_b32_e32 v3, s26
	v_mov_b32_e32 v4, s27
	s_orn2_b64 s[2:3], vcc, exec
; %bb.40:
	s_or_b64 exec, exec, s[4:5]
	s_and_saveexec_b64 s[4:5], s[2:3]
	s_cbranch_execz .LBB3_42
; %bb.41:
	v_lshlrev_b64 v[3:4], 3, v[3:4]
	v_mov_b32_e32 v16, s17
	v_add_co_u32_e32 v3, vcc, s16, v3
	v_addc_co_u32_e32 v4, vcc, v16, v4, vcc
	v_lshlrev_b32_e32 v6, 3, v6
	v_add_co_u32_e32 v3, vcc, v3, v6
	v_addc_co_u32_e32 v4, vcc, 0, v4, vcc
	global_load_dwordx2 v[3:4], v[3:4], off
	s_waitcnt vmcnt(0)
	ds_write_b64 v5, v[3:4] offset:1024
.LBB3_42:
	s_or_b64 exec, exec, s[4:5]
	v_or_b32_e32 v6, 0x100, v0
	v_mov_b32_e32 v3, s24
	v_cmp_le_u32_e32 vcc, s29, v6
	s_mov_b64 s[2:3], -1
	v_mov_b32_e32 v4, s25
	s_and_saveexec_b64 s[4:5], vcc
; %bb.43:
	v_subrev_u32_e32 v6, s29, v6
	v_cmp_gt_u32_e32 vcc, s30, v6
	v_mov_b32_e32 v3, s26
	v_mov_b32_e32 v4, s27
	s_orn2_b64 s[2:3], vcc, exec
; %bb.44:
	s_or_b64 exec, exec, s[4:5]
	s_and_saveexec_b64 s[4:5], s[2:3]
	s_cbranch_execz .LBB3_46
; %bb.45:
	v_lshlrev_b64 v[3:4], 3, v[3:4]
	v_mov_b32_e32 v16, s17
	v_add_co_u32_e32 v3, vcc, s16, v3
	v_addc_co_u32_e32 v4, vcc, v16, v4, vcc
	v_lshlrev_b32_e32 v6, 3, v6
	v_add_co_u32_e32 v3, vcc, v3, v6
	v_addc_co_u32_e32 v4, vcc, 0, v4, vcc
	global_load_dwordx2 v[3:4], v[3:4], off
	s_waitcnt vmcnt(0)
	ds_write_b64 v5, v[3:4] offset:2048
.LBB3_46:
	;; [unrolled: 29-line block ×6, first 2 shown]
	s_or_b64 exec, exec, s[4:5]
	v_or_b32_e32 v16, 0x380, v0
	v_mov_b32_e32 v3, s8
	v_cmp_le_u32_e32 vcc, s29, v16
	s_mov_b64 s[4:5], -1
	v_mov_b32_e32 v4, s9
	v_mov_b32_e32 v5, v16
	s_and_saveexec_b64 s[2:3], vcc
; %bb.63:
	v_subrev_u32_e32 v5, s29, v16
	v_cmp_gt_u32_e32 vcc, s30, v5
	v_mov_b32_e32 v3, s6
	v_mov_b32_e32 v4, s7
	s_orn2_b64 s[4:5], vcc, exec
; %bb.64:
	s_or_b64 exec, exec, s[2:3]
.LBB3_65:
	s_and_saveexec_b64 s[2:3], s[4:5]
	s_cbranch_execz .LBB3_67
; %bb.66:
	v_mov_b32_e32 v6, 0
	v_lshlrev_b64 v[5:6], 3, v[5:6]
	v_add_co_u32_e32 v3, vcc, v3, v5
	v_addc_co_u32_e32 v4, vcc, v4, v6, vcc
	global_load_dwordx2 v[3:4], v[3:4], off
	v_lshlrev_b32_e32 v5, 3, v16
	s_waitcnt vmcnt(0)
	ds_write_b64 v5, v[3:4]
.LBB3_67:
	s_or_b64 exec, exec, s[2:3]
	s_and_b64 vcc, exec, s[0:1]
	v_add_u32_e32 v3, s28, v7
	s_waitcnt lgkmcnt(0)
	s_barrier
	s_cbranch_vccnz .LBB3_69
; %bb.68:
	v_lshlrev_b32_e32 v16, 3, v15
	v_lshlrev_b32_e32 v18, 3, v14
	;; [unrolled: 1-line block ×7, first 2 shown]
	v_mov_b32_e32 v4, 0
	ds_read_b64 v[16:17], v16
	ds_read_b64 v[18:19], v18
	;; [unrolled: 1-line block ×7, first 2 shown]
	v_lshlrev_b64 v[5:6], 3, v[3:4]
	v_mov_b32_e32 v30, s19
	v_add_co_u32_e32 v5, vcc, s18, v5
	v_addc_co_u32_e32 v6, vcc, v30, v6, vcc
	s_mov_b64 s[0:1], -1
	s_waitcnt lgkmcnt(5)
	global_store_dwordx4 v[5:6], v[16:19], off
	s_waitcnt lgkmcnt(3)
	global_store_dwordx4 v[5:6], v[20:23], off offset:16
	s_waitcnt lgkmcnt(1)
	global_store_dwordx4 v[5:6], v[24:27], off offset:32
	s_waitcnt lgkmcnt(0)
	global_store_dwordx2 v[5:6], v[28:29], off offset:48
	s_cbranch_execz .LBB3_70
	s_branch .LBB3_87
.LBB3_69:
	s_mov_b64 s[0:1], 0
.LBB3_70:
	v_cmp_gt_u32_e32 vcc, s21, v7
	s_and_saveexec_b64 s[2:3], vcc
	s_cbranch_execz .LBB3_72
; %bb.71:
	v_lshlrev_b32_e32 v6, 3, v15
	v_mov_b32_e32 v4, 0
	ds_read_b64 v[15:16], v6
	v_lshlrev_b64 v[4:5], 3, v[3:4]
	v_mov_b32_e32 v17, s19
	v_add_co_u32_e32 v4, vcc, s18, v4
	v_addc_co_u32_e32 v5, vcc, v17, v5, vcc
	s_waitcnt lgkmcnt(0)
	global_store_dwordx2 v[4:5], v[15:16], off
.LBB3_72:
	s_or_b64 exec, exec, s[2:3]
	v_or_b32_e32 v4, 1, v7
	v_cmp_gt_u32_e32 vcc, s21, v4
	s_and_saveexec_b64 s[2:3], vcc
	s_cbranch_execz .LBB3_74
; %bb.73:
	v_lshlrev_b32_e32 v6, 3, v14
	v_mov_b32_e32 v4, 0
	ds_read_b64 v[14:15], v6
	v_lshlrev_b64 v[4:5], 3, v[3:4]
	v_mov_b32_e32 v16, s19
	v_add_co_u32_e32 v4, vcc, s18, v4
	v_addc_co_u32_e32 v5, vcc, v16, v5, vcc
	s_waitcnt lgkmcnt(0)
	global_store_dwordx2 v[4:5], v[14:15], off offset:8
.LBB3_74:
	s_or_b64 exec, exec, s[2:3]
	v_or_b32_e32 v4, 2, v7
	v_cmp_gt_u32_e32 vcc, s21, v4
	s_and_saveexec_b64 s[2:3], vcc
	s_cbranch_execz .LBB3_76
; %bb.75:
	v_lshlrev_b32_e32 v6, 3, v13
	v_mov_b32_e32 v4, 0
	ds_read_b64 v[13:14], v6
	v_lshlrev_b64 v[4:5], 3, v[3:4]
	v_mov_b32_e32 v15, s19
	v_add_co_u32_e32 v4, vcc, s18, v4
	v_addc_co_u32_e32 v5, vcc, v15, v5, vcc
	s_waitcnt lgkmcnt(0)
	global_store_dwordx2 v[4:5], v[13:14], off offset:16
.LBB3_76:
	s_or_b64 exec, exec, s[2:3]
	v_or_b32_e32 v4, 3, v7
	v_cmp_gt_u32_e32 vcc, s21, v4
	s_and_saveexec_b64 s[2:3], vcc
	s_cbranch_execz .LBB3_78
; %bb.77:
	v_lshlrev_b32_e32 v6, 3, v12
	v_mov_b32_e32 v4, 0
	ds_read_b64 v[12:13], v6
	v_lshlrev_b64 v[4:5], 3, v[3:4]
	v_mov_b32_e32 v14, s19
	v_add_co_u32_e32 v4, vcc, s18, v4
	v_addc_co_u32_e32 v5, vcc, v14, v5, vcc
	s_waitcnt lgkmcnt(0)
	global_store_dwordx2 v[4:5], v[12:13], off offset:24
.LBB3_78:
	s_or_b64 exec, exec, s[2:3]
	v_or_b32_e32 v4, 4, v7
	v_cmp_gt_u32_e32 vcc, s21, v4
	s_and_saveexec_b64 s[2:3], vcc
	s_cbranch_execz .LBB3_80
; %bb.79:
	v_lshlrev_b32_e32 v6, 3, v11
	v_mov_b32_e32 v4, 0
	ds_read_b64 v[11:12], v6
	v_lshlrev_b64 v[4:5], 3, v[3:4]
	v_mov_b32_e32 v13, s19
	v_add_co_u32_e32 v4, vcc, s18, v4
	v_addc_co_u32_e32 v5, vcc, v13, v5, vcc
	s_waitcnt lgkmcnt(0)
	global_store_dwordx2 v[4:5], v[11:12], off offset:32
.LBB3_80:
	s_or_b64 exec, exec, s[2:3]
	v_or_b32_e32 v4, 5, v7
	v_cmp_gt_u32_e32 vcc, s21, v4
	s_and_saveexec_b64 s[2:3], vcc
	s_cbranch_execz .LBB3_82
; %bb.81:
	v_lshlrev_b32_e32 v6, 3, v10
	v_mov_b32_e32 v4, 0
	ds_read_b64 v[10:11], v6
	v_lshlrev_b64 v[4:5], 3, v[3:4]
	v_mov_b32_e32 v12, s19
	v_add_co_u32_e32 v4, vcc, s18, v4
	v_addc_co_u32_e32 v5, vcc, v12, v5, vcc
	s_waitcnt lgkmcnt(0)
	global_store_dwordx2 v[4:5], v[10:11], off offset:40
.LBB3_82:
	s_or_b64 exec, exec, s[2:3]
	v_or_b32_e32 v4, 6, v7
	v_cmp_gt_u32_e32 vcc, s21, v4
	s_and_saveexec_b64 s[2:3], vcc
	s_cbranch_execz .LBB3_84
; %bb.83:
	v_lshlrev_b32_e32 v6, 3, v9
	v_mov_b32_e32 v4, 0
	ds_read_b64 v[9:10], v6
	v_lshlrev_b64 v[4:5], 3, v[3:4]
	v_mov_b32_e32 v11, s19
	v_add_co_u32_e32 v4, vcc, s18, v4
	v_addc_co_u32_e32 v5, vcc, v11, v5, vcc
	s_waitcnt lgkmcnt(0)
	global_store_dwordx2 v[4:5], v[9:10], off offset:48
.LBB3_84:
	s_or_b64 exec, exec, s[2:3]
	v_or_b32_e32 v4, 7, v7
	v_cmp_gt_u32_e32 vcc, s21, v4
	s_and_saveexec_b64 s[2:3], vcc
; %bb.85:
	v_mov_b32_e32 v4, 0
	s_or_b64 s[0:1], s[0:1], exec
; %bb.86:
	s_or_b64 exec, exec, s[2:3]
.LBB3_87:
	s_and_saveexec_b64 s[2:3], s[0:1]
	s_cbranch_execz .LBB3_89
; %bb.88:
	v_lshlrev_b32_e32 v5, 3, v8
	ds_read_b64 v[5:6], v5
	v_lshlrev_b64 v[3:4], 3, v[3:4]
	v_mov_b32_e32 v8, s19
	v_add_co_u32_e32 v3, vcc, s18, v3
	v_addc_co_u32_e32 v4, vcc, v8, v4, vcc
	s_waitcnt lgkmcnt(0)
	global_store_dwordx2 v[3:4], v[5:6], off offset:56
.LBB3_89:
	s_or_b64 exec, exec, s[2:3]
	v_lshrrev_b32_e32 v3, 2, v0
	s_add_u32 s0, s14, s28
	v_and_b32_e32 v3, 28, v3
	s_addc_u32 s1, s15, 0
	v_add_u32_e32 v3, v3, v7
	s_waitcnt vmcnt(0)
	s_barrier
	s_barrier
	ds_write2_b32 v3, v1, v2 offset1:1
	v_mov_b32_e32 v2, s1
	v_add_co_u32_e32 v1, vcc, s0, v0
	v_addc_co_u32_e32 v2, vcc, 0, v2, vcc
	s_and_b64 vcc, exec, s[22:23]
	v_add_u32_e32 v4, 4, v0
	v_add_u32_e32 v5, 8, v0
	;; [unrolled: 1-line block ×7, first 2 shown]
	s_waitcnt lgkmcnt(0)
	s_cbranch_vccz .LBB3_91
; %bb.90:
	s_barrier
	ds_read_u8 v11, v0
	ds_read_u8 v12, v4 offset:128
	ds_read_u8 v13, v5 offset:256
	;; [unrolled: 1-line block ×7, first 2 shown]
	s_waitcnt lgkmcnt(7)
	global_store_byte v[1:2], v11, off
	s_waitcnt lgkmcnt(6)
	global_store_byte v[1:2], v12, off offset:128
	s_waitcnt lgkmcnt(5)
	global_store_byte v[1:2], v13, off offset:256
	;; [unrolled: 2-line block ×6, first 2 shown]
	s_mov_b64 s[0:1], -1
	s_cbranch_execz .LBB3_92
	s_branch .LBB3_107
.LBB3_91:
	s_mov_b64 s[0:1], 0
                                        ; implicit-def: $vgpr3
.LBB3_92:
	s_waitcnt vmcnt(0) lgkmcnt(0)
	s_barrier
	ds_read_u8 v13, v4 offset:128
	ds_read_u8 v12, v5 offset:256
	;; [unrolled: 1-line block ×7, first 2 shown]
	s_sub_i32 s2, s20, s28
	v_or_b32_e32 v7, 0x80, v0
	v_cmp_gt_u32_e32 vcc, s2, v0
	s_and_saveexec_b64 s[0:1], vcc
	s_cbranch_execz .LBB3_94
; %bb.93:
	ds_read_u8 v8, v0
	s_waitcnt lgkmcnt(0)
	global_store_byte v[1:2], v8, off
.LBB3_94:
	s_or_b64 exec, exec, s[0:1]
	v_or_b32_e32 v8, 0x100, v0
	v_cmp_gt_u32_e32 vcc, s2, v7
	s_and_saveexec_b64 s[0:1], vcc
	s_cbranch_execz .LBB3_96
; %bb.95:
	s_waitcnt lgkmcnt(6)
	global_store_byte v[1:2], v13, off offset:128
.LBB3_96:
	s_or_b64 exec, exec, s[0:1]
	v_or_b32_e32 v7, 0x180, v0
	v_cmp_gt_u32_e32 vcc, s2, v8
	s_and_saveexec_b64 s[0:1], vcc
	s_cbranch_execz .LBB3_98
; %bb.97:
	s_waitcnt lgkmcnt(5)
	global_store_byte v[1:2], v12, off offset:256
.LBB3_98:
	s_or_b64 exec, exec, s[0:1]
	v_or_b32_e32 v8, 0x200, v0
	v_cmp_gt_u32_e32 vcc, s2, v7
	s_and_saveexec_b64 s[0:1], vcc
	s_cbranch_execz .LBB3_100
; %bb.99:
	s_waitcnt lgkmcnt(4)
	global_store_byte v[1:2], v11, off offset:384
.LBB3_100:
	s_or_b64 exec, exec, s[0:1]
	v_or_b32_e32 v7, 0x280, v0
	v_cmp_gt_u32_e32 vcc, s2, v8
	s_and_saveexec_b64 s[0:1], vcc
	s_cbranch_execz .LBB3_102
; %bb.101:
	s_waitcnt lgkmcnt(3)
	global_store_byte v[1:2], v6, off offset:512
.LBB3_102:
	s_or_b64 exec, exec, s[0:1]
	s_waitcnt lgkmcnt(3)
	v_or_b32_e32 v6, 0x300, v0
	v_cmp_gt_u32_e32 vcc, s2, v7
	s_and_saveexec_b64 s[0:1], vcc
	s_cbranch_execz .LBB3_104
; %bb.103:
	s_waitcnt lgkmcnt(2)
	global_store_byte v[1:2], v5, off offset:640
.LBB3_104:
	s_or_b64 exec, exec, s[0:1]
	v_or_b32_e32 v0, 0x380, v0
	v_cmp_gt_u32_e32 vcc, s2, v6
	s_and_saveexec_b64 s[0:1], vcc
	s_cbranch_execz .LBB3_106
; %bb.105:
	s_waitcnt lgkmcnt(1)
	global_store_byte v[1:2], v4, off offset:768
.LBB3_106:
	s_or_b64 exec, exec, s[0:1]
	v_cmp_gt_u32_e64 s[0:1], s2, v0
.LBB3_107:
	s_and_saveexec_b64 s[2:3], s[0:1]
	s_cbranch_execz .LBB3_109
; %bb.108:
	s_waitcnt lgkmcnt(0)
	global_store_byte v[1:2], v3, off offset:896
.LBB3_109:
	s_endpgm
.LBB3_110:
	v_mov_b32_e32 v1, s7
	v_add_co_u32_e32 v6, vcc, s5, v0
	v_addc_co_u32_e32 v1, vcc, 0, v1, vcc
	v_subrev_co_u32_e32 v2, vcc, s29, v0
	v_mov_b32_e32 v7, s8
	v_add_co_u32_e64 v8, s[0:1], s4, v2
	v_addc_co_u32_e64 v2, s[0:1], 0, v7, s[0:1]
	v_cndmask_b32_e32 v2, v2, v1, vcc
	v_cndmask_b32_e32 v1, v8, v6, vcc
	global_load_ubyte v1, v[1:2], off
	v_mov_b32_e32 v2, s6
	s_waitcnt vmcnt(0)
	v_and_b32_e32 v1, 0xffff, v1
	s_or_b64 exec, exec, s[2:3]
	v_cmp_gt_u32_e32 vcc, s21, v5
	s_and_saveexec_b64 s[2:3], vcc
	s_cbranch_execz .LBB3_6
.LBB3_111:
	v_mov_b32_e32 v6, s7
	v_add_co_u32_e32 v7, vcc, s5, v5
	v_addc_co_u32_e32 v6, vcc, 0, v6, vcc
	v_subrev_co_u32_e32 v5, vcc, s29, v5
	v_mov_b32_e32 v8, s8
	v_add_co_u32_e64 v5, s[0:1], s4, v5
	v_addc_co_u32_e64 v8, s[0:1], 0, v8, s[0:1]
	v_cndmask_b32_e32 v6, v8, v6, vcc
	v_cndmask_b32_e32 v5, v5, v7, vcc
	global_load_ubyte v5, v[5:6], off
	s_mov_b32 s0, 0x7060004
	s_waitcnt vmcnt(0)
	v_perm_b32 v1, v1, v5, s0
	s_or_b64 exec, exec, s[2:3]
	v_cmp_gt_u32_e32 vcc, s21, v4
	s_and_saveexec_b64 s[2:3], vcc
	s_cbranch_execnz .LBB3_7
	s_branch .LBB3_8
	.section	.rodata,"a",@progbits
	.p2align	6, 0x0
	.amdhsa_kernel _ZN7rocprim17ROCPRIM_304000_NS6detail35device_block_merge_mergepath_kernelINS1_37wrapped_merge_sort_block_merge_configINS0_14default_configEhN2at4cuda3cub6detail10OpaqueTypeILi8EEEEEPhSC_PSA_SD_jNS1_19radix_merge_compareILb1ELb0EhNS0_19identity_decomposerEEEEEvT0_T1_T2_T3_T4_SL_jT5_PKSL_NS1_7vsmem_tE
		.amdhsa_group_segment_fixed_size 8208
		.amdhsa_private_segment_fixed_size 0
		.amdhsa_kernarg_size 320
		.amdhsa_user_sgpr_count 6
		.amdhsa_user_sgpr_private_segment_buffer 1
		.amdhsa_user_sgpr_dispatch_ptr 0
		.amdhsa_user_sgpr_queue_ptr 0
		.amdhsa_user_sgpr_kernarg_segment_ptr 1
		.amdhsa_user_sgpr_dispatch_id 0
		.amdhsa_user_sgpr_flat_scratch_init 0
		.amdhsa_user_sgpr_private_segment_size 0
		.amdhsa_uses_dynamic_stack 0
		.amdhsa_system_sgpr_private_segment_wavefront_offset 0
		.amdhsa_system_sgpr_workgroup_id_x 1
		.amdhsa_system_sgpr_workgroup_id_y 1
		.amdhsa_system_sgpr_workgroup_id_z 1
		.amdhsa_system_sgpr_workgroup_info 0
		.amdhsa_system_vgpr_workitem_id 0
		.amdhsa_next_free_vgpr 49
		.amdhsa_next_free_sgpr 98
		.amdhsa_reserve_vcc 1
		.amdhsa_reserve_flat_scratch 0
		.amdhsa_float_round_mode_32 0
		.amdhsa_float_round_mode_16_64 0
		.amdhsa_float_denorm_mode_32 3
		.amdhsa_float_denorm_mode_16_64 3
		.amdhsa_dx10_clamp 1
		.amdhsa_ieee_mode 1
		.amdhsa_fp16_overflow 0
		.amdhsa_exception_fp_ieee_invalid_op 0
		.amdhsa_exception_fp_denorm_src 0
		.amdhsa_exception_fp_ieee_div_zero 0
		.amdhsa_exception_fp_ieee_overflow 0
		.amdhsa_exception_fp_ieee_underflow 0
		.amdhsa_exception_fp_ieee_inexact 0
		.amdhsa_exception_int_div_zero 0
	.end_amdhsa_kernel
	.section	.text._ZN7rocprim17ROCPRIM_304000_NS6detail35device_block_merge_mergepath_kernelINS1_37wrapped_merge_sort_block_merge_configINS0_14default_configEhN2at4cuda3cub6detail10OpaqueTypeILi8EEEEEPhSC_PSA_SD_jNS1_19radix_merge_compareILb1ELb0EhNS0_19identity_decomposerEEEEEvT0_T1_T2_T3_T4_SL_jT5_PKSL_NS1_7vsmem_tE,"axG",@progbits,_ZN7rocprim17ROCPRIM_304000_NS6detail35device_block_merge_mergepath_kernelINS1_37wrapped_merge_sort_block_merge_configINS0_14default_configEhN2at4cuda3cub6detail10OpaqueTypeILi8EEEEEPhSC_PSA_SD_jNS1_19radix_merge_compareILb1ELb0EhNS0_19identity_decomposerEEEEEvT0_T1_T2_T3_T4_SL_jT5_PKSL_NS1_7vsmem_tE,comdat
.Lfunc_end3:
	.size	_ZN7rocprim17ROCPRIM_304000_NS6detail35device_block_merge_mergepath_kernelINS1_37wrapped_merge_sort_block_merge_configINS0_14default_configEhN2at4cuda3cub6detail10OpaqueTypeILi8EEEEEPhSC_PSA_SD_jNS1_19radix_merge_compareILb1ELb0EhNS0_19identity_decomposerEEEEEvT0_T1_T2_T3_T4_SL_jT5_PKSL_NS1_7vsmem_tE, .Lfunc_end3-_ZN7rocprim17ROCPRIM_304000_NS6detail35device_block_merge_mergepath_kernelINS1_37wrapped_merge_sort_block_merge_configINS0_14default_configEhN2at4cuda3cub6detail10OpaqueTypeILi8EEEEEPhSC_PSA_SD_jNS1_19radix_merge_compareILb1ELb0EhNS0_19identity_decomposerEEEEEvT0_T1_T2_T3_T4_SL_jT5_PKSL_NS1_7vsmem_tE
                                        ; -- End function
	.set _ZN7rocprim17ROCPRIM_304000_NS6detail35device_block_merge_mergepath_kernelINS1_37wrapped_merge_sort_block_merge_configINS0_14default_configEhN2at4cuda3cub6detail10OpaqueTypeILi8EEEEEPhSC_PSA_SD_jNS1_19radix_merge_compareILb1ELb0EhNS0_19identity_decomposerEEEEEvT0_T1_T2_T3_T4_SL_jT5_PKSL_NS1_7vsmem_tE.num_vgpr, 31
	.set _ZN7rocprim17ROCPRIM_304000_NS6detail35device_block_merge_mergepath_kernelINS1_37wrapped_merge_sort_block_merge_configINS0_14default_configEhN2at4cuda3cub6detail10OpaqueTypeILi8EEEEEPhSC_PSA_SD_jNS1_19radix_merge_compareILb1ELb0EhNS0_19identity_decomposerEEEEEvT0_T1_T2_T3_T4_SL_jT5_PKSL_NS1_7vsmem_tE.num_agpr, 0
	.set _ZN7rocprim17ROCPRIM_304000_NS6detail35device_block_merge_mergepath_kernelINS1_37wrapped_merge_sort_block_merge_configINS0_14default_configEhN2at4cuda3cub6detail10OpaqueTypeILi8EEEEEPhSC_PSA_SD_jNS1_19radix_merge_compareILb1ELb0EhNS0_19identity_decomposerEEEEEvT0_T1_T2_T3_T4_SL_jT5_PKSL_NS1_7vsmem_tE.numbered_sgpr, 36
	.set _ZN7rocprim17ROCPRIM_304000_NS6detail35device_block_merge_mergepath_kernelINS1_37wrapped_merge_sort_block_merge_configINS0_14default_configEhN2at4cuda3cub6detail10OpaqueTypeILi8EEEEEPhSC_PSA_SD_jNS1_19radix_merge_compareILb1ELb0EhNS0_19identity_decomposerEEEEEvT0_T1_T2_T3_T4_SL_jT5_PKSL_NS1_7vsmem_tE.num_named_barrier, 0
	.set _ZN7rocprim17ROCPRIM_304000_NS6detail35device_block_merge_mergepath_kernelINS1_37wrapped_merge_sort_block_merge_configINS0_14default_configEhN2at4cuda3cub6detail10OpaqueTypeILi8EEEEEPhSC_PSA_SD_jNS1_19radix_merge_compareILb1ELb0EhNS0_19identity_decomposerEEEEEvT0_T1_T2_T3_T4_SL_jT5_PKSL_NS1_7vsmem_tE.private_seg_size, 0
	.set _ZN7rocprim17ROCPRIM_304000_NS6detail35device_block_merge_mergepath_kernelINS1_37wrapped_merge_sort_block_merge_configINS0_14default_configEhN2at4cuda3cub6detail10OpaqueTypeILi8EEEEEPhSC_PSA_SD_jNS1_19radix_merge_compareILb1ELb0EhNS0_19identity_decomposerEEEEEvT0_T1_T2_T3_T4_SL_jT5_PKSL_NS1_7vsmem_tE.uses_vcc, 1
	.set _ZN7rocprim17ROCPRIM_304000_NS6detail35device_block_merge_mergepath_kernelINS1_37wrapped_merge_sort_block_merge_configINS0_14default_configEhN2at4cuda3cub6detail10OpaqueTypeILi8EEEEEPhSC_PSA_SD_jNS1_19radix_merge_compareILb1ELb0EhNS0_19identity_decomposerEEEEEvT0_T1_T2_T3_T4_SL_jT5_PKSL_NS1_7vsmem_tE.uses_flat_scratch, 0
	.set _ZN7rocprim17ROCPRIM_304000_NS6detail35device_block_merge_mergepath_kernelINS1_37wrapped_merge_sort_block_merge_configINS0_14default_configEhN2at4cuda3cub6detail10OpaqueTypeILi8EEEEEPhSC_PSA_SD_jNS1_19radix_merge_compareILb1ELb0EhNS0_19identity_decomposerEEEEEvT0_T1_T2_T3_T4_SL_jT5_PKSL_NS1_7vsmem_tE.has_dyn_sized_stack, 0
	.set _ZN7rocprim17ROCPRIM_304000_NS6detail35device_block_merge_mergepath_kernelINS1_37wrapped_merge_sort_block_merge_configINS0_14default_configEhN2at4cuda3cub6detail10OpaqueTypeILi8EEEEEPhSC_PSA_SD_jNS1_19radix_merge_compareILb1ELb0EhNS0_19identity_decomposerEEEEEvT0_T1_T2_T3_T4_SL_jT5_PKSL_NS1_7vsmem_tE.has_recursion, 0
	.set _ZN7rocprim17ROCPRIM_304000_NS6detail35device_block_merge_mergepath_kernelINS1_37wrapped_merge_sort_block_merge_configINS0_14default_configEhN2at4cuda3cub6detail10OpaqueTypeILi8EEEEEPhSC_PSA_SD_jNS1_19radix_merge_compareILb1ELb0EhNS0_19identity_decomposerEEEEEvT0_T1_T2_T3_T4_SL_jT5_PKSL_NS1_7vsmem_tE.has_indirect_call, 0
	.section	.AMDGPU.csdata,"",@progbits
; Kernel info:
; codeLenInByte = 5600
; TotalNumSgprs: 40
; NumVgprs: 31
; ScratchSize: 0
; MemoryBound: 0
; FloatMode: 240
; IeeeMode: 1
; LDSByteSize: 8208 bytes/workgroup (compile time only)
; SGPRBlocks: 12
; VGPRBlocks: 12
; NumSGPRsForWavesPerEU: 102
; NumVGPRsForWavesPerEU: 49
; Occupancy: 4
; WaveLimiterHint : 1
; COMPUTE_PGM_RSRC2:SCRATCH_EN: 0
; COMPUTE_PGM_RSRC2:USER_SGPR: 6
; COMPUTE_PGM_RSRC2:TRAP_HANDLER: 0
; COMPUTE_PGM_RSRC2:TGID_X_EN: 1
; COMPUTE_PGM_RSRC2:TGID_Y_EN: 1
; COMPUTE_PGM_RSRC2:TGID_Z_EN: 1
; COMPUTE_PGM_RSRC2:TIDIG_COMP_CNT: 0
	.section	.text._ZN7rocprim17ROCPRIM_304000_NS6detail33device_block_merge_oddeven_kernelINS1_37wrapped_merge_sort_block_merge_configINS0_14default_configEhN2at4cuda3cub6detail10OpaqueTypeILi8EEEEEPhSC_PSA_SD_jNS1_19radix_merge_compareILb1ELb0EhNS0_19identity_decomposerEEEEEvT0_T1_T2_T3_T4_SL_T5_,"axG",@progbits,_ZN7rocprim17ROCPRIM_304000_NS6detail33device_block_merge_oddeven_kernelINS1_37wrapped_merge_sort_block_merge_configINS0_14default_configEhN2at4cuda3cub6detail10OpaqueTypeILi8EEEEEPhSC_PSA_SD_jNS1_19radix_merge_compareILb1ELb0EhNS0_19identity_decomposerEEEEEvT0_T1_T2_T3_T4_SL_T5_,comdat
	.protected	_ZN7rocprim17ROCPRIM_304000_NS6detail33device_block_merge_oddeven_kernelINS1_37wrapped_merge_sort_block_merge_configINS0_14default_configEhN2at4cuda3cub6detail10OpaqueTypeILi8EEEEEPhSC_PSA_SD_jNS1_19radix_merge_compareILb1ELb0EhNS0_19identity_decomposerEEEEEvT0_T1_T2_T3_T4_SL_T5_ ; -- Begin function _ZN7rocprim17ROCPRIM_304000_NS6detail33device_block_merge_oddeven_kernelINS1_37wrapped_merge_sort_block_merge_configINS0_14default_configEhN2at4cuda3cub6detail10OpaqueTypeILi8EEEEEPhSC_PSA_SD_jNS1_19radix_merge_compareILb1ELb0EhNS0_19identity_decomposerEEEEEvT0_T1_T2_T3_T4_SL_T5_
	.globl	_ZN7rocprim17ROCPRIM_304000_NS6detail33device_block_merge_oddeven_kernelINS1_37wrapped_merge_sort_block_merge_configINS0_14default_configEhN2at4cuda3cub6detail10OpaqueTypeILi8EEEEEPhSC_PSA_SD_jNS1_19radix_merge_compareILb1ELb0EhNS0_19identity_decomposerEEEEEvT0_T1_T2_T3_T4_SL_T5_
	.p2align	8
	.type	_ZN7rocprim17ROCPRIM_304000_NS6detail33device_block_merge_oddeven_kernelINS1_37wrapped_merge_sort_block_merge_configINS0_14default_configEhN2at4cuda3cub6detail10OpaqueTypeILi8EEEEEPhSC_PSA_SD_jNS1_19radix_merge_compareILb1ELb0EhNS0_19identity_decomposerEEEEEvT0_T1_T2_T3_T4_SL_T5_,@function
_ZN7rocprim17ROCPRIM_304000_NS6detail33device_block_merge_oddeven_kernelINS1_37wrapped_merge_sort_block_merge_configINS0_14default_configEhN2at4cuda3cub6detail10OpaqueTypeILi8EEEEEPhSC_PSA_SD_jNS1_19radix_merge_compareILb1ELb0EhNS0_19identity_decomposerEEEEEvT0_T1_T2_T3_T4_SL_T5_: ; @_ZN7rocprim17ROCPRIM_304000_NS6detail33device_block_merge_oddeven_kernelINS1_37wrapped_merge_sort_block_merge_configINS0_14default_configEhN2at4cuda3cub6detail10OpaqueTypeILi8EEEEEPhSC_PSA_SD_jNS1_19radix_merge_compareILb1ELb0EhNS0_19identity_decomposerEEEEEvT0_T1_T2_T3_T4_SL_T5_
; %bb.0:
	s_load_dwordx2 s[18:19], s[4:5], 0x20
	s_waitcnt lgkmcnt(0)
	s_lshr_b32 s0, s18, 8
	s_cmp_eq_u32 s6, s0
	s_cselect_b64 s[16:17], -1, 0
	s_cmp_lg_u32 s6, s0
	s_cselect_b64 s[0:1], -1, 0
	s_lshl_b32 s20, s6, 8
	s_sub_i32 s2, s18, s20
	v_cmp_gt_u32_e64 s[2:3], s2, v0
	s_or_b64 s[0:1], s[0:1], s[2:3]
	s_and_saveexec_b64 s[8:9], s[0:1]
	s_cbranch_execz .LBB4_24
; %bb.1:
	s_load_dwordx8 s[8:15], s[4:5], 0x0
	s_mov_b32 s21, 0
	v_lshlrev_b32_e32 v3, 3, v0
	s_waitcnt lgkmcnt(0)
	s_add_u32 s0, s8, s20
	s_addc_u32 s1, s9, 0
	s_lshl_b64 s[4:5], s[20:21], 3
	s_add_u32 s4, s12, s4
	s_addc_u32 s5, s13, s5
	global_load_dwordx2 v[1:2], v3, s[4:5]
	global_load_ubyte v5, v0, s[0:1]
	s_lshr_b32 s0, s19, 8
	s_sub_i32 s1, 0, s0
	s_and_b32 s1, s6, s1
	s_and_b32 s0, s1, s0
	s_lshl_b32 s13, s1, 8
	s_sub_i32 s6, 0, s19
	s_cmp_eq_u32 s0, 0
	s_cselect_b64 s[0:1], -1, 0
	s_and_b64 s[4:5], s[0:1], exec
	s_cselect_b32 s6, s19, s6
	s_add_i32 s6, s6, s13
	s_mov_b64 s[4:5], -1
	s_cmp_gt_u32 s18, s6
	v_add_u32_e32 v3, s20, v0
	s_cbranch_scc1 .LBB4_9
; %bb.2:
	s_and_b64 vcc, exec, s[16:17]
	s_cbranch_vccz .LBB4_6
; %bb.3:
	v_cmp_gt_u32_e32 vcc, s18, v3
	s_and_saveexec_b64 s[4:5], vcc
	s_cbranch_execz .LBB4_5
; %bb.4:
	v_mov_b32_e32 v4, 0
	v_lshlrev_b64 v[6:7], 3, v[3:4]
	v_mov_b32_e32 v0, s15
	v_add_co_u32_e32 v6, vcc, s14, v6
	v_addc_co_u32_e32 v7, vcc, v0, v7, vcc
	s_waitcnt vmcnt(0)
	global_store_byte v3, v5, s[10:11]
	global_store_dwordx2 v[6:7], v[1:2], off
.LBB4_5:
	s_or_b64 exec, exec, s[4:5]
	s_mov_b64 s[4:5], 0
.LBB4_6:
	s_andn2_b64 vcc, exec, s[4:5]
	s_cbranch_vccnz .LBB4_8
; %bb.7:
	v_mov_b32_e32 v4, 0
	v_lshlrev_b64 v[6:7], 3, v[3:4]
	v_mov_b32_e32 v0, s15
	v_add_co_u32_e32 v6, vcc, s14, v6
	v_addc_co_u32_e32 v7, vcc, v0, v7, vcc
	s_waitcnt vmcnt(0)
	global_store_byte v3, v5, s[10:11]
	global_store_dwordx2 v[6:7], v[1:2], off
.LBB4_8:
	s_mov_b64 s[4:5], 0
.LBB4_9:
	s_andn2_b64 vcc, exec, s[4:5]
	s_cbranch_vccnz .LBB4_24
; %bb.10:
	s_min_u32 s7, s6, s18
	s_add_i32 s4, s7, s19
	s_min_u32 s12, s4, s18
	s_min_u32 s4, s13, s7
	s_add_i32 s13, s13, s7
	v_subrev_u32_e32 v0, s13, v3
	v_add_u32_e32 v0, s4, v0
	s_andn2_b64 vcc, exec, s[16:17]
	s_mov_b64 s[4:5], -1
	s_cbranch_vccnz .LBB4_18
; %bb.11:
	s_and_saveexec_b64 s[4:5], s[2:3]
	s_cbranch_execz .LBB4_17
; %bb.12:
	s_cmp_ge_u32 s6, s12
	v_mov_b32_e32 v3, s7
	s_cbranch_scc1 .LBB4_16
; %bb.13:
	s_mov_b64 s[2:3], 0
	v_mov_b32_e32 v4, s12
	v_mov_b32_e32 v3, s7
.LBB4_14:                               ; =>This Inner Loop Header: Depth=1
	v_add_u32_e32 v6, v3, v4
	v_lshrrev_b32_e32 v6, 1, v6
	global_load_ubyte v7, v6, s[8:9]
	v_add_u32_e32 v8, 1, v6
	s_waitcnt vmcnt(0)
	v_cmp_gt_u16_sdwa s[16:17], v7, v5 src0_sel:DWORD src1_sel:BYTE_0
	v_cndmask_b32_e64 v9, 0, 1, s[16:17]
	v_cmp_le_u16_sdwa s[16:17], v5, v7 src0_sel:BYTE_0 src1_sel:DWORD
	v_cndmask_b32_e64 v7, 0, 1, s[16:17]
	v_cndmask_b32_e64 v7, v7, v9, s[0:1]
	v_and_b32_e32 v7, 1, v7
	v_cmp_eq_u32_e32 vcc, 1, v7
	v_cndmask_b32_e32 v4, v6, v4, vcc
	v_cndmask_b32_e32 v3, v3, v8, vcc
	v_cmp_ge_u32_e32 vcc, v3, v4
	s_or_b64 s[2:3], vcc, s[2:3]
	s_andn2_b64 exec, exec, s[2:3]
	s_cbranch_execnz .LBB4_14
; %bb.15:
	s_or_b64 exec, exec, s[2:3]
.LBB4_16:
	v_add_u32_e32 v3, v3, v0
	v_mov_b32_e32 v4, 0
	s_waitcnt vmcnt(0)
	global_store_byte v3, v5, s[10:11]
	v_lshlrev_b64 v[3:4], 3, v[3:4]
	v_mov_b32_e32 v6, s15
	v_add_co_u32_e32 v3, vcc, s14, v3
	v_addc_co_u32_e32 v4, vcc, v6, v4, vcc
	global_store_dwordx2 v[3:4], v[1:2], off
.LBB4_17:
	s_or_b64 exec, exec, s[4:5]
	s_mov_b64 s[4:5], 0
.LBB4_18:
	s_andn2_b64 vcc, exec, s[4:5]
	s_cbranch_vccnz .LBB4_24
; %bb.19:
	s_cmp_ge_u32 s6, s12
	v_mov_b32_e32 v3, s7
	s_cbranch_scc1 .LBB4_23
; %bb.20:
	s_mov_b64 s[2:3], 0
	v_mov_b32_e32 v4, s12
	v_mov_b32_e32 v3, s7
.LBB4_21:                               ; =>This Inner Loop Header: Depth=1
	v_add_u32_e32 v6, v3, v4
	v_lshrrev_b32_e32 v6, 1, v6
	global_load_ubyte v7, v6, s[8:9]
	v_add_u32_e32 v8, 1, v6
	s_waitcnt vmcnt(0)
	v_cmp_gt_u16_sdwa s[4:5], v7, v5 src0_sel:DWORD src1_sel:BYTE_0
	v_cndmask_b32_e64 v9, 0, 1, s[4:5]
	v_cmp_le_u16_sdwa s[4:5], v5, v7 src0_sel:BYTE_0 src1_sel:DWORD
	v_cndmask_b32_e64 v7, 0, 1, s[4:5]
	v_cndmask_b32_e64 v7, v7, v9, s[0:1]
	v_and_b32_e32 v7, 1, v7
	v_cmp_eq_u32_e32 vcc, 1, v7
	v_cndmask_b32_e32 v4, v6, v4, vcc
	v_cndmask_b32_e32 v3, v3, v8, vcc
	v_cmp_ge_u32_e32 vcc, v3, v4
	s_or_b64 s[2:3], vcc, s[2:3]
	s_andn2_b64 exec, exec, s[2:3]
	s_cbranch_execnz .LBB4_21
; %bb.22:
	s_or_b64 exec, exec, s[2:3]
.LBB4_23:
	v_add_u32_e32 v3, v3, v0
	v_mov_b32_e32 v4, 0
	s_waitcnt vmcnt(0)
	global_store_byte v3, v5, s[10:11]
	v_lshlrev_b64 v[3:4], 3, v[3:4]
	v_mov_b32_e32 v0, s15
	v_add_co_u32_e32 v3, vcc, s14, v3
	v_addc_co_u32_e32 v4, vcc, v0, v4, vcc
	global_store_dwordx2 v[3:4], v[1:2], off
.LBB4_24:
	s_endpgm
	.section	.rodata,"a",@progbits
	.p2align	6, 0x0
	.amdhsa_kernel _ZN7rocprim17ROCPRIM_304000_NS6detail33device_block_merge_oddeven_kernelINS1_37wrapped_merge_sort_block_merge_configINS0_14default_configEhN2at4cuda3cub6detail10OpaqueTypeILi8EEEEEPhSC_PSA_SD_jNS1_19radix_merge_compareILb1ELb0EhNS0_19identity_decomposerEEEEEvT0_T1_T2_T3_T4_SL_T5_
		.amdhsa_group_segment_fixed_size 0
		.amdhsa_private_segment_fixed_size 0
		.amdhsa_kernarg_size 44
		.amdhsa_user_sgpr_count 6
		.amdhsa_user_sgpr_private_segment_buffer 1
		.amdhsa_user_sgpr_dispatch_ptr 0
		.amdhsa_user_sgpr_queue_ptr 0
		.amdhsa_user_sgpr_kernarg_segment_ptr 1
		.amdhsa_user_sgpr_dispatch_id 0
		.amdhsa_user_sgpr_flat_scratch_init 0
		.amdhsa_user_sgpr_private_segment_size 0
		.amdhsa_uses_dynamic_stack 0
		.amdhsa_system_sgpr_private_segment_wavefront_offset 0
		.amdhsa_system_sgpr_workgroup_id_x 1
		.amdhsa_system_sgpr_workgroup_id_y 0
		.amdhsa_system_sgpr_workgroup_id_z 0
		.amdhsa_system_sgpr_workgroup_info 0
		.amdhsa_system_vgpr_workitem_id 0
		.amdhsa_next_free_vgpr 10
		.amdhsa_next_free_sgpr 22
		.amdhsa_reserve_vcc 1
		.amdhsa_reserve_flat_scratch 0
		.amdhsa_float_round_mode_32 0
		.amdhsa_float_round_mode_16_64 0
		.amdhsa_float_denorm_mode_32 3
		.amdhsa_float_denorm_mode_16_64 3
		.amdhsa_dx10_clamp 1
		.amdhsa_ieee_mode 1
		.amdhsa_fp16_overflow 0
		.amdhsa_exception_fp_ieee_invalid_op 0
		.amdhsa_exception_fp_denorm_src 0
		.amdhsa_exception_fp_ieee_div_zero 0
		.amdhsa_exception_fp_ieee_overflow 0
		.amdhsa_exception_fp_ieee_underflow 0
		.amdhsa_exception_fp_ieee_inexact 0
		.amdhsa_exception_int_div_zero 0
	.end_amdhsa_kernel
	.section	.text._ZN7rocprim17ROCPRIM_304000_NS6detail33device_block_merge_oddeven_kernelINS1_37wrapped_merge_sort_block_merge_configINS0_14default_configEhN2at4cuda3cub6detail10OpaqueTypeILi8EEEEEPhSC_PSA_SD_jNS1_19radix_merge_compareILb1ELb0EhNS0_19identity_decomposerEEEEEvT0_T1_T2_T3_T4_SL_T5_,"axG",@progbits,_ZN7rocprim17ROCPRIM_304000_NS6detail33device_block_merge_oddeven_kernelINS1_37wrapped_merge_sort_block_merge_configINS0_14default_configEhN2at4cuda3cub6detail10OpaqueTypeILi8EEEEEPhSC_PSA_SD_jNS1_19radix_merge_compareILb1ELb0EhNS0_19identity_decomposerEEEEEvT0_T1_T2_T3_T4_SL_T5_,comdat
.Lfunc_end4:
	.size	_ZN7rocprim17ROCPRIM_304000_NS6detail33device_block_merge_oddeven_kernelINS1_37wrapped_merge_sort_block_merge_configINS0_14default_configEhN2at4cuda3cub6detail10OpaqueTypeILi8EEEEEPhSC_PSA_SD_jNS1_19radix_merge_compareILb1ELb0EhNS0_19identity_decomposerEEEEEvT0_T1_T2_T3_T4_SL_T5_, .Lfunc_end4-_ZN7rocprim17ROCPRIM_304000_NS6detail33device_block_merge_oddeven_kernelINS1_37wrapped_merge_sort_block_merge_configINS0_14default_configEhN2at4cuda3cub6detail10OpaqueTypeILi8EEEEEPhSC_PSA_SD_jNS1_19radix_merge_compareILb1ELb0EhNS0_19identity_decomposerEEEEEvT0_T1_T2_T3_T4_SL_T5_
                                        ; -- End function
	.set _ZN7rocprim17ROCPRIM_304000_NS6detail33device_block_merge_oddeven_kernelINS1_37wrapped_merge_sort_block_merge_configINS0_14default_configEhN2at4cuda3cub6detail10OpaqueTypeILi8EEEEEPhSC_PSA_SD_jNS1_19radix_merge_compareILb1ELb0EhNS0_19identity_decomposerEEEEEvT0_T1_T2_T3_T4_SL_T5_.num_vgpr, 10
	.set _ZN7rocprim17ROCPRIM_304000_NS6detail33device_block_merge_oddeven_kernelINS1_37wrapped_merge_sort_block_merge_configINS0_14default_configEhN2at4cuda3cub6detail10OpaqueTypeILi8EEEEEPhSC_PSA_SD_jNS1_19radix_merge_compareILb1ELb0EhNS0_19identity_decomposerEEEEEvT0_T1_T2_T3_T4_SL_T5_.num_agpr, 0
	.set _ZN7rocprim17ROCPRIM_304000_NS6detail33device_block_merge_oddeven_kernelINS1_37wrapped_merge_sort_block_merge_configINS0_14default_configEhN2at4cuda3cub6detail10OpaqueTypeILi8EEEEEPhSC_PSA_SD_jNS1_19radix_merge_compareILb1ELb0EhNS0_19identity_decomposerEEEEEvT0_T1_T2_T3_T4_SL_T5_.numbered_sgpr, 22
	.set _ZN7rocprim17ROCPRIM_304000_NS6detail33device_block_merge_oddeven_kernelINS1_37wrapped_merge_sort_block_merge_configINS0_14default_configEhN2at4cuda3cub6detail10OpaqueTypeILi8EEEEEPhSC_PSA_SD_jNS1_19radix_merge_compareILb1ELb0EhNS0_19identity_decomposerEEEEEvT0_T1_T2_T3_T4_SL_T5_.num_named_barrier, 0
	.set _ZN7rocprim17ROCPRIM_304000_NS6detail33device_block_merge_oddeven_kernelINS1_37wrapped_merge_sort_block_merge_configINS0_14default_configEhN2at4cuda3cub6detail10OpaqueTypeILi8EEEEEPhSC_PSA_SD_jNS1_19radix_merge_compareILb1ELb0EhNS0_19identity_decomposerEEEEEvT0_T1_T2_T3_T4_SL_T5_.private_seg_size, 0
	.set _ZN7rocprim17ROCPRIM_304000_NS6detail33device_block_merge_oddeven_kernelINS1_37wrapped_merge_sort_block_merge_configINS0_14default_configEhN2at4cuda3cub6detail10OpaqueTypeILi8EEEEEPhSC_PSA_SD_jNS1_19radix_merge_compareILb1ELb0EhNS0_19identity_decomposerEEEEEvT0_T1_T2_T3_T4_SL_T5_.uses_vcc, 1
	.set _ZN7rocprim17ROCPRIM_304000_NS6detail33device_block_merge_oddeven_kernelINS1_37wrapped_merge_sort_block_merge_configINS0_14default_configEhN2at4cuda3cub6detail10OpaqueTypeILi8EEEEEPhSC_PSA_SD_jNS1_19radix_merge_compareILb1ELb0EhNS0_19identity_decomposerEEEEEvT0_T1_T2_T3_T4_SL_T5_.uses_flat_scratch, 0
	.set _ZN7rocprim17ROCPRIM_304000_NS6detail33device_block_merge_oddeven_kernelINS1_37wrapped_merge_sort_block_merge_configINS0_14default_configEhN2at4cuda3cub6detail10OpaqueTypeILi8EEEEEPhSC_PSA_SD_jNS1_19radix_merge_compareILb1ELb0EhNS0_19identity_decomposerEEEEEvT0_T1_T2_T3_T4_SL_T5_.has_dyn_sized_stack, 0
	.set _ZN7rocprim17ROCPRIM_304000_NS6detail33device_block_merge_oddeven_kernelINS1_37wrapped_merge_sort_block_merge_configINS0_14default_configEhN2at4cuda3cub6detail10OpaqueTypeILi8EEEEEPhSC_PSA_SD_jNS1_19radix_merge_compareILb1ELb0EhNS0_19identity_decomposerEEEEEvT0_T1_T2_T3_T4_SL_T5_.has_recursion, 0
	.set _ZN7rocprim17ROCPRIM_304000_NS6detail33device_block_merge_oddeven_kernelINS1_37wrapped_merge_sort_block_merge_configINS0_14default_configEhN2at4cuda3cub6detail10OpaqueTypeILi8EEEEEPhSC_PSA_SD_jNS1_19radix_merge_compareILb1ELb0EhNS0_19identity_decomposerEEEEEvT0_T1_T2_T3_T4_SL_T5_.has_indirect_call, 0
	.section	.AMDGPU.csdata,"",@progbits
; Kernel info:
; codeLenInByte = 724
; TotalNumSgprs: 26
; NumVgprs: 10
; ScratchSize: 0
; MemoryBound: 0
; FloatMode: 240
; IeeeMode: 1
; LDSByteSize: 0 bytes/workgroup (compile time only)
; SGPRBlocks: 3
; VGPRBlocks: 2
; NumSGPRsForWavesPerEU: 26
; NumVGPRsForWavesPerEU: 10
; Occupancy: 10
; WaveLimiterHint : 0
; COMPUTE_PGM_RSRC2:SCRATCH_EN: 0
; COMPUTE_PGM_RSRC2:USER_SGPR: 6
; COMPUTE_PGM_RSRC2:TRAP_HANDLER: 0
; COMPUTE_PGM_RSRC2:TGID_X_EN: 1
; COMPUTE_PGM_RSRC2:TGID_Y_EN: 0
; COMPUTE_PGM_RSRC2:TGID_Z_EN: 0
; COMPUTE_PGM_RSRC2:TIDIG_COMP_CNT: 0
	.section	.text._ZN7rocprim17ROCPRIM_304000_NS6detail16transform_kernelINS1_24wrapped_transform_configINS0_14default_configEhEEhPhS6_NS0_8identityIhEEEEvT1_mT2_T3_,"axG",@progbits,_ZN7rocprim17ROCPRIM_304000_NS6detail16transform_kernelINS1_24wrapped_transform_configINS0_14default_configEhEEhPhS6_NS0_8identityIhEEEEvT1_mT2_T3_,comdat
	.protected	_ZN7rocprim17ROCPRIM_304000_NS6detail16transform_kernelINS1_24wrapped_transform_configINS0_14default_configEhEEhPhS6_NS0_8identityIhEEEEvT1_mT2_T3_ ; -- Begin function _ZN7rocprim17ROCPRIM_304000_NS6detail16transform_kernelINS1_24wrapped_transform_configINS0_14default_configEhEEhPhS6_NS0_8identityIhEEEEvT1_mT2_T3_
	.globl	_ZN7rocprim17ROCPRIM_304000_NS6detail16transform_kernelINS1_24wrapped_transform_configINS0_14default_configEhEEhPhS6_NS0_8identityIhEEEEvT1_mT2_T3_
	.p2align	8
	.type	_ZN7rocprim17ROCPRIM_304000_NS6detail16transform_kernelINS1_24wrapped_transform_configINS0_14default_configEhEEhPhS6_NS0_8identityIhEEEEvT1_mT2_T3_,@function
_ZN7rocprim17ROCPRIM_304000_NS6detail16transform_kernelINS1_24wrapped_transform_configINS0_14default_configEhEEhPhS6_NS0_8identityIhEEEEvT1_mT2_T3_: ; @_ZN7rocprim17ROCPRIM_304000_NS6detail16transform_kernelINS1_24wrapped_transform_configINS0_14default_configEhEEhPhS6_NS0_8identityIhEEEEvT1_mT2_T3_
; %bb.0:
	s_load_dword s7, s[4:5], 0x20
	s_load_dwordx4 s[0:3], s[4:5], 0x0
	s_load_dwordx2 s[34:35], s[4:5], 0x10
	s_lshl_b32 s33, s6, 10
	s_waitcnt lgkmcnt(0)
	s_add_i32 s7, s7, -1
	s_add_u32 s0, s0, s33
	s_addc_u32 s1, s1, 0
	v_mov_b32_e32 v2, s1
	v_add_co_u32_e32 v1, vcc, s0, v0
	s_cmp_lg_u32 s6, s7
	v_addc_co_u32_e32 v2, vcc, 0, v2, vcc
	s_cbranch_scc0 .LBB5_2
; %bb.1:
	global_load_ubyte v6, v[1:2], off
	global_load_ubyte v7, v[1:2], off offset:64
	global_load_ubyte v8, v[1:2], off offset:128
	;; [unrolled: 1-line block ×15, first 2 shown]
	s_add_u32 s3, s34, s33
	s_addc_u32 s4, s35, 0
	v_mov_b32_e32 v5, s4
	v_add_co_u32_e32 v4, vcc, s3, v0
	v_addc_co_u32_e32 v5, vcc, 0, v5, vcc
	s_mov_b64 s[36:37], -1
	s_waitcnt vmcnt(15)
	global_store_byte v[4:5], v6, off
	s_waitcnt vmcnt(15)
	global_store_byte v[4:5], v7, off offset:64
	s_waitcnt vmcnt(15)
	global_store_byte v[4:5], v8, off offset:128
	;; [unrolled: 2-line block ×14, first 2 shown]
	s_cbranch_execz .LBB5_3
	s_branch .LBB5_66
.LBB5_2:
	s_mov_b64 s[36:37], 0
                                        ; implicit-def: $vgpr3
.LBB5_3:
	s_sub_i32 s30, s2, s33
	v_cmp_gt_u32_e32 vcc, s30, v0
	v_mov_b32_e32 v20, 0
	v_mov_b32_e32 v21, 0
	;; [unrolled: 1-line block ×15, first 2 shown]
	s_and_saveexec_b64 s[0:1], vcc
	s_cbranch_execz .LBB5_5
; %bb.4:
	global_load_ubyte v21, v[1:2], off
	v_mov_b32_e32 v22, 0
	v_mov_b32_e32 v16, 0
	v_mov_b32_e32 v17, 0
	v_mov_b32_e32 v18, 0
	v_mov_b32_e32 v19, 0
	v_mov_b32_e32 v12, 0
	v_mov_b32_e32 v13, 0
	v_mov_b32_e32 v14, 0
	v_mov_b32_e32 v15, 0
	v_mov_b32_e32 v8, 0
	v_mov_b32_e32 v9, 0
	v_mov_b32_e32 v10, 0
	v_mov_b32_e32 v11, 0
.LBB5_5:
	s_or_b64 exec, exec, s[0:1]
	s_waitcnt vmcnt(15)
	v_or_b32_e32 v3, 64, v0
	v_cmp_gt_u32_e64 s[0:1], s30, v3
	v_mov_b32_e32 v23, v20
	s_and_saveexec_b64 s[2:3], s[0:1]
	s_cbranch_execz .LBB5_7
; %bb.6:
	global_load_ubyte v23, v[1:2], off offset:64
.LBB5_7:
	s_or_b64 exec, exec, s[2:3]
	v_or_b32_e32 v3, 0x80, v0
	v_cmp_gt_u32_e64 s[2:3], s30, v3
	s_and_saveexec_b64 s[4:5], s[2:3]
	s_cbranch_execz .LBB5_9
; %bb.8:
	global_load_ubyte v20, v[1:2], off offset:128
.LBB5_9:
	s_or_b64 exec, exec, s[4:5]
	v_or_b32_e32 v3, 0xc0, v0
	v_cmp_gt_u32_e64 s[4:5], s30, v3
	;; [unrolled: 8-line block ×14, first 2 shown]
	s_and_saveexec_b64 s[30:31], s[28:29]
	s_cbranch_execz .LBB5_35
; %bb.34:
	global_load_ubyte v11, v[1:2], off offset:960
.LBB5_35:
	s_or_b64 exec, exec, s[30:31]
	s_mov_b32 s30, 0xffff
	s_waitcnt vmcnt(0)
	v_and_b32_sdwa v1, s30, v21 dst_sel:DWORD dst_unused:UNUSED_PAD src0_sel:DWORD src1_sel:BYTE_0
	s_add_u32 s30, s34, s33
	s_addc_u32 s31, s35, 0
	v_cndmask_b32_e32 v5, 0, v1, vcc
	v_mov_b32_e32 v2, s31
	v_add_co_u32_e64 v1, s[30:31], s30, v0
	v_mov_b32_e32 v6, 0
	v_addc_co_u32_e64 v2, s[30:31], 0, v2, s[30:31]
	s_and_saveexec_b64 s[30:31], vcc
	s_cbranch_execz .LBB5_37
; %bb.36:
	global_store_byte v[1:2], v5, off
.LBB5_37:
	s_or_b64 exec, exec, s[30:31]
	s_mov_b32 s30, 0xc0c0004
	v_perm_b32 v3, v21, v23, s30
	v_perm_b32 v4, v20, v22, s30
	v_lshl_or_b32 v24, v4, 16, v3
	v_cndmask_b32_e64 v3, v5, v24, s[0:1]
	s_and_saveexec_b64 s[30:31], s[0:1]
	s_cbranch_execz .LBB5_39
; %bb.38:
	v_lshrrev_b32_e32 v4, 8, v3
	global_store_byte v[1:2], v4, off offset:64
.LBB5_39:
	s_or_b64 exec, exec, s[30:31]
	v_and_b32_e32 v4, 0xffffff00, v3
	v_or_b32_e32 v26, v5, v4
	v_mov_b32_e32 v4, 8
	s_mov_b64 vcc, s[2:3]
	v_lshrrev_b32_sdwa v25, v4, v3 dst_sel:BYTE_1 dst_unused:UNUSED_PAD src0_sel:DWORD src1_sel:DWORD
	v_lshrrev_b64 v[3:4], 24, 0
	v_lshrrev_b64 v[6:7], 24, v[5:6]
	v_cndmask_b32_sdwa v4, v26, v24, vcc dst_sel:DWORD dst_unused:UNUSED_PAD src0_sel:WORD_0 src1_sel:DWORD
	s_and_saveexec_b64 s[0:1], s[2:3]
	s_cbranch_execz .LBB5_41
; %bb.40:
	global_store_byte_d16_hi v[1:2], v4, off offset:128
.LBB5_41:
	s_or_b64 exec, exec, s[0:1]
	s_mov_b32 s0, 0xc0c0006
	v_or_b32_e32 v5, v5, v25
	v_perm_b32 v4, v4, v6, s0
	v_and_b32_e32 v5, 0xffff, v5
	s_mov_b32 s0, 0xc0c0004
	v_lshl_or_b32 v4, v4, 16, v5
	v_perm_b32 v5, v21, v23, s0
	v_perm_b32 v6, v20, v22, s0
	v_lshl_or_b32 v5, v6, 16, v5
	v_cndmask_b32_e64 v5, v4, v5, s[4:5]
	v_perm_b32 v4, v16, v17, s0
	v_perm_b32 v6, v18, v19, s0
	v_lshl_or_b32 v4, v6, 16, v4
	s_and_saveexec_b64 s[0:1], s[4:5]
	s_cbranch_execz .LBB5_43
; %bb.42:
	v_lshrrev_b32_e32 v5, 24, v5
	global_store_byte v[1:2], v5, off offset:192
.LBB5_43:
	s_or_b64 exec, exec, s[0:1]
	v_cndmask_b32_e64 v4, 0, v4, s[6:7]
	s_and_saveexec_b64 s[0:1], s[6:7]
	s_cbranch_execz .LBB5_45
; %bb.44:
	global_store_byte v[1:2], v4, off offset:256
.LBB5_45:
	s_or_b64 exec, exec, s[0:1]
	s_mov_b32 s0, 0xc0c0004
	v_perm_b32 v5, v16, v17, s0
	v_perm_b32 v7, v18, v19, s0
	v_and_b32_e32 v6, 0xff, v4
	v_lshl_or_b32 v7, v7, 16, v5
	v_cndmask_b32_e64 v20, v6, v7, s[8:9]
	v_lshrrev_b32_e32 v5, 8, v20
	s_and_saveexec_b64 s[0:1], s[8:9]
	s_cbranch_execz .LBB5_47
; %bb.46:
	global_store_byte v[1:2], v5, off offset:320
.LBB5_47:
	s_or_b64 exec, exec, s[0:1]
	v_and_b32_e32 v20, 0xffffff00, v20
	v_or_b32_e32 v6, v6, v20
	s_mov_b64 vcc, s[10:11]
	v_cndmask_b32_sdwa v6, v6, v7, vcc dst_sel:DWORD dst_unused:UNUSED_PAD src0_sel:WORD_0 src1_sel:DWORD
	s_and_saveexec_b64 s[0:1], s[10:11]
	s_cbranch_execz .LBB5_49
; %bb.48:
	global_store_byte_d16_hi v[1:2], v6, off offset:384
.LBB5_49:
	s_or_b64 exec, exec, s[0:1]
	s_mov_b32 s0, 0xc0c0004
	v_perm_b32 v4, v4, v5, s0
	s_mov_b32 s1, 0xff0000
	v_and_or_b32 v4, v6, s1, v4
	v_perm_b32 v5, v16, v17, s0
	v_perm_b32 v6, v18, v19, s0
	v_lshl_or_b32 v5, v6, 16, v5
	v_cndmask_b32_e64 v5, v4, v5, s[12:13]
	v_perm_b32 v4, v12, v13, s0
	v_perm_b32 v6, v14, v15, s0
	v_lshl_or_b32 v4, v6, 16, v4
	s_and_saveexec_b64 s[0:1], s[12:13]
	s_cbranch_execz .LBB5_51
; %bb.50:
	v_lshrrev_b32_e32 v5, 24, v5
	global_store_byte v[1:2], v5, off offset:448
.LBB5_51:
	s_or_b64 exec, exec, s[0:1]
	v_lshl_or_b32 v5, v3, 24, 0
	v_cndmask_b32_e64 v4, v5, v4, s[14:15]
	s_and_saveexec_b64 s[0:1], s[14:15]
	s_cbranch_execz .LBB5_53
; %bb.52:
	global_store_byte v[1:2], v4, off offset:512
.LBB5_53:
	s_or_b64 exec, exec, s[0:1]
	s_mov_b32 s0, 0xc0c0004
	s_mov_b32 s1, 0x40c0c00
	v_perm_b32 v6, v12, v13, s0
	v_perm_b32 v7, v14, v15, s0
	;; [unrolled: 1-line block ×3, first 2 shown]
	v_lshl_or_b32 v6, v7, 16, v6
	v_cndmask_b32_e64 v7, v5, v6, s[16:17]
	v_lshrrev_b32_e32 v5, 8, v7
	s_and_saveexec_b64 s[0:1], s[16:17]
	s_cbranch_execz .LBB5_55
; %bb.54:
	global_store_byte v[1:2], v5, off offset:576
.LBB5_55:
	s_or_b64 exec, exec, s[0:1]
	s_mov_b32 s0, 0xc0c0104
	v_perm_b32 v7, v4, v7, s0
	v_lshl_or_b32 v7, v3, 24, v7
	v_cndmask_b32_e64 v6, v7, v6, s[18:19]
	s_and_saveexec_b64 s[0:1], s[18:19]
	s_cbranch_execz .LBB5_57
; %bb.56:
	global_store_byte_d16_hi v[1:2], v6, off offset:640
.LBB5_57:
	s_or_b64 exec, exec, s[0:1]
	s_mov_b32 s0, 0xc0c0004
	s_mov_b32 s1, 0xc0c0006
	v_perm_b32 v4, v4, v5, s0
	v_perm_b32 v3, v6, v3, s1
	v_lshl_or_b32 v3, v3, 16, v4
	v_perm_b32 v4, v12, v13, s0
	v_perm_b32 v5, v14, v15, s0
	v_lshl_or_b32 v4, v5, 16, v4
	v_cndmask_b32_e64 v4, v3, v4, s[20:21]
	v_perm_b32 v3, v8, v9, s0
	v_perm_b32 v5, v10, v11, s0
	v_lshl_or_b32 v3, v5, 16, v3
	s_and_saveexec_b64 s[0:1], s[20:21]
	s_cbranch_execz .LBB5_59
; %bb.58:
	v_lshrrev_b32_e32 v4, 24, v4
	global_store_byte v[1:2], v4, off offset:704
.LBB5_59:
	s_or_b64 exec, exec, s[0:1]
	v_cndmask_b32_e64 v4, 0, v3, s[22:23]
	s_and_saveexec_b64 s[0:1], s[22:23]
	s_cbranch_execz .LBB5_61
; %bb.60:
	global_store_byte v[1:2], v4, off offset:768
.LBB5_61:
	s_or_b64 exec, exec, s[0:1]
	s_mov_b32 s0, 0xc0c0004
	v_perm_b32 v3, v8, v9, s0
	v_perm_b32 v5, v10, v11, s0
	v_lshl_or_b32 v3, v5, 16, v3
	s_mov_b64 vcc, s[24:25]
	v_cndmask_b32_sdwa v3, v4, v3, vcc dst_sel:DWORD dst_unused:UNUSED_PAD src0_sel:BYTE_0 src1_sel:DWORD
	v_lshrrev_b32_e32 v5, 8, v3
	s_and_saveexec_b64 s[0:1], s[24:25]
	s_cbranch_execnz .LBB5_69
; %bb.62:
	s_or_b64 exec, exec, s[0:1]
	s_and_saveexec_b64 s[0:1], s[26:27]
	s_cbranch_execnz .LBB5_70
.LBB5_63:
	s_or_b64 exec, exec, s[0:1]
                                        ; implicit-def: $vgpr3
	s_and_saveexec_b64 s[0:1], s[28:29]
.LBB5_64:
	s_mov_b32 s2, 0xc0c0004
	v_perm_b32 v1, v8, v9, s2
	v_perm_b32 v2, v10, v11, s2
	v_lshl_or_b32 v1, v2, 16, v1
	v_perm_b32 v2, v4, v5, s2
	v_cndmask_b32_e64 v1, v2, v1, s[28:29]
	v_lshrrev_b32_e32 v3, 24, v1
	s_or_b64 s[36:37], s[36:37], exec
.LBB5_65:
	s_or_b64 exec, exec, s[0:1]
.LBB5_66:
	s_and_saveexec_b64 s[0:1], s[36:37]
	s_cbranch_execnz .LBB5_68
; %bb.67:
	s_endpgm
.LBB5_68:
	s_add_u32 s0, s34, s33
	s_addc_u32 s1, s35, 0
	v_mov_b32_e32 v1, s1
	v_add_co_u32_e32 v0, vcc, s0, v0
	v_addc_co_u32_e32 v1, vcc, 0, v1, vcc
	s_waitcnt vmcnt(15)
	global_store_byte v[0:1], v3, off offset:960
	s_endpgm
.LBB5_69:
	global_store_byte v[1:2], v5, off offset:832
	s_or_b64 exec, exec, s[0:1]
	s_and_saveexec_b64 s[0:1], s[26:27]
	s_cbranch_execz .LBB5_63
.LBB5_70:
	s_mov_b32 s2, 0xc0c0004
	v_perm_b32 v3, v8, v9, s2
	v_perm_b32 v6, v10, v11, s2
	v_lshl_or_b32 v3, v6, 16, v3
	v_perm_b32 v6, v4, v5, s2
	v_cndmask_b32_e64 v3, v6, v3, s[26:27]
	global_store_byte_d16_hi v[1:2], v3, off offset:896
	s_or_b64 exec, exec, s[0:1]
                                        ; implicit-def: $vgpr3
	s_and_saveexec_b64 s[0:1], s[28:29]
	s_cbranch_execnz .LBB5_64
	s_branch .LBB5_65
	.section	.rodata,"a",@progbits
	.p2align	6, 0x0
	.amdhsa_kernel _ZN7rocprim17ROCPRIM_304000_NS6detail16transform_kernelINS1_24wrapped_transform_configINS0_14default_configEhEEhPhS6_NS0_8identityIhEEEEvT1_mT2_T3_
		.amdhsa_group_segment_fixed_size 0
		.amdhsa_private_segment_fixed_size 0
		.amdhsa_kernarg_size 288
		.amdhsa_user_sgpr_count 6
		.amdhsa_user_sgpr_private_segment_buffer 1
		.amdhsa_user_sgpr_dispatch_ptr 0
		.amdhsa_user_sgpr_queue_ptr 0
		.amdhsa_user_sgpr_kernarg_segment_ptr 1
		.amdhsa_user_sgpr_dispatch_id 0
		.amdhsa_user_sgpr_flat_scratch_init 0
		.amdhsa_user_sgpr_private_segment_size 0
		.amdhsa_uses_dynamic_stack 0
		.amdhsa_system_sgpr_private_segment_wavefront_offset 0
		.amdhsa_system_sgpr_workgroup_id_x 1
		.amdhsa_system_sgpr_workgroup_id_y 0
		.amdhsa_system_sgpr_workgroup_id_z 0
		.amdhsa_system_sgpr_workgroup_info 0
		.amdhsa_system_vgpr_workitem_id 0
		.amdhsa_next_free_vgpr 27
		.amdhsa_next_free_sgpr 38
		.amdhsa_reserve_vcc 1
		.amdhsa_reserve_flat_scratch 0
		.amdhsa_float_round_mode_32 0
		.amdhsa_float_round_mode_16_64 0
		.amdhsa_float_denorm_mode_32 3
		.amdhsa_float_denorm_mode_16_64 3
		.amdhsa_dx10_clamp 1
		.amdhsa_ieee_mode 1
		.amdhsa_fp16_overflow 0
		.amdhsa_exception_fp_ieee_invalid_op 0
		.amdhsa_exception_fp_denorm_src 0
		.amdhsa_exception_fp_ieee_div_zero 0
		.amdhsa_exception_fp_ieee_overflow 0
		.amdhsa_exception_fp_ieee_underflow 0
		.amdhsa_exception_fp_ieee_inexact 0
		.amdhsa_exception_int_div_zero 0
	.end_amdhsa_kernel
	.section	.text._ZN7rocprim17ROCPRIM_304000_NS6detail16transform_kernelINS1_24wrapped_transform_configINS0_14default_configEhEEhPhS6_NS0_8identityIhEEEEvT1_mT2_T3_,"axG",@progbits,_ZN7rocprim17ROCPRIM_304000_NS6detail16transform_kernelINS1_24wrapped_transform_configINS0_14default_configEhEEhPhS6_NS0_8identityIhEEEEvT1_mT2_T3_,comdat
.Lfunc_end5:
	.size	_ZN7rocprim17ROCPRIM_304000_NS6detail16transform_kernelINS1_24wrapped_transform_configINS0_14default_configEhEEhPhS6_NS0_8identityIhEEEEvT1_mT2_T3_, .Lfunc_end5-_ZN7rocprim17ROCPRIM_304000_NS6detail16transform_kernelINS1_24wrapped_transform_configINS0_14default_configEhEEhPhS6_NS0_8identityIhEEEEvT1_mT2_T3_
                                        ; -- End function
	.set _ZN7rocprim17ROCPRIM_304000_NS6detail16transform_kernelINS1_24wrapped_transform_configINS0_14default_configEhEEhPhS6_NS0_8identityIhEEEEvT1_mT2_T3_.num_vgpr, 27
	.set _ZN7rocprim17ROCPRIM_304000_NS6detail16transform_kernelINS1_24wrapped_transform_configINS0_14default_configEhEEhPhS6_NS0_8identityIhEEEEvT1_mT2_T3_.num_agpr, 0
	.set _ZN7rocprim17ROCPRIM_304000_NS6detail16transform_kernelINS1_24wrapped_transform_configINS0_14default_configEhEEhPhS6_NS0_8identityIhEEEEvT1_mT2_T3_.numbered_sgpr, 38
	.set _ZN7rocprim17ROCPRIM_304000_NS6detail16transform_kernelINS1_24wrapped_transform_configINS0_14default_configEhEEhPhS6_NS0_8identityIhEEEEvT1_mT2_T3_.num_named_barrier, 0
	.set _ZN7rocprim17ROCPRIM_304000_NS6detail16transform_kernelINS1_24wrapped_transform_configINS0_14default_configEhEEhPhS6_NS0_8identityIhEEEEvT1_mT2_T3_.private_seg_size, 0
	.set _ZN7rocprim17ROCPRIM_304000_NS6detail16transform_kernelINS1_24wrapped_transform_configINS0_14default_configEhEEhPhS6_NS0_8identityIhEEEEvT1_mT2_T3_.uses_vcc, 1
	.set _ZN7rocprim17ROCPRIM_304000_NS6detail16transform_kernelINS1_24wrapped_transform_configINS0_14default_configEhEEhPhS6_NS0_8identityIhEEEEvT1_mT2_T3_.uses_flat_scratch, 0
	.set _ZN7rocprim17ROCPRIM_304000_NS6detail16transform_kernelINS1_24wrapped_transform_configINS0_14default_configEhEEhPhS6_NS0_8identityIhEEEEvT1_mT2_T3_.has_dyn_sized_stack, 0
	.set _ZN7rocprim17ROCPRIM_304000_NS6detail16transform_kernelINS1_24wrapped_transform_configINS0_14default_configEhEEhPhS6_NS0_8identityIhEEEEvT1_mT2_T3_.has_recursion, 0
	.set _ZN7rocprim17ROCPRIM_304000_NS6detail16transform_kernelINS1_24wrapped_transform_configINS0_14default_configEhEEhPhS6_NS0_8identityIhEEEEvT1_mT2_T3_.has_indirect_call, 0
	.section	.AMDGPU.csdata,"",@progbits
; Kernel info:
; codeLenInByte = 2276
; TotalNumSgprs: 42
; NumVgprs: 27
; ScratchSize: 0
; MemoryBound: 0
; FloatMode: 240
; IeeeMode: 1
; LDSByteSize: 0 bytes/workgroup (compile time only)
; SGPRBlocks: 5
; VGPRBlocks: 6
; NumSGPRsForWavesPerEU: 42
; NumVGPRsForWavesPerEU: 27
; Occupancy: 9
; WaveLimiterHint : 0
; COMPUTE_PGM_RSRC2:SCRATCH_EN: 0
; COMPUTE_PGM_RSRC2:USER_SGPR: 6
; COMPUTE_PGM_RSRC2:TRAP_HANDLER: 0
; COMPUTE_PGM_RSRC2:TGID_X_EN: 1
; COMPUTE_PGM_RSRC2:TGID_Y_EN: 0
; COMPUTE_PGM_RSRC2:TGID_Z_EN: 0
; COMPUTE_PGM_RSRC2:TIDIG_COMP_CNT: 0
	.section	.text._ZN7rocprim17ROCPRIM_304000_NS6detail16transform_kernelINS1_24wrapped_transform_configINS0_14default_configEN2at4cuda3cub6detail10OpaqueTypeILi8EEEEESA_PSA_SC_NS0_8identityISA_EEEEvT1_mT2_T3_,"axG",@progbits,_ZN7rocprim17ROCPRIM_304000_NS6detail16transform_kernelINS1_24wrapped_transform_configINS0_14default_configEN2at4cuda3cub6detail10OpaqueTypeILi8EEEEESA_PSA_SC_NS0_8identityISA_EEEEvT1_mT2_T3_,comdat
	.protected	_ZN7rocprim17ROCPRIM_304000_NS6detail16transform_kernelINS1_24wrapped_transform_configINS0_14default_configEN2at4cuda3cub6detail10OpaqueTypeILi8EEEEESA_PSA_SC_NS0_8identityISA_EEEEvT1_mT2_T3_ ; -- Begin function _ZN7rocprim17ROCPRIM_304000_NS6detail16transform_kernelINS1_24wrapped_transform_configINS0_14default_configEN2at4cuda3cub6detail10OpaqueTypeILi8EEEEESA_PSA_SC_NS0_8identityISA_EEEEvT1_mT2_T3_
	.globl	_ZN7rocprim17ROCPRIM_304000_NS6detail16transform_kernelINS1_24wrapped_transform_configINS0_14default_configEN2at4cuda3cub6detail10OpaqueTypeILi8EEEEESA_PSA_SC_NS0_8identityISA_EEEEvT1_mT2_T3_
	.p2align	8
	.type	_ZN7rocprim17ROCPRIM_304000_NS6detail16transform_kernelINS1_24wrapped_transform_configINS0_14default_configEN2at4cuda3cub6detail10OpaqueTypeILi8EEEEESA_PSA_SC_NS0_8identityISA_EEEEvT1_mT2_T3_,@function
_ZN7rocprim17ROCPRIM_304000_NS6detail16transform_kernelINS1_24wrapped_transform_configINS0_14default_configEN2at4cuda3cub6detail10OpaqueTypeILi8EEEEESA_PSA_SC_NS0_8identityISA_EEEEvT1_mT2_T3_: ; @_ZN7rocprim17ROCPRIM_304000_NS6detail16transform_kernelINS1_24wrapped_transform_configINS0_14default_configEN2at4cuda3cub6detail10OpaqueTypeILi8EEEEESA_PSA_SC_NS0_8identityISA_EEEEvT1_mT2_T3_
; %bb.0:
	s_load_dword s7, s[4:5], 0x20
	s_load_dwordx4 s[0:3], s[4:5], 0x0
	s_lshl_b32 s8, s6, 9
	s_waitcnt lgkmcnt(0)
	s_add_i32 s7, s7, -1
	s_cmp_lg_u32 s6, s7
	s_cselect_b64 s[6:7], -1, 0
	s_sub_i32 s2, s2, s8
	v_cmp_gt_u32_e32 vcc, s2, v0
	s_or_b64 s[2:3], vcc, s[6:7]
	s_and_saveexec_b64 s[6:7], s[2:3]
	s_cbranch_execz .LBB6_2
; %bb.1:
	s_load_dwordx2 s[2:3], s[4:5], 0x10
	s_mov_b32 s9, 0
	s_lshl_b64 s[4:5], s[8:9], 3
	v_lshlrev_b32_e32 v2, 3, v0
	s_waitcnt lgkmcnt(0)
	s_add_u32 s2, s2, s4
	s_addc_u32 s3, s3, s5
	s_add_u32 s0, s0, s4
	s_addc_u32 s1, s1, s5
	global_load_dwordx2 v[0:1], v2, s[0:1]
	s_waitcnt vmcnt(0)
	global_store_dwordx2 v2, v[0:1], s[2:3]
.LBB6_2:
	s_endpgm
	.section	.rodata,"a",@progbits
	.p2align	6, 0x0
	.amdhsa_kernel _ZN7rocprim17ROCPRIM_304000_NS6detail16transform_kernelINS1_24wrapped_transform_configINS0_14default_configEN2at4cuda3cub6detail10OpaqueTypeILi8EEEEESA_PSA_SC_NS0_8identityISA_EEEEvT1_mT2_T3_
		.amdhsa_group_segment_fixed_size 0
		.amdhsa_private_segment_fixed_size 0
		.amdhsa_kernarg_size 288
		.amdhsa_user_sgpr_count 6
		.amdhsa_user_sgpr_private_segment_buffer 1
		.amdhsa_user_sgpr_dispatch_ptr 0
		.amdhsa_user_sgpr_queue_ptr 0
		.amdhsa_user_sgpr_kernarg_segment_ptr 1
		.amdhsa_user_sgpr_dispatch_id 0
		.amdhsa_user_sgpr_flat_scratch_init 0
		.amdhsa_user_sgpr_private_segment_size 0
		.amdhsa_uses_dynamic_stack 0
		.amdhsa_system_sgpr_private_segment_wavefront_offset 0
		.amdhsa_system_sgpr_workgroup_id_x 1
		.amdhsa_system_sgpr_workgroup_id_y 0
		.amdhsa_system_sgpr_workgroup_id_z 0
		.amdhsa_system_sgpr_workgroup_info 0
		.amdhsa_system_vgpr_workitem_id 0
		.amdhsa_next_free_vgpr 3
		.amdhsa_next_free_sgpr 10
		.amdhsa_reserve_vcc 1
		.amdhsa_reserve_flat_scratch 0
		.amdhsa_float_round_mode_32 0
		.amdhsa_float_round_mode_16_64 0
		.amdhsa_float_denorm_mode_32 3
		.amdhsa_float_denorm_mode_16_64 3
		.amdhsa_dx10_clamp 1
		.amdhsa_ieee_mode 1
		.amdhsa_fp16_overflow 0
		.amdhsa_exception_fp_ieee_invalid_op 0
		.amdhsa_exception_fp_denorm_src 0
		.amdhsa_exception_fp_ieee_div_zero 0
		.amdhsa_exception_fp_ieee_overflow 0
		.amdhsa_exception_fp_ieee_underflow 0
		.amdhsa_exception_fp_ieee_inexact 0
		.amdhsa_exception_int_div_zero 0
	.end_amdhsa_kernel
	.section	.text._ZN7rocprim17ROCPRIM_304000_NS6detail16transform_kernelINS1_24wrapped_transform_configINS0_14default_configEN2at4cuda3cub6detail10OpaqueTypeILi8EEEEESA_PSA_SC_NS0_8identityISA_EEEEvT1_mT2_T3_,"axG",@progbits,_ZN7rocprim17ROCPRIM_304000_NS6detail16transform_kernelINS1_24wrapped_transform_configINS0_14default_configEN2at4cuda3cub6detail10OpaqueTypeILi8EEEEESA_PSA_SC_NS0_8identityISA_EEEEvT1_mT2_T3_,comdat
.Lfunc_end6:
	.size	_ZN7rocprim17ROCPRIM_304000_NS6detail16transform_kernelINS1_24wrapped_transform_configINS0_14default_configEN2at4cuda3cub6detail10OpaqueTypeILi8EEEEESA_PSA_SC_NS0_8identityISA_EEEEvT1_mT2_T3_, .Lfunc_end6-_ZN7rocprim17ROCPRIM_304000_NS6detail16transform_kernelINS1_24wrapped_transform_configINS0_14default_configEN2at4cuda3cub6detail10OpaqueTypeILi8EEEEESA_PSA_SC_NS0_8identityISA_EEEEvT1_mT2_T3_
                                        ; -- End function
	.set _ZN7rocprim17ROCPRIM_304000_NS6detail16transform_kernelINS1_24wrapped_transform_configINS0_14default_configEN2at4cuda3cub6detail10OpaqueTypeILi8EEEEESA_PSA_SC_NS0_8identityISA_EEEEvT1_mT2_T3_.num_vgpr, 3
	.set _ZN7rocprim17ROCPRIM_304000_NS6detail16transform_kernelINS1_24wrapped_transform_configINS0_14default_configEN2at4cuda3cub6detail10OpaqueTypeILi8EEEEESA_PSA_SC_NS0_8identityISA_EEEEvT1_mT2_T3_.num_agpr, 0
	.set _ZN7rocprim17ROCPRIM_304000_NS6detail16transform_kernelINS1_24wrapped_transform_configINS0_14default_configEN2at4cuda3cub6detail10OpaqueTypeILi8EEEEESA_PSA_SC_NS0_8identityISA_EEEEvT1_mT2_T3_.numbered_sgpr, 10
	.set _ZN7rocprim17ROCPRIM_304000_NS6detail16transform_kernelINS1_24wrapped_transform_configINS0_14default_configEN2at4cuda3cub6detail10OpaqueTypeILi8EEEEESA_PSA_SC_NS0_8identityISA_EEEEvT1_mT2_T3_.num_named_barrier, 0
	.set _ZN7rocprim17ROCPRIM_304000_NS6detail16transform_kernelINS1_24wrapped_transform_configINS0_14default_configEN2at4cuda3cub6detail10OpaqueTypeILi8EEEEESA_PSA_SC_NS0_8identityISA_EEEEvT1_mT2_T3_.private_seg_size, 0
	.set _ZN7rocprim17ROCPRIM_304000_NS6detail16transform_kernelINS1_24wrapped_transform_configINS0_14default_configEN2at4cuda3cub6detail10OpaqueTypeILi8EEEEESA_PSA_SC_NS0_8identityISA_EEEEvT1_mT2_T3_.uses_vcc, 1
	.set _ZN7rocprim17ROCPRIM_304000_NS6detail16transform_kernelINS1_24wrapped_transform_configINS0_14default_configEN2at4cuda3cub6detail10OpaqueTypeILi8EEEEESA_PSA_SC_NS0_8identityISA_EEEEvT1_mT2_T3_.uses_flat_scratch, 0
	.set _ZN7rocprim17ROCPRIM_304000_NS6detail16transform_kernelINS1_24wrapped_transform_configINS0_14default_configEN2at4cuda3cub6detail10OpaqueTypeILi8EEEEESA_PSA_SC_NS0_8identityISA_EEEEvT1_mT2_T3_.has_dyn_sized_stack, 0
	.set _ZN7rocprim17ROCPRIM_304000_NS6detail16transform_kernelINS1_24wrapped_transform_configINS0_14default_configEN2at4cuda3cub6detail10OpaqueTypeILi8EEEEESA_PSA_SC_NS0_8identityISA_EEEEvT1_mT2_T3_.has_recursion, 0
	.set _ZN7rocprim17ROCPRIM_304000_NS6detail16transform_kernelINS1_24wrapped_transform_configINS0_14default_configEN2at4cuda3cub6detail10OpaqueTypeILi8EEEEESA_PSA_SC_NS0_8identityISA_EEEEvT1_mT2_T3_.has_indirect_call, 0
	.section	.AMDGPU.csdata,"",@progbits
; Kernel info:
; codeLenInByte = 120
; TotalNumSgprs: 14
; NumVgprs: 3
; ScratchSize: 0
; MemoryBound: 0
; FloatMode: 240
; IeeeMode: 1
; LDSByteSize: 0 bytes/workgroup (compile time only)
; SGPRBlocks: 1
; VGPRBlocks: 0
; NumSGPRsForWavesPerEU: 14
; NumVGPRsForWavesPerEU: 3
; Occupancy: 10
; WaveLimiterHint : 0
; COMPUTE_PGM_RSRC2:SCRATCH_EN: 0
; COMPUTE_PGM_RSRC2:USER_SGPR: 6
; COMPUTE_PGM_RSRC2:TRAP_HANDLER: 0
; COMPUTE_PGM_RSRC2:TGID_X_EN: 1
; COMPUTE_PGM_RSRC2:TGID_Y_EN: 0
; COMPUTE_PGM_RSRC2:TGID_Z_EN: 0
; COMPUTE_PGM_RSRC2:TIDIG_COMP_CNT: 0
	.section	.text._ZN7rocprim17ROCPRIM_304000_NS6detail45device_block_merge_mergepath_partition_kernelINS1_37wrapped_merge_sort_block_merge_configINS0_14default_configEhN2at4cuda3cub6detail10OpaqueTypeILi8EEEEEPhjNS1_19radix_merge_compareILb1ELb1EhNS0_19identity_decomposerEEEEEvT0_T1_jPSH_T2_SH_,"axG",@progbits,_ZN7rocprim17ROCPRIM_304000_NS6detail45device_block_merge_mergepath_partition_kernelINS1_37wrapped_merge_sort_block_merge_configINS0_14default_configEhN2at4cuda3cub6detail10OpaqueTypeILi8EEEEEPhjNS1_19radix_merge_compareILb1ELb1EhNS0_19identity_decomposerEEEEEvT0_T1_jPSH_T2_SH_,comdat
	.protected	_ZN7rocprim17ROCPRIM_304000_NS6detail45device_block_merge_mergepath_partition_kernelINS1_37wrapped_merge_sort_block_merge_configINS0_14default_configEhN2at4cuda3cub6detail10OpaqueTypeILi8EEEEEPhjNS1_19radix_merge_compareILb1ELb1EhNS0_19identity_decomposerEEEEEvT0_T1_jPSH_T2_SH_ ; -- Begin function _ZN7rocprim17ROCPRIM_304000_NS6detail45device_block_merge_mergepath_partition_kernelINS1_37wrapped_merge_sort_block_merge_configINS0_14default_configEhN2at4cuda3cub6detail10OpaqueTypeILi8EEEEEPhjNS1_19radix_merge_compareILb1ELb1EhNS0_19identity_decomposerEEEEEvT0_T1_jPSH_T2_SH_
	.globl	_ZN7rocprim17ROCPRIM_304000_NS6detail45device_block_merge_mergepath_partition_kernelINS1_37wrapped_merge_sort_block_merge_configINS0_14default_configEhN2at4cuda3cub6detail10OpaqueTypeILi8EEEEEPhjNS1_19radix_merge_compareILb1ELb1EhNS0_19identity_decomposerEEEEEvT0_T1_jPSH_T2_SH_
	.p2align	8
	.type	_ZN7rocprim17ROCPRIM_304000_NS6detail45device_block_merge_mergepath_partition_kernelINS1_37wrapped_merge_sort_block_merge_configINS0_14default_configEhN2at4cuda3cub6detail10OpaqueTypeILi8EEEEEPhjNS1_19radix_merge_compareILb1ELb1EhNS0_19identity_decomposerEEEEEvT0_T1_jPSH_T2_SH_,@function
_ZN7rocprim17ROCPRIM_304000_NS6detail45device_block_merge_mergepath_partition_kernelINS1_37wrapped_merge_sort_block_merge_configINS0_14default_configEhN2at4cuda3cub6detail10OpaqueTypeILi8EEEEEPhjNS1_19radix_merge_compareILb1ELb1EhNS0_19identity_decomposerEEEEEvT0_T1_jPSH_T2_SH_: ; @_ZN7rocprim17ROCPRIM_304000_NS6detail45device_block_merge_mergepath_partition_kernelINS1_37wrapped_merge_sort_block_merge_configINS0_14default_configEhN2at4cuda3cub6detail10OpaqueTypeILi8EEEEEPhjNS1_19radix_merge_compareILb1ELb1EhNS0_19identity_decomposerEEEEEvT0_T1_jPSH_T2_SH_
; %bb.0:
	s_load_dwordx2 s[2:3], s[4:5], 0x8
	v_lshl_or_b32 v0, s6, 7, v0
	s_waitcnt lgkmcnt(0)
	v_cmp_gt_u32_e32 vcc, s3, v0
	s_and_saveexec_b64 s[0:1], vcc
	s_cbranch_execz .LBB7_6
; %bb.1:
	s_load_dwordx2 s[0:1], s[4:5], 0x18
	s_waitcnt lgkmcnt(0)
	s_lshr_b32 s3, s1, 9
	s_and_b32 s3, s3, 0x7ffffe
	s_add_i32 s6, s3, -1
	s_sub_i32 s3, 0, s3
	v_and_b32_e32 v1, s3, v0
	v_lshlrev_b32_e32 v3, 10, v1
	v_min_u32_e32 v1, s2, v3
	v_add_u32_e32 v3, s1, v3
	v_min_u32_e32 v7, s2, v3
	v_add_u32_e32 v3, s1, v7
	v_and_b32_e32 v2, s6, v0
	v_min_u32_e32 v4, s2, v3
	v_lshlrev_b32_e32 v2, 10, v2
	v_sub_u32_e32 v3, v4, v1
	v_min_u32_e32 v3, v3, v2
	v_sub_u32_e32 v5, v7, v1
	v_sub_u32_e32 v2, v4, v7
	v_sub_u32_e64 v2, v3, v2 clamp
	v_min_u32_e32 v4, v3, v5
	v_cmp_lt_u32_e32 vcc, v2, v4
	s_and_saveexec_b64 s[2:3], vcc
	s_cbranch_execz .LBB7_5
; %bb.2:
	s_load_dwordx2 s[6:7], s[4:5], 0x0
	s_waitcnt lgkmcnt(0)
	v_mov_b32_e32 v8, s7
	v_add_co_u32_e32 v5, vcc, s6, v1
	v_addc_co_u32_e32 v6, vcc, 0, v8, vcc
	v_add_co_u32_e32 v7, vcc, s6, v7
	v_addc_co_u32_e32 v8, vcc, 0, v8, vcc
	s_mov_b64 s[6:7], 0
.LBB7_3:                                ; =>This Inner Loop Header: Depth=1
	v_add_u32_e32 v9, v4, v2
	v_lshrrev_b32_e32 v13, 1, v9
	v_add_co_u32_e32 v9, vcc, v5, v13
	v_xad_u32 v11, v13, -1, v3
	v_addc_co_u32_e32 v10, vcc, 0, v6, vcc
	v_add_co_u32_e32 v11, vcc, v7, v11
	v_addc_co_u32_e32 v12, vcc, 0, v8, vcc
	global_load_ubyte v14, v[9:10], off
	global_load_ubyte v15, v[11:12], off
	v_add_u32_e32 v9, 1, v13
	s_waitcnt vmcnt(1)
	v_and_b32_e32 v10, s0, v14
	s_waitcnt vmcnt(0)
	v_and_b32_e32 v11, s0, v15
	v_cmp_gt_u16_sdwa vcc, v11, v10 src0_sel:BYTE_0 src1_sel:BYTE_0
	v_cndmask_b32_e32 v4, v4, v13, vcc
	v_cndmask_b32_e32 v2, v9, v2, vcc
	v_cmp_ge_u32_e32 vcc, v2, v4
	s_or_b64 s[6:7], vcc, s[6:7]
	s_andn2_b64 exec, exec, s[6:7]
	s_cbranch_execnz .LBB7_3
; %bb.4:
	s_or_b64 exec, exec, s[6:7]
.LBB7_5:
	s_or_b64 exec, exec, s[2:3]
	s_load_dwordx2 s[0:1], s[4:5], 0x10
	v_add_u32_e32 v2, v2, v1
	v_mov_b32_e32 v1, 0
	v_lshlrev_b64 v[0:1], 2, v[0:1]
	s_waitcnt lgkmcnt(0)
	v_mov_b32_e32 v3, s1
	v_add_co_u32_e32 v0, vcc, s0, v0
	v_addc_co_u32_e32 v1, vcc, v3, v1, vcc
	global_store_dword v[0:1], v2, off
.LBB7_6:
	s_endpgm
	.section	.rodata,"a",@progbits
	.p2align	6, 0x0
	.amdhsa_kernel _ZN7rocprim17ROCPRIM_304000_NS6detail45device_block_merge_mergepath_partition_kernelINS1_37wrapped_merge_sort_block_merge_configINS0_14default_configEhN2at4cuda3cub6detail10OpaqueTypeILi8EEEEEPhjNS1_19radix_merge_compareILb1ELb1EhNS0_19identity_decomposerEEEEEvT0_T1_jPSH_T2_SH_
		.amdhsa_group_segment_fixed_size 0
		.amdhsa_private_segment_fixed_size 0
		.amdhsa_kernarg_size 32
		.amdhsa_user_sgpr_count 6
		.amdhsa_user_sgpr_private_segment_buffer 1
		.amdhsa_user_sgpr_dispatch_ptr 0
		.amdhsa_user_sgpr_queue_ptr 0
		.amdhsa_user_sgpr_kernarg_segment_ptr 1
		.amdhsa_user_sgpr_dispatch_id 0
		.amdhsa_user_sgpr_flat_scratch_init 0
		.amdhsa_user_sgpr_private_segment_size 0
		.amdhsa_uses_dynamic_stack 0
		.amdhsa_system_sgpr_private_segment_wavefront_offset 0
		.amdhsa_system_sgpr_workgroup_id_x 1
		.amdhsa_system_sgpr_workgroup_id_y 0
		.amdhsa_system_sgpr_workgroup_id_z 0
		.amdhsa_system_sgpr_workgroup_info 0
		.amdhsa_system_vgpr_workitem_id 0
		.amdhsa_next_free_vgpr 16
		.amdhsa_next_free_sgpr 8
		.amdhsa_reserve_vcc 1
		.amdhsa_reserve_flat_scratch 0
		.amdhsa_float_round_mode_32 0
		.amdhsa_float_round_mode_16_64 0
		.amdhsa_float_denorm_mode_32 3
		.amdhsa_float_denorm_mode_16_64 3
		.amdhsa_dx10_clamp 1
		.amdhsa_ieee_mode 1
		.amdhsa_fp16_overflow 0
		.amdhsa_exception_fp_ieee_invalid_op 0
		.amdhsa_exception_fp_denorm_src 0
		.amdhsa_exception_fp_ieee_div_zero 0
		.amdhsa_exception_fp_ieee_overflow 0
		.amdhsa_exception_fp_ieee_underflow 0
		.amdhsa_exception_fp_ieee_inexact 0
		.amdhsa_exception_int_div_zero 0
	.end_amdhsa_kernel
	.section	.text._ZN7rocprim17ROCPRIM_304000_NS6detail45device_block_merge_mergepath_partition_kernelINS1_37wrapped_merge_sort_block_merge_configINS0_14default_configEhN2at4cuda3cub6detail10OpaqueTypeILi8EEEEEPhjNS1_19radix_merge_compareILb1ELb1EhNS0_19identity_decomposerEEEEEvT0_T1_jPSH_T2_SH_,"axG",@progbits,_ZN7rocprim17ROCPRIM_304000_NS6detail45device_block_merge_mergepath_partition_kernelINS1_37wrapped_merge_sort_block_merge_configINS0_14default_configEhN2at4cuda3cub6detail10OpaqueTypeILi8EEEEEPhjNS1_19radix_merge_compareILb1ELb1EhNS0_19identity_decomposerEEEEEvT0_T1_jPSH_T2_SH_,comdat
.Lfunc_end7:
	.size	_ZN7rocprim17ROCPRIM_304000_NS6detail45device_block_merge_mergepath_partition_kernelINS1_37wrapped_merge_sort_block_merge_configINS0_14default_configEhN2at4cuda3cub6detail10OpaqueTypeILi8EEEEEPhjNS1_19radix_merge_compareILb1ELb1EhNS0_19identity_decomposerEEEEEvT0_T1_jPSH_T2_SH_, .Lfunc_end7-_ZN7rocprim17ROCPRIM_304000_NS6detail45device_block_merge_mergepath_partition_kernelINS1_37wrapped_merge_sort_block_merge_configINS0_14default_configEhN2at4cuda3cub6detail10OpaqueTypeILi8EEEEEPhjNS1_19radix_merge_compareILb1ELb1EhNS0_19identity_decomposerEEEEEvT0_T1_jPSH_T2_SH_
                                        ; -- End function
	.set _ZN7rocprim17ROCPRIM_304000_NS6detail45device_block_merge_mergepath_partition_kernelINS1_37wrapped_merge_sort_block_merge_configINS0_14default_configEhN2at4cuda3cub6detail10OpaqueTypeILi8EEEEEPhjNS1_19radix_merge_compareILb1ELb1EhNS0_19identity_decomposerEEEEEvT0_T1_jPSH_T2_SH_.num_vgpr, 16
	.set _ZN7rocprim17ROCPRIM_304000_NS6detail45device_block_merge_mergepath_partition_kernelINS1_37wrapped_merge_sort_block_merge_configINS0_14default_configEhN2at4cuda3cub6detail10OpaqueTypeILi8EEEEEPhjNS1_19radix_merge_compareILb1ELb1EhNS0_19identity_decomposerEEEEEvT0_T1_jPSH_T2_SH_.num_agpr, 0
	.set _ZN7rocprim17ROCPRIM_304000_NS6detail45device_block_merge_mergepath_partition_kernelINS1_37wrapped_merge_sort_block_merge_configINS0_14default_configEhN2at4cuda3cub6detail10OpaqueTypeILi8EEEEEPhjNS1_19radix_merge_compareILb1ELb1EhNS0_19identity_decomposerEEEEEvT0_T1_jPSH_T2_SH_.numbered_sgpr, 8
	.set _ZN7rocprim17ROCPRIM_304000_NS6detail45device_block_merge_mergepath_partition_kernelINS1_37wrapped_merge_sort_block_merge_configINS0_14default_configEhN2at4cuda3cub6detail10OpaqueTypeILi8EEEEEPhjNS1_19radix_merge_compareILb1ELb1EhNS0_19identity_decomposerEEEEEvT0_T1_jPSH_T2_SH_.num_named_barrier, 0
	.set _ZN7rocprim17ROCPRIM_304000_NS6detail45device_block_merge_mergepath_partition_kernelINS1_37wrapped_merge_sort_block_merge_configINS0_14default_configEhN2at4cuda3cub6detail10OpaqueTypeILi8EEEEEPhjNS1_19radix_merge_compareILb1ELb1EhNS0_19identity_decomposerEEEEEvT0_T1_jPSH_T2_SH_.private_seg_size, 0
	.set _ZN7rocprim17ROCPRIM_304000_NS6detail45device_block_merge_mergepath_partition_kernelINS1_37wrapped_merge_sort_block_merge_configINS0_14default_configEhN2at4cuda3cub6detail10OpaqueTypeILi8EEEEEPhjNS1_19radix_merge_compareILb1ELb1EhNS0_19identity_decomposerEEEEEvT0_T1_jPSH_T2_SH_.uses_vcc, 1
	.set _ZN7rocprim17ROCPRIM_304000_NS6detail45device_block_merge_mergepath_partition_kernelINS1_37wrapped_merge_sort_block_merge_configINS0_14default_configEhN2at4cuda3cub6detail10OpaqueTypeILi8EEEEEPhjNS1_19radix_merge_compareILb1ELb1EhNS0_19identity_decomposerEEEEEvT0_T1_jPSH_T2_SH_.uses_flat_scratch, 0
	.set _ZN7rocprim17ROCPRIM_304000_NS6detail45device_block_merge_mergepath_partition_kernelINS1_37wrapped_merge_sort_block_merge_configINS0_14default_configEhN2at4cuda3cub6detail10OpaqueTypeILi8EEEEEPhjNS1_19radix_merge_compareILb1ELb1EhNS0_19identity_decomposerEEEEEvT0_T1_jPSH_T2_SH_.has_dyn_sized_stack, 0
	.set _ZN7rocprim17ROCPRIM_304000_NS6detail45device_block_merge_mergepath_partition_kernelINS1_37wrapped_merge_sort_block_merge_configINS0_14default_configEhN2at4cuda3cub6detail10OpaqueTypeILi8EEEEEPhjNS1_19radix_merge_compareILb1ELb1EhNS0_19identity_decomposerEEEEEvT0_T1_jPSH_T2_SH_.has_recursion, 0
	.set _ZN7rocprim17ROCPRIM_304000_NS6detail45device_block_merge_mergepath_partition_kernelINS1_37wrapped_merge_sort_block_merge_configINS0_14default_configEhN2at4cuda3cub6detail10OpaqueTypeILi8EEEEEPhjNS1_19radix_merge_compareILb1ELb1EhNS0_19identity_decomposerEEEEEvT0_T1_jPSH_T2_SH_.has_indirect_call, 0
	.section	.AMDGPU.csdata,"",@progbits
; Kernel info:
; codeLenInByte = 336
; TotalNumSgprs: 12
; NumVgprs: 16
; ScratchSize: 0
; MemoryBound: 0
; FloatMode: 240
; IeeeMode: 1
; LDSByteSize: 0 bytes/workgroup (compile time only)
; SGPRBlocks: 1
; VGPRBlocks: 3
; NumSGPRsForWavesPerEU: 12
; NumVGPRsForWavesPerEU: 16
; Occupancy: 10
; WaveLimiterHint : 0
; COMPUTE_PGM_RSRC2:SCRATCH_EN: 0
; COMPUTE_PGM_RSRC2:USER_SGPR: 6
; COMPUTE_PGM_RSRC2:TRAP_HANDLER: 0
; COMPUTE_PGM_RSRC2:TGID_X_EN: 1
; COMPUTE_PGM_RSRC2:TGID_Y_EN: 0
; COMPUTE_PGM_RSRC2:TGID_Z_EN: 0
; COMPUTE_PGM_RSRC2:TIDIG_COMP_CNT: 0
	.section	.text._ZN7rocprim17ROCPRIM_304000_NS6detail35device_block_merge_mergepath_kernelINS1_37wrapped_merge_sort_block_merge_configINS0_14default_configEhN2at4cuda3cub6detail10OpaqueTypeILi8EEEEEPhSC_PSA_SD_jNS1_19radix_merge_compareILb1ELb1EhNS0_19identity_decomposerEEEEEvT0_T1_T2_T3_T4_SL_jT5_PKSL_NS1_7vsmem_tE,"axG",@progbits,_ZN7rocprim17ROCPRIM_304000_NS6detail35device_block_merge_mergepath_kernelINS1_37wrapped_merge_sort_block_merge_configINS0_14default_configEhN2at4cuda3cub6detail10OpaqueTypeILi8EEEEEPhSC_PSA_SD_jNS1_19radix_merge_compareILb1ELb1EhNS0_19identity_decomposerEEEEEvT0_T1_T2_T3_T4_SL_jT5_PKSL_NS1_7vsmem_tE,comdat
	.protected	_ZN7rocprim17ROCPRIM_304000_NS6detail35device_block_merge_mergepath_kernelINS1_37wrapped_merge_sort_block_merge_configINS0_14default_configEhN2at4cuda3cub6detail10OpaqueTypeILi8EEEEEPhSC_PSA_SD_jNS1_19radix_merge_compareILb1ELb1EhNS0_19identity_decomposerEEEEEvT0_T1_T2_T3_T4_SL_jT5_PKSL_NS1_7vsmem_tE ; -- Begin function _ZN7rocprim17ROCPRIM_304000_NS6detail35device_block_merge_mergepath_kernelINS1_37wrapped_merge_sort_block_merge_configINS0_14default_configEhN2at4cuda3cub6detail10OpaqueTypeILi8EEEEEPhSC_PSA_SD_jNS1_19radix_merge_compareILb1ELb1EhNS0_19identity_decomposerEEEEEvT0_T1_T2_T3_T4_SL_jT5_PKSL_NS1_7vsmem_tE
	.globl	_ZN7rocprim17ROCPRIM_304000_NS6detail35device_block_merge_mergepath_kernelINS1_37wrapped_merge_sort_block_merge_configINS0_14default_configEhN2at4cuda3cub6detail10OpaqueTypeILi8EEEEEPhSC_PSA_SD_jNS1_19radix_merge_compareILb1ELb1EhNS0_19identity_decomposerEEEEEvT0_T1_T2_T3_T4_SL_jT5_PKSL_NS1_7vsmem_tE
	.p2align	8
	.type	_ZN7rocprim17ROCPRIM_304000_NS6detail35device_block_merge_mergepath_kernelINS1_37wrapped_merge_sort_block_merge_configINS0_14default_configEhN2at4cuda3cub6detail10OpaqueTypeILi8EEEEEPhSC_PSA_SD_jNS1_19radix_merge_compareILb1ELb1EhNS0_19identity_decomposerEEEEEvT0_T1_T2_T3_T4_SL_jT5_PKSL_NS1_7vsmem_tE,@function
_ZN7rocprim17ROCPRIM_304000_NS6detail35device_block_merge_mergepath_kernelINS1_37wrapped_merge_sort_block_merge_configINS0_14default_configEhN2at4cuda3cub6detail10OpaqueTypeILi8EEEEEPhSC_PSA_SD_jNS1_19radix_merge_compareILb1ELb1EhNS0_19identity_decomposerEEEEEvT0_T1_T2_T3_T4_SL_jT5_PKSL_NS1_7vsmem_tE: ; @_ZN7rocprim17ROCPRIM_304000_NS6detail35device_block_merge_mergepath_kernelINS1_37wrapped_merge_sort_block_merge_configINS0_14default_configEhN2at4cuda3cub6detail10OpaqueTypeILi8EEEEEPhSC_PSA_SD_jNS1_19radix_merge_compareILb1ELb1EhNS0_19identity_decomposerEEEEEvT0_T1_T2_T3_T4_SL_jT5_PKSL_NS1_7vsmem_tE
; %bb.0:
	s_load_dwordx2 s[10:11], s[4:5], 0x40
	s_load_dwordx4 s[20:23], s[4:5], 0x20
	s_add_u32 s2, s4, 64
	s_addc_u32 s3, s5, 0
	s_waitcnt lgkmcnt(0)
	s_mul_i32 s0, s11, s8
	s_add_i32 s0, s0, s7
	s_mul_i32 s0, s0, s10
	s_add_i32 s0, s0, s6
	s_cmp_ge_u32 s0, s22
	s_cbranch_scc1 .LBB8_109
; %bb.1:
	s_load_dwordx8 s[12:19], s[4:5], 0x0
	s_load_dwordx2 s[8:9], s[4:5], 0x30
	s_lshr_b32 s11, s20, 10
	s_cmp_lg_u32 s0, s11
	s_mov_b32 s1, 0
	s_cselect_b64 s[24:25], -1, 0
	s_lshl_b64 s[4:5], s[0:1], 2
	s_waitcnt lgkmcnt(0)
	s_add_u32 s4, s8, s4
	s_addc_u32 s5, s9, s5
	s_load_dwordx2 s[26:27], s[4:5], 0x0
	s_lshr_b32 s4, s21, 9
	s_and_b32 s4, s4, 0x7ffffe
	s_sub_i32 s4, 0, s4
	s_and_b32 s5, s0, s4
	s_lshl_b32 s7, s5, 10
	s_lshl_b32 s22, s0, 10
	;; [unrolled: 1-line block ×3, first 2 shown]
	s_sub_i32 s8, s22, s7
	s_add_i32 s5, s5, s21
	s_add_i32 s8, s5, s8
	s_waitcnt lgkmcnt(0)
	s_sub_i32 s9, s8, s26
	s_sub_i32 s8, s8, s27
	;; [unrolled: 1-line block ×3, first 2 shown]
	s_min_u32 s28, s20, s9
	s_addk_i32 s8, 0x400
	s_or_b32 s4, s0, s4
	s_min_u32 s7, s20, s5
	s_add_i32 s5, s5, s21
	s_cmp_eq_u32 s4, -1
	s_cselect_b32 s4, s5, s8
	s_cselect_b32 s5, s7, s27
	s_min_u32 s4, s4, s20
	s_sub_i32 s30, s5, s26
	s_sub_i32 s31, s4, s28
	s_add_u32 s5, s12, s26
	s_addc_u32 s7, s13, 0
	s_add_u32 s4, s12, s28
	v_mov_b32_e32 v1, 0
	global_load_dword v2, v1, s[2:3] offset:14
	s_addc_u32 s8, s13, 0
	s_cmp_lt_u32 s6, s10
	s_cselect_b32 s6, 12, 18
	s_add_u32 s2, s2, s6
	s_addc_u32 s3, s3, 0
	global_load_ushort v1, v1, s[2:3]
	s_mov_b32 s27, s1
	s_mov_b32 s29, s1
	s_cmp_eq_u32 s0, s11
	s_waitcnt vmcnt(1)
	v_lshrrev_b32_e32 v3, 16, v2
	v_and_b32_e32 v2, 0xffff, v2
	v_mul_lo_u32 v2, v2, v3
	s_waitcnt vmcnt(0)
	v_mul_lo_u32 v3, v2, v1
	v_add_u32_e32 v5, v3, v0
	v_add_u32_e32 v4, v5, v3
	s_cbranch_scc1 .LBB8_3
; %bb.2:
	v_mov_b32_e32 v1, s7
	v_add_co_u32_e32 v6, vcc, s5, v0
	v_addc_co_u32_e32 v1, vcc, 0, v1, vcc
	v_subrev_co_u32_e32 v2, vcc, s30, v0
	v_mov_b32_e32 v7, s8
	v_add_co_u32_e64 v8, s[0:1], s4, v2
	v_addc_co_u32_e64 v2, s[0:1], 0, v7, s[0:1]
	v_cndmask_b32_e32 v2, v2, v1, vcc
	v_cndmask_b32_e32 v1, v8, v6, vcc
	v_mov_b32_e32 v6, s7
	v_add_co_u32_e32 v8, vcc, s5, v5
	v_addc_co_u32_e32 v6, vcc, 0, v6, vcc
	v_subrev_co_u32_e32 v7, vcc, s30, v5
	v_mov_b32_e32 v9, s8
	v_add_co_u32_e64 v10, s[0:1], s4, v7
	v_addc_co_u32_e64 v7, s[0:1], 0, v9, s[0:1]
	v_cndmask_b32_e32 v7, v7, v6, vcc
	v_cndmask_b32_e32 v6, v10, v8, vcc
	;; [unrolled: 9-line block ×3, first 2 shown]
	v_add_u32_e32 v12, v4, v3
	v_mov_b32_e32 v10, s7
	v_add_co_u32_e32 v13, vcc, s5, v12
	v_addc_co_u32_e32 v10, vcc, 0, v10, vcc
	v_subrev_co_u32_e32 v11, vcc, s30, v12
	v_mov_b32_e32 v14, s8
	v_add_co_u32_e64 v15, s[0:1], s4, v11
	v_addc_co_u32_e64 v11, s[0:1], 0, v14, s[0:1]
	v_add_u32_e32 v14, v12, v3
	v_cndmask_b32_e32 v11, v11, v10, vcc
	v_cndmask_b32_e32 v10, v15, v13, vcc
	v_mov_b32_e32 v12, s7
	v_add_co_u32_e32 v15, vcc, s5, v14
	v_addc_co_u32_e32 v12, vcc, 0, v12, vcc
	v_subrev_co_u32_e32 v13, vcc, s30, v14
	v_mov_b32_e32 v16, s8
	v_add_co_u32_e64 v17, s[0:1], s4, v13
	v_addc_co_u32_e64 v13, s[0:1], 0, v16, s[0:1]
	v_add_u32_e32 v16, v14, v3
	v_cndmask_b32_e32 v13, v13, v12, vcc
	v_cndmask_b32_e32 v12, v17, v15, vcc
	;; [unrolled: 10-line block ×4, first 2 shown]
	v_mov_b32_e32 v19, s7
	v_add_co_u32_e32 v20, vcc, s5, v18
	v_addc_co_u32_e32 v19, vcc, 0, v19, vcc
	v_subrev_co_u32_e32 v18, vcc, s30, v18
	v_mov_b32_e32 v21, s8
	v_add_co_u32_e64 v18, s[0:1], s4, v18
	v_addc_co_u32_e64 v21, s[0:1], 0, v21, s[0:1]
	v_cndmask_b32_e32 v19, v21, v19, vcc
	v_cndmask_b32_e32 v18, v18, v20, vcc
	global_load_ubyte v20, v[1:2], off
	global_load_ubyte v21, v[6:7], off
	;; [unrolled: 1-line block ×8, first 2 shown]
	s_mov_b32 s0, 0xc0c0004
	s_add_i32 s21, s31, s30
	s_waitcnt vmcnt(6)
	v_perm_b32 v1, v20, v21, s0
	s_waitcnt vmcnt(4)
	v_perm_b32 v2, v22, v23, s0
	v_lshl_or_b32 v1, v2, 16, v1
	s_waitcnt vmcnt(2)
	v_perm_b32 v2, v24, v25, s0
	s_waitcnt vmcnt(0)
	v_perm_b32 v6, v26, v27, s0
	v_lshl_or_b32 v2, v6, 16, v2
	s_cbranch_execz .LBB8_4
	s_branch .LBB8_19
.LBB8_3:
                                        ; implicit-def: $vgpr1_vgpr2
                                        ; implicit-def: $sgpr21
.LBB8_4:
	s_add_i32 s21, s31, s30
	v_mov_b32_e32 v1, 0
	v_cmp_gt_u32_e32 vcc, s21, v0
	s_mov_b32 s6, 0
	v_mov_b32_e32 v2, v1
	s_and_saveexec_b64 s[2:3], vcc
	s_cbranch_execnz .LBB8_110
; %bb.5:
	s_or_b64 exec, exec, s[2:3]
	v_cmp_gt_u32_e32 vcc, s21, v5
	s_and_saveexec_b64 s[2:3], vcc
	s_cbranch_execnz .LBB8_111
.LBB8_6:
	s_or_b64 exec, exec, s[2:3]
	v_cmp_gt_u32_e32 vcc, s21, v4
	s_and_saveexec_b64 s[2:3], vcc
	s_cbranch_execz .LBB8_8
.LBB8_7:
	v_mov_b32_e32 v5, s7
	v_add_co_u32_e32 v7, vcc, s5, v4
	v_addc_co_u32_e32 v5, vcc, 0, v5, vcc
	v_subrev_co_u32_e32 v6, vcc, s30, v4
	v_mov_b32_e32 v8, s8
	v_add_co_u32_e64 v9, s[0:1], s4, v6
	v_addc_co_u32_e64 v6, s[0:1], 0, v8, s[0:1]
	v_cndmask_b32_e32 v6, v6, v5, vcc
	v_cndmask_b32_e32 v5, v9, v7, vcc
	global_load_ubyte v5, v[5:6], off
	s_mov_b32 s0, 0xc0c0304
	s_waitcnt vmcnt(0)
	v_perm_b32 v5, v5, v1, s0
	v_lshlrev_b32_e32 v5, 16, v5
	s_mov_b32 s0, 0xffff
	v_and_or_b32 v1, v1, s0, v5
.LBB8_8:
	s_or_b64 exec, exec, s[2:3]
	v_add_u32_e32 v4, v4, v3
	v_cmp_gt_u32_e32 vcc, s21, v4
	s_and_saveexec_b64 s[2:3], vcc
	s_cbranch_execz .LBB8_10
; %bb.9:
	v_mov_b32_e32 v5, s7
	v_add_co_u32_e32 v7, vcc, s5, v4
	v_addc_co_u32_e32 v5, vcc, 0, v5, vcc
	v_subrev_co_u32_e32 v6, vcc, s30, v4
	v_mov_b32_e32 v8, s8
	v_add_co_u32_e64 v9, s[0:1], s4, v6
	v_addc_co_u32_e64 v6, s[0:1], 0, v8, s[0:1]
	v_cndmask_b32_e32 v6, v6, v5, vcc
	v_cndmask_b32_e32 v5, v9, v7, vcc
	global_load_ubyte v5, v[5:6], off
	s_mov_b32 s0, 0xc0c0006
	s_waitcnt vmcnt(0)
	v_perm_b32 v5, v1, v5, s0
	v_lshlrev_b32_e32 v5, 16, v5
	s_mov_b32 s0, 0xffff
	v_and_or_b32 v1, v1, s0, v5
.LBB8_10:
	s_or_b64 exec, exec, s[2:3]
	v_add_u32_e32 v4, v4, v3
	v_cmp_gt_u32_e32 vcc, s21, v4
	s_and_saveexec_b64 s[2:3], vcc
	s_cbranch_execz .LBB8_12
; %bb.11:
	v_mov_b32_e32 v5, s7
	v_add_co_u32_e32 v7, vcc, s5, v4
	v_addc_co_u32_e32 v5, vcc, 0, v5, vcc
	v_subrev_co_u32_e32 v6, vcc, s30, v4
	v_mov_b32_e32 v8, s8
	v_add_co_u32_e64 v9, s[0:1], s4, v6
	v_addc_co_u32_e64 v6, s[0:1], 0, v8, s[0:1]
	v_cndmask_b32_e32 v6, v6, v5, vcc
	v_cndmask_b32_e32 v5, v9, v7, vcc
	global_load_ubyte v5, v[5:6], off
	s_mov_b32 s0, 0x3020104
	s_waitcnt vmcnt(0)
	v_perm_b32 v2, v5, v2, s0
.LBB8_12:
	s_or_b64 exec, exec, s[2:3]
	v_add_u32_e32 v4, v4, v3
	v_cmp_gt_u32_e32 vcc, s21, v4
	s_and_saveexec_b64 s[2:3], vcc
	s_cbranch_execz .LBB8_14
; %bb.13:
	v_mov_b32_e32 v5, s7
	v_add_co_u32_e32 v7, vcc, s5, v4
	v_addc_co_u32_e32 v5, vcc, 0, v5, vcc
	v_subrev_co_u32_e32 v6, vcc, s30, v4
	v_mov_b32_e32 v8, s8
	v_add_co_u32_e64 v9, s[0:1], s4, v6
	v_addc_co_u32_e64 v6, s[0:1], 0, v8, s[0:1]
	v_cndmask_b32_e32 v6, v6, v5, vcc
	v_cndmask_b32_e32 v5, v9, v7, vcc
	global_load_ubyte v5, v[5:6], off
	s_mov_b32 s0, 0x7060004
	s_waitcnt vmcnt(0)
	v_perm_b32 v2, v2, v5, s0
.LBB8_14:
	;; [unrolled: 20-line block ×4, first 2 shown]
	s_or_b64 exec, exec, s[2:3]
.LBB8_19:
	v_lshrrev_b32_e32 v3, 8, v1
	ds_write_b8 v0, v1
	ds_write_b8 v0, v3 offset:128
	ds_write_b8_d16_hi v0, v1 offset:256
	v_lshrrev_b32_e32 v3, 24, v1
	ds_write_b8 v0, v3 offset:384
	ds_write_b8 v0, v2 offset:512
	v_lshrrev_b32_e32 v3, 8, v2
	v_lshlrev_b32_e32 v7, 3, v0
	ds_write_b8 v0, v3 offset:640
	ds_write_b8_d16_hi v0, v2 offset:768
	v_lshrrev_b32_e32 v3, 24, v2
	v_min_u32_e32 v4, s21, v7
	ds_write_b8 v0, v3 offset:896
	v_sub_u32_e64 v3, v4, s31 clamp
	v_min_u32_e32 v5, s30, v4
	v_cmp_lt_u32_e32 vcc, v3, v5
	s_waitcnt lgkmcnt(0)
	s_barrier
	s_and_saveexec_b64 s[0:1], vcc
	s_cbranch_execz .LBB8_23
; %bb.20:
	v_add_u32_e32 v6, s30, v4
	s_mov_b64 s[2:3], 0
.LBB8_21:                               ; =>This Inner Loop Header: Depth=1
	v_add_u32_e32 v8, v5, v3
	v_lshrrev_b32_e32 v8, 1, v8
	v_xad_u32 v9, v8, -1, v6
	ds_read_u8 v10, v8
	ds_read_u8 v9, v9
	v_add_u32_e32 v11, 1, v8
	s_waitcnt lgkmcnt(1)
	v_and_b32_e32 v10, s23, v10
	s_waitcnt lgkmcnt(0)
	v_and_b32_e32 v9, s23, v9
	v_cmp_gt_u16_sdwa vcc, v9, v10 src0_sel:BYTE_0 src1_sel:BYTE_0
	v_cndmask_b32_e32 v5, v5, v8, vcc
	v_cndmask_b32_e32 v3, v11, v3, vcc
	v_cmp_ge_u32_e32 vcc, v3, v5
	s_or_b64 s[2:3], vcc, s[2:3]
	s_andn2_b64 exec, exec, s[2:3]
	s_cbranch_execnz .LBB8_21
; %bb.22:
	s_or_b64 exec, exec, s[2:3]
.LBB8_23:
	s_or_b64 exec, exec, s[0:1]
	v_sub_u32_e32 v4, v4, v3
	v_add_u32_e32 v4, s30, v4
	v_cmp_ge_u32_e32 vcc, s30, v3
	v_cmp_ge_u32_e64 s[0:1], s21, v4
	s_or_b64 s[0:1], vcc, s[0:1]
	v_mov_b32_e32 v8, 0
	v_mov_b32_e32 v9, 0
	;; [unrolled: 1-line block ×8, first 2 shown]
	s_and_saveexec_b64 s[12:13], s[0:1]
	s_cbranch_execz .LBB8_29
; %bb.24:
	v_cmp_gt_u32_e32 vcc, s30, v3
                                        ; implicit-def: $vgpr1
	s_and_saveexec_b64 s[0:1], vcc
; %bb.25:
	ds_read_u8 v1, v3
; %bb.26:
	s_or_b64 exec, exec, s[0:1]
	v_cmp_le_u32_e64 s[0:1], s21, v4
	v_cmp_gt_u32_e64 s[2:3], s21, v4
                                        ; implicit-def: $vgpr2
	s_and_saveexec_b64 s[4:5], s[2:3]
; %bb.27:
	ds_read_u8 v2, v4
; %bb.28:
	s_or_b64 exec, exec, s[4:5]
	s_waitcnt lgkmcnt(0)
	v_and_b32_e32 v5, s23, v2
	v_and_b32_e32 v6, s23, v1
	v_cmp_le_u16_sdwa s[2:3], v5, v6 src0_sel:BYTE_0 src1_sel:BYTE_0
	s_and_b64 s[2:3], vcc, s[2:3]
	s_or_b64 vcc, s[0:1], s[2:3]
	v_mov_b32_e32 v5, s21
	v_mov_b32_e32 v6, s30
	v_cndmask_b32_e32 v15, v4, v3, vcc
	v_cndmask_b32_e32 v8, v5, v6, vcc
	v_add_u32_e32 v9, 1, v15
	v_add_u32_e32 v8, -1, v8
	v_min_u32_e32 v8, v9, v8
	ds_read_u8 v8, v8
	v_cndmask_b32_e32 v4, v9, v4, vcc
	v_cndmask_b32_e32 v3, v3, v9, vcc
	v_cmp_gt_u32_e64 s[2:3], s30, v3
	v_cmp_le_u32_e64 s[0:1], s21, v4
	s_waitcnt lgkmcnt(0)
	v_cndmask_b32_e32 v16, v8, v2, vcc
	v_cndmask_b32_e32 v8, v1, v8, vcc
	v_and_b32_e32 v9, s23, v16
	v_and_b32_e32 v10, s23, v8
	v_cmp_le_u16_sdwa s[4:5], v9, v10 src0_sel:BYTE_0 src1_sel:BYTE_0
	s_and_b64 s[2:3], s[2:3], s[4:5]
	s_or_b64 s[0:1], s[0:1], s[2:3]
	v_cndmask_b32_e64 v14, v4, v3, s[0:1]
	v_cndmask_b32_e64 v9, v5, v6, s[0:1]
	v_add_u32_e32 v10, 1, v14
	v_add_u32_e32 v9, -1, v9
	v_min_u32_e32 v9, v10, v9
	ds_read_u8 v9, v9
	v_cndmask_b32_e64 v4, v10, v4, s[0:1]
	v_cndmask_b32_e64 v3, v3, v10, s[0:1]
	v_cmp_gt_u32_e64 s[4:5], s30, v3
	v_cmp_le_u32_e64 s[2:3], s21, v4
	s_waitcnt lgkmcnt(0)
	v_cndmask_b32_e64 v17, v9, v16, s[0:1]
	v_cndmask_b32_e64 v9, v8, v9, s[0:1]
	v_and_b32_e32 v10, s23, v17
	v_and_b32_e32 v11, s23, v9
	v_cmp_le_u16_sdwa s[6:7], v10, v11 src0_sel:BYTE_0 src1_sel:BYTE_0
	s_and_b64 s[4:5], s[4:5], s[6:7]
	s_or_b64 s[2:3], s[2:3], s[4:5]
	v_cndmask_b32_e64 v13, v4, v3, s[2:3]
	v_cndmask_b32_e64 v10, v5, v6, s[2:3]
	v_add_u32_e32 v11, 1, v13
	v_add_u32_e32 v10, -1, v10
	v_min_u32_e32 v10, v11, v10
	ds_read_u8 v10, v10
	v_cndmask_b32_e64 v4, v11, v4, s[2:3]
	v_cndmask_b32_e64 v3, v3, v11, s[2:3]
	v_cmp_gt_u32_e64 s[6:7], s30, v3
	v_cmp_le_u32_e64 s[4:5], s21, v4
	s_waitcnt lgkmcnt(0)
	v_cndmask_b32_e64 v18, v10, v17, s[2:3]
	v_cndmask_b32_e64 v19, v9, v10, s[2:3]
	;; [unrolled: 18-line block ×4, first 2 shown]
	v_and_b32_e32 v10, s23, v23
	v_and_b32_e32 v22, s23, v24
	v_cmp_le_u16_sdwa s[34:35], v10, v22 src0_sel:BYTE_0 src1_sel:BYTE_0
	s_and_b64 s[10:11], s[10:11], s[34:35]
	s_or_b64 s[8:9], s[8:9], s[10:11]
	v_cndmask_b32_e64 v10, v4, v3, s[8:9]
	v_cndmask_b32_e64 v22, v5, v6, s[8:9]
	v_add_u32_e32 v25, 1, v10
	v_add_u32_e32 v22, -1, v22
	v_min_u32_e32 v22, v25, v22
	ds_read_u8 v22, v22
	v_cndmask_b32_e32 v1, v2, v1, vcc
	v_cndmask_b32_e64 v16, v16, v8, s[0:1]
	v_cndmask_b32_e64 v17, v17, v9, s[2:3]
	;; [unrolled: 1-line block ×3, first 2 shown]
	s_waitcnt lgkmcnt(0)
	v_cndmask_b32_e64 v2, v22, v23, s[8:9]
	v_cndmask_b32_e64 v8, v24, v22, s[8:9]
	v_and_b32_e32 v9, s23, v2
	v_and_b32_e32 v22, s23, v8
	v_cndmask_b32_e64 v4, v25, v4, s[8:9]
	v_cmp_gt_u32_e64 s[0:1], s30, v3
	v_cmp_le_u16_sdwa s[2:3], v9, v22 src0_sel:BYTE_0 src1_sel:BYTE_0
	v_cmp_le_u32_e32 vcc, s21, v4
	s_and_b64 s[0:1], s[0:1], s[2:3]
	s_or_b64 vcc, vcc, s[0:1]
	v_cndmask_b32_e32 v9, v4, v3, vcc
	v_cndmask_b32_e32 v5, v5, v6, vcc
	v_add_u32_e32 v6, 1, v9
	v_add_u32_e32 v5, -1, v5
	v_min_u32_e32 v5, v6, v5
	ds_read_u8 v5, v5
	v_cndmask_b32_e64 v18, v18, v19, s[4:5]
	v_cndmask_b32_e64 v19, v20, v21, s[6:7]
	v_cndmask_b32_e32 v21, v2, v8, vcc
	v_cndmask_b32_e32 v4, v6, v4, vcc
	s_waitcnt lgkmcnt(0)
	v_cndmask_b32_e32 v2, v5, v2, vcc
	v_cndmask_b32_e32 v5, v8, v5, vcc
	;; [unrolled: 1-line block ×3, first 2 shown]
	v_and_b32_e32 v6, s23, v2
	v_and_b32_e32 v8, s23, v5
	v_cmp_gt_u32_e64 s[0:1], s30, v3
	v_cmp_le_u16_sdwa s[2:3], v6, v8 src0_sel:BYTE_0 src1_sel:BYTE_0
	v_cmp_le_u32_e32 vcc, s21, v4
	s_and_b64 s[0:1], s[0:1], s[2:3]
	s_or_b64 vcc, vcc, s[0:1]
	v_cndmask_b32_e64 v20, v23, v24, s[8:9]
	v_cndmask_b32_e32 v2, v2, v5, vcc
	v_cndmask_b32_e32 v8, v4, v3, vcc
	v_lshlrev_b16_e32 v2, 8, v2
	v_lshlrev_b16_e32 v3, 8, v20
	v_or_b32_sdwa v2, v21, v2 dst_sel:WORD_1 dst_unused:UNUSED_PAD src0_sel:BYTE_0 src1_sel:DWORD
	v_or_b32_sdwa v3, v19, v3 dst_sel:DWORD dst_unused:UNUSED_PAD src0_sel:BYTE_0 src1_sel:DWORD
	v_or_b32_sdwa v2, v3, v2 dst_sel:DWORD dst_unused:UNUSED_PAD src0_sel:WORD_0 src1_sel:DWORD
	v_lshlrev_b16_e32 v3, 8, v18
	v_lshlrev_b16_e32 v4, 8, v16
	v_or_b32_sdwa v3, v17, v3 dst_sel:WORD_1 dst_unused:UNUSED_PAD src0_sel:BYTE_0 src1_sel:DWORD
	v_or_b32_sdwa v1, v1, v4 dst_sel:DWORD dst_unused:UNUSED_PAD src0_sel:BYTE_0 src1_sel:DWORD
	v_or_b32_sdwa v1, v1, v3 dst_sel:DWORD dst_unused:UNUSED_PAD src0_sel:WORD_0 src1_sel:DWORD
.LBB8_29:
	s_or_b64 exec, exec, s[12:13]
	s_lshl_b64 s[0:1], s[26:27], 3
	s_add_u32 s8, s16, s0
	s_addc_u32 s9, s17, s1
	s_lshl_b64 s[0:1], s[28:29], 3
	s_add_u32 s6, s16, s0
	v_cndmask_b32_e64 v3, 0, 1, s[24:25]
	s_addc_u32 s7, s17, s1
	v_cmp_gt_u32_e64 s[4:5], s30, v0
	v_cmp_ne_u32_e64 s[0:1], 1, v3
	s_andn2_b64 vcc, exec, s[24:25]
	v_cmp_le_u32_e64 s[2:3], s30, v0
	s_barrier
	s_cbranch_vccnz .LBB8_31
; %bb.30:
	v_mov_b32_e32 v3, s9
	v_add_co_u32_e32 v5, vcc, s8, v7
	v_subrev_u32_e32 v4, s30, v0
	v_addc_co_u32_e32 v3, vcc, 0, v3, vcc
	v_lshlrev_b32_e32 v4, 3, v4
	v_mov_b32_e32 v6, s7
	v_add_co_u32_e32 v16, vcc, s6, v4
	v_addc_co_u32_e32 v4, vcc, 0, v6, vcc
	v_cndmask_b32_e64 v4, v4, v3, s[4:5]
	v_cndmask_b32_e64 v3, v16, v5, s[4:5]
	v_or_b32_e32 v5, 0x80, v0
	v_subrev_u32_e32 v6, s30, v5
	v_min_u32_e32 v6, v5, v6
	v_cmp_gt_u32_e32 vcc, s30, v5
	v_mov_b32_e32 v28, s6
	v_mov_b32_e32 v29, s8
	;; [unrolled: 1-line block ×4, first 2 shown]
	v_cndmask_b32_e32 v5, v28, v29, vcc
	v_lshlrev_b32_e32 v6, 3, v6
	v_cndmask_b32_e32 v16, v26, v27, vcc
	v_add_co_u32_e32 v5, vcc, v5, v6
	v_addc_co_u32_e32 v6, vcc, 0, v16, vcc
	v_or_b32_e32 v16, 0x100, v0
	v_subrev_u32_e32 v17, s30, v16
	v_min_u32_e32 v17, v16, v17
	v_cmp_gt_u32_e32 vcc, s30, v16
	v_cndmask_b32_e32 v16, v28, v29, vcc
	v_lshlrev_b32_e32 v17, 3, v17
	v_cndmask_b32_e32 v18, v26, v27, vcc
	v_add_co_u32_e32 v16, vcc, v16, v17
	v_addc_co_u32_e32 v17, vcc, 0, v18, vcc
	v_or_b32_e32 v18, 0x180, v0
	v_subrev_u32_e32 v19, s30, v18
	v_min_u32_e32 v19, v18, v19
	v_cmp_gt_u32_e32 vcc, s30, v18
	;; [unrolled: 9-line block ×5, first 2 shown]
	global_load_dwordx2 v[3:4], v[3:4], off
	v_cndmask_b32_e32 v24, v28, v29, vcc
	global_load_dwordx2 v[5:6], v[5:6], off
	v_lshlrev_b32_e32 v25, 3, v25
	global_load_dwordx2 v[16:17], v[16:17], off
	v_cndmask_b32_e32 v30, v26, v27, vcc
	global_load_dwordx2 v[18:19], v[18:19], off
	v_add_co_u32_e32 v24, vcc, v24, v25
	global_load_dwordx2 v[20:21], v[20:21], off
	v_addc_co_u32_e32 v25, vcc, 0, v30, vcc
	global_load_dwordx2 v[22:23], v[22:23], off
	s_nop 0
	global_load_dwordx2 v[24:25], v[24:25], off
	s_mov_b64 s[4:5], -1
	s_waitcnt vmcnt(5)
	ds_write2st64_b64 v7, v[3:4], v[5:6] offset1:2
	s_waitcnt vmcnt(3)
	ds_write2st64_b64 v7, v[16:17], v[18:19] offset0:4 offset1:6
	s_waitcnt vmcnt(1)
	ds_write2st64_b64 v7, v[20:21], v[22:23] offset0:8 offset1:10
	s_waitcnt vmcnt(0)
	ds_write_b64 v7, v[24:25] offset:6144
	v_or_b32_e32 v16, 0x380, v0
	v_subrev_u32_e32 v3, s30, v16
	v_cmp_gt_u32_e32 vcc, s30, v16
	v_min_u32_e32 v5, v16, v3
	v_cndmask_b32_e32 v4, v26, v27, vcc
	v_cndmask_b32_e32 v3, v28, v29, vcc
	s_cbranch_execz .LBB8_32
	s_branch .LBB8_65
.LBB8_31:
	s_mov_b64 s[4:5], 0
                                        ; implicit-def: $vgpr16
                                        ; implicit-def: $vgpr3_vgpr4
                                        ; implicit-def: $vgpr5
.LBB8_32:
	s_and_saveexec_b64 s[4:5], s[2:3]
	s_xor_b64 s[2:3], exec, s[4:5]
	s_cbranch_execz .LBB8_36
; %bb.33:
	v_subrev_u32_e32 v3, s30, v0
	v_cmp_gt_u32_e32 vcc, s31, v3
	s_and_saveexec_b64 s[4:5], vcc
	s_cbranch_execz .LBB8_35
; %bb.34:
	v_lshlrev_b32_e32 v3, 3, v3
	global_load_dwordx2 v[3:4], v3, s[6:7]
	s_waitcnt vmcnt(0)
	ds_write_b64 v7, v[3:4]
.LBB8_35:
	s_or_b64 exec, exec, s[4:5]
.LBB8_36:
	s_or_saveexec_b64 s[2:3], s[2:3]
	v_mad_u32_u24 v5, v0, 7, v0
	s_xor_b64 exec, exec, s[2:3]
	s_cbranch_execz .LBB8_38
; %bb.37:
	global_load_dwordx2 v[3:4], v7, s[8:9]
	s_waitcnt vmcnt(0)
	ds_write_b64 v5, v[3:4]
.LBB8_38:
	s_or_b64 exec, exec, s[2:3]
	v_or_b32_e32 v6, 0x80, v0
	v_mov_b32_e32 v3, s26
	v_cmp_le_u32_e32 vcc, s30, v6
	s_mov_b64 s[2:3], -1
	v_mov_b32_e32 v4, s27
	s_and_saveexec_b64 s[4:5], vcc
; %bb.39:
	v_subrev_u32_e32 v6, s30, v6
	v_cmp_gt_u32_e32 vcc, s31, v6
	v_mov_b32_e32 v3, s28
	v_mov_b32_e32 v4, s29
	s_orn2_b64 s[2:3], vcc, exec
; %bb.40:
	s_or_b64 exec, exec, s[4:5]
	s_and_saveexec_b64 s[4:5], s[2:3]
	s_cbranch_execz .LBB8_42
; %bb.41:
	v_lshlrev_b64 v[3:4], 3, v[3:4]
	v_mov_b32_e32 v16, s17
	v_add_co_u32_e32 v3, vcc, s16, v3
	v_addc_co_u32_e32 v4, vcc, v16, v4, vcc
	v_lshlrev_b32_e32 v6, 3, v6
	v_add_co_u32_e32 v3, vcc, v3, v6
	v_addc_co_u32_e32 v4, vcc, 0, v4, vcc
	global_load_dwordx2 v[3:4], v[3:4], off
	s_waitcnt vmcnt(0)
	ds_write_b64 v5, v[3:4] offset:1024
.LBB8_42:
	s_or_b64 exec, exec, s[4:5]
	v_or_b32_e32 v6, 0x100, v0
	v_mov_b32_e32 v3, s26
	v_cmp_le_u32_e32 vcc, s30, v6
	s_mov_b64 s[2:3], -1
	v_mov_b32_e32 v4, s27
	s_and_saveexec_b64 s[4:5], vcc
; %bb.43:
	v_subrev_u32_e32 v6, s30, v6
	v_cmp_gt_u32_e32 vcc, s31, v6
	v_mov_b32_e32 v3, s28
	v_mov_b32_e32 v4, s29
	s_orn2_b64 s[2:3], vcc, exec
; %bb.44:
	s_or_b64 exec, exec, s[4:5]
	s_and_saveexec_b64 s[4:5], s[2:3]
	s_cbranch_execz .LBB8_46
; %bb.45:
	v_lshlrev_b64 v[3:4], 3, v[3:4]
	v_mov_b32_e32 v16, s17
	v_add_co_u32_e32 v3, vcc, s16, v3
	v_addc_co_u32_e32 v4, vcc, v16, v4, vcc
	v_lshlrev_b32_e32 v6, 3, v6
	v_add_co_u32_e32 v3, vcc, v3, v6
	v_addc_co_u32_e32 v4, vcc, 0, v4, vcc
	global_load_dwordx2 v[3:4], v[3:4], off
	s_waitcnt vmcnt(0)
	ds_write_b64 v5, v[3:4] offset:2048
.LBB8_46:
	s_or_b64 exec, exec, s[4:5]
	v_or_b32_e32 v6, 0x180, v0
	v_mov_b32_e32 v3, s26
	v_cmp_le_u32_e32 vcc, s30, v6
	s_mov_b64 s[2:3], -1
	v_mov_b32_e32 v4, s27
	s_and_saveexec_b64 s[4:5], vcc
; %bb.47:
	v_subrev_u32_e32 v6, s30, v6
	v_cmp_gt_u32_e32 vcc, s31, v6
	v_mov_b32_e32 v3, s28
	v_mov_b32_e32 v4, s29
	s_orn2_b64 s[2:3], vcc, exec
; %bb.48:
	s_or_b64 exec, exec, s[4:5]
	s_and_saveexec_b64 s[4:5], s[2:3]
	s_cbranch_execz .LBB8_50
; %bb.49:
	v_lshlrev_b64 v[3:4], 3, v[3:4]
	v_mov_b32_e32 v16, s17
	v_add_co_u32_e32 v3, vcc, s16, v3
	v_addc_co_u32_e32 v4, vcc, v16, v4, vcc
	v_lshlrev_b32_e32 v6, 3, v6
	v_add_co_u32_e32 v3, vcc, v3, v6
	v_addc_co_u32_e32 v4, vcc, 0, v4, vcc
	global_load_dwordx2 v[3:4], v[3:4], off
	s_waitcnt vmcnt(0)
	ds_write_b64 v5, v[3:4] offset:3072
.LBB8_50:
	s_or_b64 exec, exec, s[4:5]
	v_or_b32_e32 v6, 0x200, v0
	v_mov_b32_e32 v3, s26
	v_cmp_le_u32_e32 vcc, s30, v6
	s_mov_b64 s[2:3], -1
	v_mov_b32_e32 v4, s27
	s_and_saveexec_b64 s[4:5], vcc
; %bb.51:
	v_subrev_u32_e32 v6, s30, v6
	v_cmp_gt_u32_e32 vcc, s31, v6
	v_mov_b32_e32 v3, s28
	v_mov_b32_e32 v4, s29
	s_orn2_b64 s[2:3], vcc, exec
; %bb.52:
	s_or_b64 exec, exec, s[4:5]
	s_and_saveexec_b64 s[4:5], s[2:3]
	s_cbranch_execz .LBB8_54
; %bb.53:
	v_lshlrev_b64 v[3:4], 3, v[3:4]
	v_mov_b32_e32 v16, s17
	v_add_co_u32_e32 v3, vcc, s16, v3
	v_addc_co_u32_e32 v4, vcc, v16, v4, vcc
	v_lshlrev_b32_e32 v6, 3, v6
	v_add_co_u32_e32 v3, vcc, v3, v6
	v_addc_co_u32_e32 v4, vcc, 0, v4, vcc
	global_load_dwordx2 v[3:4], v[3:4], off
	s_waitcnt vmcnt(0)
	ds_write_b64 v5, v[3:4] offset:4096
.LBB8_54:
	s_or_b64 exec, exec, s[4:5]
	v_or_b32_e32 v6, 0x280, v0
	v_mov_b32_e32 v3, s26
	v_cmp_le_u32_e32 vcc, s30, v6
	s_mov_b64 s[2:3], -1
	v_mov_b32_e32 v4, s27
	s_and_saveexec_b64 s[4:5], vcc
; %bb.55:
	v_subrev_u32_e32 v6, s30, v6
	v_cmp_gt_u32_e32 vcc, s31, v6
	v_mov_b32_e32 v3, s28
	v_mov_b32_e32 v4, s29
	s_orn2_b64 s[2:3], vcc, exec
; %bb.56:
	s_or_b64 exec, exec, s[4:5]
	s_and_saveexec_b64 s[4:5], s[2:3]
	s_cbranch_execz .LBB8_58
; %bb.57:
	v_lshlrev_b64 v[3:4], 3, v[3:4]
	v_mov_b32_e32 v16, s17
	v_add_co_u32_e32 v3, vcc, s16, v3
	v_addc_co_u32_e32 v4, vcc, v16, v4, vcc
	v_lshlrev_b32_e32 v6, 3, v6
	v_add_co_u32_e32 v3, vcc, v3, v6
	v_addc_co_u32_e32 v4, vcc, 0, v4, vcc
	global_load_dwordx2 v[3:4], v[3:4], off
	s_waitcnt vmcnt(0)
	ds_write_b64 v5, v[3:4] offset:5120
.LBB8_58:
	s_or_b64 exec, exec, s[4:5]
	v_or_b32_e32 v5, 0x300, v0
	v_mov_b32_e32 v3, s26
	v_cmp_le_u32_e32 vcc, s30, v5
	s_mov_b64 s[2:3], -1
	v_mov_b32_e32 v4, s27
	s_and_saveexec_b64 s[4:5], vcc
; %bb.59:
	v_subrev_u32_e32 v5, s30, v5
	v_cmp_gt_u32_e32 vcc, s31, v5
	v_mov_b32_e32 v3, s28
	v_mov_b32_e32 v4, s29
	s_orn2_b64 s[2:3], vcc, exec
; %bb.60:
	s_or_b64 exec, exec, s[4:5]
	s_and_saveexec_b64 s[4:5], s[2:3]
	s_cbranch_execz .LBB8_62
; %bb.61:
	v_lshlrev_b64 v[3:4], 3, v[3:4]
	v_mov_b32_e32 v6, s17
	v_add_co_u32_e32 v3, vcc, s16, v3
	v_addc_co_u32_e32 v4, vcc, v6, v4, vcc
	v_lshlrev_b32_e32 v5, 3, v5
	v_add_co_u32_e32 v3, vcc, v3, v5
	v_addc_co_u32_e32 v4, vcc, 0, v4, vcc
	global_load_dwordx2 v[3:4], v[3:4], off
	s_waitcnt vmcnt(0)
	ds_write_b64 v7, v[3:4] offset:6144
.LBB8_62:
	s_or_b64 exec, exec, s[4:5]
	v_or_b32_e32 v16, 0x380, v0
	v_mov_b32_e32 v3, s8
	v_cmp_le_u32_e32 vcc, s30, v16
	s_mov_b64 s[4:5], -1
	v_mov_b32_e32 v4, s9
	v_mov_b32_e32 v5, v16
	s_and_saveexec_b64 s[2:3], vcc
; %bb.63:
	v_subrev_u32_e32 v5, s30, v16
	v_cmp_gt_u32_e32 vcc, s31, v5
	v_mov_b32_e32 v3, s6
	v_mov_b32_e32 v4, s7
	s_orn2_b64 s[4:5], vcc, exec
; %bb.64:
	s_or_b64 exec, exec, s[2:3]
.LBB8_65:
	s_and_saveexec_b64 s[2:3], s[4:5]
	s_cbranch_execz .LBB8_67
; %bb.66:
	v_mov_b32_e32 v6, 0
	v_lshlrev_b64 v[5:6], 3, v[5:6]
	v_add_co_u32_e32 v3, vcc, v3, v5
	v_addc_co_u32_e32 v4, vcc, v4, v6, vcc
	global_load_dwordx2 v[3:4], v[3:4], off
	v_lshlrev_b32_e32 v5, 3, v16
	s_waitcnt vmcnt(0)
	ds_write_b64 v5, v[3:4]
.LBB8_67:
	s_or_b64 exec, exec, s[2:3]
	s_and_b64 vcc, exec, s[0:1]
	v_add_u32_e32 v3, s22, v7
	s_waitcnt lgkmcnt(0)
	s_barrier
	s_cbranch_vccnz .LBB8_69
; %bb.68:
	v_lshlrev_b32_e32 v16, 3, v15
	v_lshlrev_b32_e32 v18, 3, v14
	;; [unrolled: 1-line block ×7, first 2 shown]
	v_mov_b32_e32 v4, 0
	ds_read_b64 v[16:17], v16
	ds_read_b64 v[18:19], v18
	;; [unrolled: 1-line block ×7, first 2 shown]
	v_lshlrev_b64 v[5:6], 3, v[3:4]
	v_mov_b32_e32 v30, s19
	v_add_co_u32_e32 v5, vcc, s18, v5
	v_addc_co_u32_e32 v6, vcc, v30, v6, vcc
	s_mov_b64 s[0:1], -1
	s_waitcnt lgkmcnt(5)
	global_store_dwordx4 v[5:6], v[16:19], off
	s_waitcnt lgkmcnt(3)
	global_store_dwordx4 v[5:6], v[20:23], off offset:16
	s_waitcnt lgkmcnt(1)
	global_store_dwordx4 v[5:6], v[24:27], off offset:32
	s_waitcnt lgkmcnt(0)
	global_store_dwordx2 v[5:6], v[28:29], off offset:48
	s_cbranch_execz .LBB8_70
	s_branch .LBB8_87
.LBB8_69:
	s_mov_b64 s[0:1], 0
.LBB8_70:
	v_cmp_gt_u32_e32 vcc, s21, v7
	s_and_saveexec_b64 s[2:3], vcc
	s_cbranch_execz .LBB8_72
; %bb.71:
	v_lshlrev_b32_e32 v6, 3, v15
	v_mov_b32_e32 v4, 0
	ds_read_b64 v[15:16], v6
	v_lshlrev_b64 v[4:5], 3, v[3:4]
	v_mov_b32_e32 v17, s19
	v_add_co_u32_e32 v4, vcc, s18, v4
	v_addc_co_u32_e32 v5, vcc, v17, v5, vcc
	s_waitcnt lgkmcnt(0)
	global_store_dwordx2 v[4:5], v[15:16], off
.LBB8_72:
	s_or_b64 exec, exec, s[2:3]
	v_or_b32_e32 v4, 1, v7
	v_cmp_gt_u32_e32 vcc, s21, v4
	s_and_saveexec_b64 s[2:3], vcc
	s_cbranch_execz .LBB8_74
; %bb.73:
	v_lshlrev_b32_e32 v6, 3, v14
	v_mov_b32_e32 v4, 0
	ds_read_b64 v[14:15], v6
	v_lshlrev_b64 v[4:5], 3, v[3:4]
	v_mov_b32_e32 v16, s19
	v_add_co_u32_e32 v4, vcc, s18, v4
	v_addc_co_u32_e32 v5, vcc, v16, v5, vcc
	s_waitcnt lgkmcnt(0)
	global_store_dwordx2 v[4:5], v[14:15], off offset:8
.LBB8_74:
	s_or_b64 exec, exec, s[2:3]
	v_or_b32_e32 v4, 2, v7
	v_cmp_gt_u32_e32 vcc, s21, v4
	s_and_saveexec_b64 s[2:3], vcc
	s_cbranch_execz .LBB8_76
; %bb.75:
	v_lshlrev_b32_e32 v6, 3, v13
	v_mov_b32_e32 v4, 0
	ds_read_b64 v[13:14], v6
	v_lshlrev_b64 v[4:5], 3, v[3:4]
	v_mov_b32_e32 v15, s19
	v_add_co_u32_e32 v4, vcc, s18, v4
	v_addc_co_u32_e32 v5, vcc, v15, v5, vcc
	s_waitcnt lgkmcnt(0)
	global_store_dwordx2 v[4:5], v[13:14], off offset:16
.LBB8_76:
	s_or_b64 exec, exec, s[2:3]
	v_or_b32_e32 v4, 3, v7
	v_cmp_gt_u32_e32 vcc, s21, v4
	s_and_saveexec_b64 s[2:3], vcc
	s_cbranch_execz .LBB8_78
; %bb.77:
	v_lshlrev_b32_e32 v6, 3, v12
	v_mov_b32_e32 v4, 0
	ds_read_b64 v[12:13], v6
	v_lshlrev_b64 v[4:5], 3, v[3:4]
	v_mov_b32_e32 v14, s19
	v_add_co_u32_e32 v4, vcc, s18, v4
	v_addc_co_u32_e32 v5, vcc, v14, v5, vcc
	s_waitcnt lgkmcnt(0)
	global_store_dwordx2 v[4:5], v[12:13], off offset:24
.LBB8_78:
	s_or_b64 exec, exec, s[2:3]
	v_or_b32_e32 v4, 4, v7
	v_cmp_gt_u32_e32 vcc, s21, v4
	s_and_saveexec_b64 s[2:3], vcc
	s_cbranch_execz .LBB8_80
; %bb.79:
	v_lshlrev_b32_e32 v6, 3, v11
	v_mov_b32_e32 v4, 0
	ds_read_b64 v[11:12], v6
	v_lshlrev_b64 v[4:5], 3, v[3:4]
	v_mov_b32_e32 v13, s19
	v_add_co_u32_e32 v4, vcc, s18, v4
	v_addc_co_u32_e32 v5, vcc, v13, v5, vcc
	s_waitcnt lgkmcnt(0)
	global_store_dwordx2 v[4:5], v[11:12], off offset:32
.LBB8_80:
	s_or_b64 exec, exec, s[2:3]
	v_or_b32_e32 v4, 5, v7
	v_cmp_gt_u32_e32 vcc, s21, v4
	s_and_saveexec_b64 s[2:3], vcc
	s_cbranch_execz .LBB8_82
; %bb.81:
	v_lshlrev_b32_e32 v6, 3, v10
	v_mov_b32_e32 v4, 0
	ds_read_b64 v[10:11], v6
	v_lshlrev_b64 v[4:5], 3, v[3:4]
	v_mov_b32_e32 v12, s19
	v_add_co_u32_e32 v4, vcc, s18, v4
	v_addc_co_u32_e32 v5, vcc, v12, v5, vcc
	s_waitcnt lgkmcnt(0)
	global_store_dwordx2 v[4:5], v[10:11], off offset:40
.LBB8_82:
	s_or_b64 exec, exec, s[2:3]
	v_or_b32_e32 v4, 6, v7
	v_cmp_gt_u32_e32 vcc, s21, v4
	s_and_saveexec_b64 s[2:3], vcc
	s_cbranch_execz .LBB8_84
; %bb.83:
	v_lshlrev_b32_e32 v6, 3, v9
	v_mov_b32_e32 v4, 0
	ds_read_b64 v[9:10], v6
	v_lshlrev_b64 v[4:5], 3, v[3:4]
	v_mov_b32_e32 v11, s19
	v_add_co_u32_e32 v4, vcc, s18, v4
	v_addc_co_u32_e32 v5, vcc, v11, v5, vcc
	s_waitcnt lgkmcnt(0)
	global_store_dwordx2 v[4:5], v[9:10], off offset:48
.LBB8_84:
	s_or_b64 exec, exec, s[2:3]
	v_or_b32_e32 v4, 7, v7
	v_cmp_gt_u32_e32 vcc, s21, v4
	s_and_saveexec_b64 s[2:3], vcc
; %bb.85:
	v_mov_b32_e32 v4, 0
	s_or_b64 s[0:1], s[0:1], exec
; %bb.86:
	s_or_b64 exec, exec, s[2:3]
.LBB8_87:
	s_and_saveexec_b64 s[2:3], s[0:1]
	s_cbranch_execz .LBB8_89
; %bb.88:
	v_lshlrev_b32_e32 v5, 3, v8
	ds_read_b64 v[5:6], v5
	v_lshlrev_b64 v[3:4], 3, v[3:4]
	v_mov_b32_e32 v8, s19
	v_add_co_u32_e32 v3, vcc, s18, v3
	v_addc_co_u32_e32 v4, vcc, v8, v4, vcc
	s_waitcnt lgkmcnt(0)
	global_store_dwordx2 v[3:4], v[5:6], off offset:56
.LBB8_89:
	s_or_b64 exec, exec, s[2:3]
	v_lshrrev_b32_e32 v3, 2, v0
	s_add_u32 s0, s14, s22
	v_and_b32_e32 v3, 28, v3
	s_addc_u32 s1, s15, 0
	v_add_u32_e32 v3, v3, v7
	s_waitcnt vmcnt(0)
	s_barrier
	s_barrier
	ds_write2_b32 v3, v1, v2 offset1:1
	v_mov_b32_e32 v2, s1
	v_add_co_u32_e32 v1, vcc, s0, v0
	v_addc_co_u32_e32 v2, vcc, 0, v2, vcc
	s_and_b64 vcc, exec, s[24:25]
	v_add_u32_e32 v4, 4, v0
	v_add_u32_e32 v5, 8, v0
	;; [unrolled: 1-line block ×7, first 2 shown]
	s_waitcnt lgkmcnt(0)
	s_cbranch_vccz .LBB8_91
; %bb.90:
	s_barrier
	ds_read_u8 v11, v0
	ds_read_u8 v12, v4 offset:128
	ds_read_u8 v13, v5 offset:256
	;; [unrolled: 1-line block ×7, first 2 shown]
	s_waitcnt lgkmcnt(7)
	global_store_byte v[1:2], v11, off
	s_waitcnt lgkmcnt(6)
	global_store_byte v[1:2], v12, off offset:128
	s_waitcnt lgkmcnt(5)
	global_store_byte v[1:2], v13, off offset:256
	;; [unrolled: 2-line block ×6, first 2 shown]
	s_mov_b64 s[0:1], -1
	s_cbranch_execz .LBB8_92
	s_branch .LBB8_107
.LBB8_91:
	s_mov_b64 s[0:1], 0
                                        ; implicit-def: $vgpr3
.LBB8_92:
	s_waitcnt vmcnt(0) lgkmcnt(0)
	s_barrier
	ds_read_u8 v13, v4 offset:128
	ds_read_u8 v12, v5 offset:256
	;; [unrolled: 1-line block ×7, first 2 shown]
	s_sub_i32 s2, s20, s22
	v_or_b32_e32 v7, 0x80, v0
	v_cmp_gt_u32_e32 vcc, s2, v0
	s_and_saveexec_b64 s[0:1], vcc
	s_cbranch_execz .LBB8_94
; %bb.93:
	ds_read_u8 v8, v0
	s_waitcnt lgkmcnt(0)
	global_store_byte v[1:2], v8, off
.LBB8_94:
	s_or_b64 exec, exec, s[0:1]
	v_or_b32_e32 v8, 0x100, v0
	v_cmp_gt_u32_e32 vcc, s2, v7
	s_and_saveexec_b64 s[0:1], vcc
	s_cbranch_execz .LBB8_96
; %bb.95:
	s_waitcnt lgkmcnt(6)
	global_store_byte v[1:2], v13, off offset:128
.LBB8_96:
	s_or_b64 exec, exec, s[0:1]
	v_or_b32_e32 v7, 0x180, v0
	v_cmp_gt_u32_e32 vcc, s2, v8
	s_and_saveexec_b64 s[0:1], vcc
	s_cbranch_execz .LBB8_98
; %bb.97:
	s_waitcnt lgkmcnt(5)
	global_store_byte v[1:2], v12, off offset:256
.LBB8_98:
	;; [unrolled: 9-line block ×4, first 2 shown]
	s_or_b64 exec, exec, s[0:1]
	s_waitcnt lgkmcnt(3)
	v_or_b32_e32 v6, 0x300, v0
	v_cmp_gt_u32_e32 vcc, s2, v7
	s_and_saveexec_b64 s[0:1], vcc
	s_cbranch_execz .LBB8_104
; %bb.103:
	s_waitcnt lgkmcnt(2)
	global_store_byte v[1:2], v5, off offset:640
.LBB8_104:
	s_or_b64 exec, exec, s[0:1]
	v_or_b32_e32 v0, 0x380, v0
	v_cmp_gt_u32_e32 vcc, s2, v6
	s_and_saveexec_b64 s[0:1], vcc
	s_cbranch_execz .LBB8_106
; %bb.105:
	s_waitcnt lgkmcnt(1)
	global_store_byte v[1:2], v4, off offset:768
.LBB8_106:
	s_or_b64 exec, exec, s[0:1]
	v_cmp_gt_u32_e64 s[0:1], s2, v0
.LBB8_107:
	s_and_saveexec_b64 s[2:3], s[0:1]
	s_cbranch_execz .LBB8_109
; %bb.108:
	s_waitcnt lgkmcnt(0)
	global_store_byte v[1:2], v3, off offset:896
.LBB8_109:
	s_endpgm
.LBB8_110:
	v_mov_b32_e32 v1, s7
	v_add_co_u32_e32 v6, vcc, s5, v0
	v_addc_co_u32_e32 v1, vcc, 0, v1, vcc
	v_subrev_co_u32_e32 v2, vcc, s30, v0
	v_mov_b32_e32 v7, s8
	v_add_co_u32_e64 v8, s[0:1], s4, v2
	v_addc_co_u32_e64 v2, s[0:1], 0, v7, s[0:1]
	v_cndmask_b32_e32 v2, v2, v1, vcc
	v_cndmask_b32_e32 v1, v8, v6, vcc
	global_load_ubyte v1, v[1:2], off
	v_mov_b32_e32 v2, s6
	s_waitcnt vmcnt(0)
	v_and_b32_e32 v1, 0xffff, v1
	s_or_b64 exec, exec, s[2:3]
	v_cmp_gt_u32_e32 vcc, s21, v5
	s_and_saveexec_b64 s[2:3], vcc
	s_cbranch_execz .LBB8_6
.LBB8_111:
	v_mov_b32_e32 v6, s7
	v_add_co_u32_e32 v7, vcc, s5, v5
	v_addc_co_u32_e32 v6, vcc, 0, v6, vcc
	v_subrev_co_u32_e32 v5, vcc, s30, v5
	v_mov_b32_e32 v8, s8
	v_add_co_u32_e64 v5, s[0:1], s4, v5
	v_addc_co_u32_e64 v8, s[0:1], 0, v8, s[0:1]
	v_cndmask_b32_e32 v6, v8, v6, vcc
	v_cndmask_b32_e32 v5, v5, v7, vcc
	global_load_ubyte v5, v[5:6], off
	s_mov_b32 s0, 0x7060004
	s_waitcnt vmcnt(0)
	v_perm_b32 v1, v1, v5, s0
	s_or_b64 exec, exec, s[2:3]
	v_cmp_gt_u32_e32 vcc, s21, v4
	s_and_saveexec_b64 s[2:3], vcc
	s_cbranch_execnz .LBB8_7
	s_branch .LBB8_8
	.section	.rodata,"a",@progbits
	.p2align	6, 0x0
	.amdhsa_kernel _ZN7rocprim17ROCPRIM_304000_NS6detail35device_block_merge_mergepath_kernelINS1_37wrapped_merge_sort_block_merge_configINS0_14default_configEhN2at4cuda3cub6detail10OpaqueTypeILi8EEEEEPhSC_PSA_SD_jNS1_19radix_merge_compareILb1ELb1EhNS0_19identity_decomposerEEEEEvT0_T1_T2_T3_T4_SL_jT5_PKSL_NS1_7vsmem_tE
		.amdhsa_group_segment_fixed_size 8208
		.amdhsa_private_segment_fixed_size 0
		.amdhsa_kernarg_size 320
		.amdhsa_user_sgpr_count 6
		.amdhsa_user_sgpr_private_segment_buffer 1
		.amdhsa_user_sgpr_dispatch_ptr 0
		.amdhsa_user_sgpr_queue_ptr 0
		.amdhsa_user_sgpr_kernarg_segment_ptr 1
		.amdhsa_user_sgpr_dispatch_id 0
		.amdhsa_user_sgpr_flat_scratch_init 0
		.amdhsa_user_sgpr_private_segment_size 0
		.amdhsa_uses_dynamic_stack 0
		.amdhsa_system_sgpr_private_segment_wavefront_offset 0
		.amdhsa_system_sgpr_workgroup_id_x 1
		.amdhsa_system_sgpr_workgroup_id_y 1
		.amdhsa_system_sgpr_workgroup_id_z 1
		.amdhsa_system_sgpr_workgroup_info 0
		.amdhsa_system_vgpr_workitem_id 0
		.amdhsa_next_free_vgpr 49
		.amdhsa_next_free_sgpr 98
		.amdhsa_reserve_vcc 1
		.amdhsa_reserve_flat_scratch 0
		.amdhsa_float_round_mode_32 0
		.amdhsa_float_round_mode_16_64 0
		.amdhsa_float_denorm_mode_32 3
		.amdhsa_float_denorm_mode_16_64 3
		.amdhsa_dx10_clamp 1
		.amdhsa_ieee_mode 1
		.amdhsa_fp16_overflow 0
		.amdhsa_exception_fp_ieee_invalid_op 0
		.amdhsa_exception_fp_denorm_src 0
		.amdhsa_exception_fp_ieee_div_zero 0
		.amdhsa_exception_fp_ieee_overflow 0
		.amdhsa_exception_fp_ieee_underflow 0
		.amdhsa_exception_fp_ieee_inexact 0
		.amdhsa_exception_int_div_zero 0
	.end_amdhsa_kernel
	.section	.text._ZN7rocprim17ROCPRIM_304000_NS6detail35device_block_merge_mergepath_kernelINS1_37wrapped_merge_sort_block_merge_configINS0_14default_configEhN2at4cuda3cub6detail10OpaqueTypeILi8EEEEEPhSC_PSA_SD_jNS1_19radix_merge_compareILb1ELb1EhNS0_19identity_decomposerEEEEEvT0_T1_T2_T3_T4_SL_jT5_PKSL_NS1_7vsmem_tE,"axG",@progbits,_ZN7rocprim17ROCPRIM_304000_NS6detail35device_block_merge_mergepath_kernelINS1_37wrapped_merge_sort_block_merge_configINS0_14default_configEhN2at4cuda3cub6detail10OpaqueTypeILi8EEEEEPhSC_PSA_SD_jNS1_19radix_merge_compareILb1ELb1EhNS0_19identity_decomposerEEEEEvT0_T1_T2_T3_T4_SL_jT5_PKSL_NS1_7vsmem_tE,comdat
.Lfunc_end8:
	.size	_ZN7rocprim17ROCPRIM_304000_NS6detail35device_block_merge_mergepath_kernelINS1_37wrapped_merge_sort_block_merge_configINS0_14default_configEhN2at4cuda3cub6detail10OpaqueTypeILi8EEEEEPhSC_PSA_SD_jNS1_19radix_merge_compareILb1ELb1EhNS0_19identity_decomposerEEEEEvT0_T1_T2_T3_T4_SL_jT5_PKSL_NS1_7vsmem_tE, .Lfunc_end8-_ZN7rocprim17ROCPRIM_304000_NS6detail35device_block_merge_mergepath_kernelINS1_37wrapped_merge_sort_block_merge_configINS0_14default_configEhN2at4cuda3cub6detail10OpaqueTypeILi8EEEEEPhSC_PSA_SD_jNS1_19radix_merge_compareILb1ELb1EhNS0_19identity_decomposerEEEEEvT0_T1_T2_T3_T4_SL_jT5_PKSL_NS1_7vsmem_tE
                                        ; -- End function
	.set _ZN7rocprim17ROCPRIM_304000_NS6detail35device_block_merge_mergepath_kernelINS1_37wrapped_merge_sort_block_merge_configINS0_14default_configEhN2at4cuda3cub6detail10OpaqueTypeILi8EEEEEPhSC_PSA_SD_jNS1_19radix_merge_compareILb1ELb1EhNS0_19identity_decomposerEEEEEvT0_T1_T2_T3_T4_SL_jT5_PKSL_NS1_7vsmem_tE.num_vgpr, 31
	.set _ZN7rocprim17ROCPRIM_304000_NS6detail35device_block_merge_mergepath_kernelINS1_37wrapped_merge_sort_block_merge_configINS0_14default_configEhN2at4cuda3cub6detail10OpaqueTypeILi8EEEEEPhSC_PSA_SD_jNS1_19radix_merge_compareILb1ELb1EhNS0_19identity_decomposerEEEEEvT0_T1_T2_T3_T4_SL_jT5_PKSL_NS1_7vsmem_tE.num_agpr, 0
	.set _ZN7rocprim17ROCPRIM_304000_NS6detail35device_block_merge_mergepath_kernelINS1_37wrapped_merge_sort_block_merge_configINS0_14default_configEhN2at4cuda3cub6detail10OpaqueTypeILi8EEEEEPhSC_PSA_SD_jNS1_19radix_merge_compareILb1ELb1EhNS0_19identity_decomposerEEEEEvT0_T1_T2_T3_T4_SL_jT5_PKSL_NS1_7vsmem_tE.numbered_sgpr, 36
	.set _ZN7rocprim17ROCPRIM_304000_NS6detail35device_block_merge_mergepath_kernelINS1_37wrapped_merge_sort_block_merge_configINS0_14default_configEhN2at4cuda3cub6detail10OpaqueTypeILi8EEEEEPhSC_PSA_SD_jNS1_19radix_merge_compareILb1ELb1EhNS0_19identity_decomposerEEEEEvT0_T1_T2_T3_T4_SL_jT5_PKSL_NS1_7vsmem_tE.num_named_barrier, 0
	.set _ZN7rocprim17ROCPRIM_304000_NS6detail35device_block_merge_mergepath_kernelINS1_37wrapped_merge_sort_block_merge_configINS0_14default_configEhN2at4cuda3cub6detail10OpaqueTypeILi8EEEEEPhSC_PSA_SD_jNS1_19radix_merge_compareILb1ELb1EhNS0_19identity_decomposerEEEEEvT0_T1_T2_T3_T4_SL_jT5_PKSL_NS1_7vsmem_tE.private_seg_size, 0
	.set _ZN7rocprim17ROCPRIM_304000_NS6detail35device_block_merge_mergepath_kernelINS1_37wrapped_merge_sort_block_merge_configINS0_14default_configEhN2at4cuda3cub6detail10OpaqueTypeILi8EEEEEPhSC_PSA_SD_jNS1_19radix_merge_compareILb1ELb1EhNS0_19identity_decomposerEEEEEvT0_T1_T2_T3_T4_SL_jT5_PKSL_NS1_7vsmem_tE.uses_vcc, 1
	.set _ZN7rocprim17ROCPRIM_304000_NS6detail35device_block_merge_mergepath_kernelINS1_37wrapped_merge_sort_block_merge_configINS0_14default_configEhN2at4cuda3cub6detail10OpaqueTypeILi8EEEEEPhSC_PSA_SD_jNS1_19radix_merge_compareILb1ELb1EhNS0_19identity_decomposerEEEEEvT0_T1_T2_T3_T4_SL_jT5_PKSL_NS1_7vsmem_tE.uses_flat_scratch, 0
	.set _ZN7rocprim17ROCPRIM_304000_NS6detail35device_block_merge_mergepath_kernelINS1_37wrapped_merge_sort_block_merge_configINS0_14default_configEhN2at4cuda3cub6detail10OpaqueTypeILi8EEEEEPhSC_PSA_SD_jNS1_19radix_merge_compareILb1ELb1EhNS0_19identity_decomposerEEEEEvT0_T1_T2_T3_T4_SL_jT5_PKSL_NS1_7vsmem_tE.has_dyn_sized_stack, 0
	.set _ZN7rocprim17ROCPRIM_304000_NS6detail35device_block_merge_mergepath_kernelINS1_37wrapped_merge_sort_block_merge_configINS0_14default_configEhN2at4cuda3cub6detail10OpaqueTypeILi8EEEEEPhSC_PSA_SD_jNS1_19radix_merge_compareILb1ELb1EhNS0_19identity_decomposerEEEEEvT0_T1_T2_T3_T4_SL_jT5_PKSL_NS1_7vsmem_tE.has_recursion, 0
	.set _ZN7rocprim17ROCPRIM_304000_NS6detail35device_block_merge_mergepath_kernelINS1_37wrapped_merge_sort_block_merge_configINS0_14default_configEhN2at4cuda3cub6detail10OpaqueTypeILi8EEEEEPhSC_PSA_SD_jNS1_19radix_merge_compareILb1ELb1EhNS0_19identity_decomposerEEEEEvT0_T1_T2_T3_T4_SL_jT5_PKSL_NS1_7vsmem_tE.has_indirect_call, 0
	.section	.AMDGPU.csdata,"",@progbits
; Kernel info:
; codeLenInByte = 5680
; TotalNumSgprs: 40
; NumVgprs: 31
; ScratchSize: 0
; MemoryBound: 0
; FloatMode: 240
; IeeeMode: 1
; LDSByteSize: 8208 bytes/workgroup (compile time only)
; SGPRBlocks: 12
; VGPRBlocks: 12
; NumSGPRsForWavesPerEU: 102
; NumVGPRsForWavesPerEU: 49
; Occupancy: 4
; WaveLimiterHint : 1
; COMPUTE_PGM_RSRC2:SCRATCH_EN: 0
; COMPUTE_PGM_RSRC2:USER_SGPR: 6
; COMPUTE_PGM_RSRC2:TRAP_HANDLER: 0
; COMPUTE_PGM_RSRC2:TGID_X_EN: 1
; COMPUTE_PGM_RSRC2:TGID_Y_EN: 1
; COMPUTE_PGM_RSRC2:TGID_Z_EN: 1
; COMPUTE_PGM_RSRC2:TIDIG_COMP_CNT: 0
	.section	.text._ZN7rocprim17ROCPRIM_304000_NS6detail33device_block_merge_oddeven_kernelINS1_37wrapped_merge_sort_block_merge_configINS0_14default_configEhN2at4cuda3cub6detail10OpaqueTypeILi8EEEEEPhSC_PSA_SD_jNS1_19radix_merge_compareILb1ELb1EhNS0_19identity_decomposerEEEEEvT0_T1_T2_T3_T4_SL_T5_,"axG",@progbits,_ZN7rocprim17ROCPRIM_304000_NS6detail33device_block_merge_oddeven_kernelINS1_37wrapped_merge_sort_block_merge_configINS0_14default_configEhN2at4cuda3cub6detail10OpaqueTypeILi8EEEEEPhSC_PSA_SD_jNS1_19radix_merge_compareILb1ELb1EhNS0_19identity_decomposerEEEEEvT0_T1_T2_T3_T4_SL_T5_,comdat
	.protected	_ZN7rocprim17ROCPRIM_304000_NS6detail33device_block_merge_oddeven_kernelINS1_37wrapped_merge_sort_block_merge_configINS0_14default_configEhN2at4cuda3cub6detail10OpaqueTypeILi8EEEEEPhSC_PSA_SD_jNS1_19radix_merge_compareILb1ELb1EhNS0_19identity_decomposerEEEEEvT0_T1_T2_T3_T4_SL_T5_ ; -- Begin function _ZN7rocprim17ROCPRIM_304000_NS6detail33device_block_merge_oddeven_kernelINS1_37wrapped_merge_sort_block_merge_configINS0_14default_configEhN2at4cuda3cub6detail10OpaqueTypeILi8EEEEEPhSC_PSA_SD_jNS1_19radix_merge_compareILb1ELb1EhNS0_19identity_decomposerEEEEEvT0_T1_T2_T3_T4_SL_T5_
	.globl	_ZN7rocprim17ROCPRIM_304000_NS6detail33device_block_merge_oddeven_kernelINS1_37wrapped_merge_sort_block_merge_configINS0_14default_configEhN2at4cuda3cub6detail10OpaqueTypeILi8EEEEEPhSC_PSA_SD_jNS1_19radix_merge_compareILb1ELb1EhNS0_19identity_decomposerEEEEEvT0_T1_T2_T3_T4_SL_T5_
	.p2align	8
	.type	_ZN7rocprim17ROCPRIM_304000_NS6detail33device_block_merge_oddeven_kernelINS1_37wrapped_merge_sort_block_merge_configINS0_14default_configEhN2at4cuda3cub6detail10OpaqueTypeILi8EEEEEPhSC_PSA_SD_jNS1_19radix_merge_compareILb1ELb1EhNS0_19identity_decomposerEEEEEvT0_T1_T2_T3_T4_SL_T5_,@function
_ZN7rocprim17ROCPRIM_304000_NS6detail33device_block_merge_oddeven_kernelINS1_37wrapped_merge_sort_block_merge_configINS0_14default_configEhN2at4cuda3cub6detail10OpaqueTypeILi8EEEEEPhSC_PSA_SD_jNS1_19radix_merge_compareILb1ELb1EhNS0_19identity_decomposerEEEEEvT0_T1_T2_T3_T4_SL_T5_: ; @_ZN7rocprim17ROCPRIM_304000_NS6detail33device_block_merge_oddeven_kernelINS1_37wrapped_merge_sort_block_merge_configINS0_14default_configEhN2at4cuda3cub6detail10OpaqueTypeILi8EEEEEPhSC_PSA_SD_jNS1_19radix_merge_compareILb1ELb1EhNS0_19identity_decomposerEEEEEvT0_T1_T2_T3_T4_SL_T5_
; %bb.0:
	s_load_dwordx4 s[16:19], s[4:5], 0x20
	s_waitcnt lgkmcnt(0)
	s_lshr_b32 s0, s16, 8
	s_cmp_eq_u32 s6, s0
	s_cselect_b64 s[20:21], -1, 0
	s_cmp_lg_u32 s6, s0
	s_cselect_b64 s[0:1], -1, 0
	s_lshl_b32 s22, s6, 8
	s_sub_i32 s2, s16, s22
	v_cmp_gt_u32_e64 s[2:3], s2, v0
	s_or_b64 s[0:1], s[0:1], s[2:3]
	s_and_saveexec_b64 s[8:9], s[0:1]
	s_cbranch_execz .LBB9_24
; %bb.1:
	s_load_dwordx8 s[8:15], s[4:5], 0x0
	s_mov_b32 s23, 0
	v_lshlrev_b32_e32 v3, 3, v0
	s_waitcnt lgkmcnt(0)
	s_add_u32 s0, s8, s22
	s_addc_u32 s1, s9, 0
	s_lshl_b64 s[4:5], s[22:23], 3
	s_add_u32 s4, s12, s4
	s_addc_u32 s5, s13, s5
	global_load_dwordx2 v[1:2], v3, s[4:5]
	global_load_ubyte v5, v0, s[0:1]
	s_lshr_b32 s0, s17, 8
	s_sub_i32 s1, 0, s0
	s_and_b32 s1, s6, s1
	s_and_b32 s0, s1, s0
	s_lshl_b32 s13, s1, 8
	s_sub_i32 s6, 0, s17
	s_cmp_eq_u32 s0, 0
	s_cselect_b64 s[0:1], -1, 0
	s_and_b64 s[4:5], s[0:1], exec
	s_cselect_b32 s6, s17, s6
	s_add_i32 s6, s6, s13
	s_mov_b64 s[4:5], -1
	s_cmp_gt_u32 s16, s6
	v_add_u32_e32 v3, s22, v0
	s_cbranch_scc1 .LBB9_9
; %bb.2:
	s_and_b64 vcc, exec, s[20:21]
	s_cbranch_vccz .LBB9_6
; %bb.3:
	v_cmp_gt_u32_e32 vcc, s16, v3
	s_and_saveexec_b64 s[4:5], vcc
	s_cbranch_execz .LBB9_5
; %bb.4:
	v_mov_b32_e32 v4, 0
	v_lshlrev_b64 v[6:7], 3, v[3:4]
	v_mov_b32_e32 v0, s15
	v_add_co_u32_e32 v6, vcc, s14, v6
	v_addc_co_u32_e32 v7, vcc, v0, v7, vcc
	s_waitcnt vmcnt(0)
	global_store_byte v3, v5, s[10:11]
	global_store_dwordx2 v[6:7], v[1:2], off
.LBB9_5:
	s_or_b64 exec, exec, s[4:5]
	s_mov_b64 s[4:5], 0
.LBB9_6:
	s_andn2_b64 vcc, exec, s[4:5]
	s_cbranch_vccnz .LBB9_8
; %bb.7:
	v_mov_b32_e32 v4, 0
	v_lshlrev_b64 v[6:7], 3, v[3:4]
	v_mov_b32_e32 v0, s15
	v_add_co_u32_e32 v6, vcc, s14, v6
	v_addc_co_u32_e32 v7, vcc, v0, v7, vcc
	s_waitcnt vmcnt(0)
	global_store_byte v3, v5, s[10:11]
	global_store_dwordx2 v[6:7], v[1:2], off
.LBB9_8:
	s_mov_b64 s[4:5], 0
.LBB9_9:
	s_andn2_b64 vcc, exec, s[4:5]
	s_cbranch_vccnz .LBB9_24
; %bb.10:
	s_min_u32 s7, s6, s16
	s_add_i32 s4, s7, s17
	s_min_u32 s12, s4, s16
	s_min_u32 s4, s13, s7
	s_add_i32 s13, s13, s7
	v_subrev_u32_e32 v0, s13, v3
	v_add_u32_e32 v0, s4, v0
	s_waitcnt vmcnt(0)
	v_and_b32_e32 v3, s18, v5
	s_mov_b64 s[4:5], -1
	s_and_b64 vcc, exec, s[20:21]
	s_cbranch_vccz .LBB9_18
; %bb.11:
	s_and_saveexec_b64 s[4:5], s[2:3]
	s_cbranch_execz .LBB9_17
; %bb.12:
	s_cmp_ge_u32 s6, s12
	v_mov_b32_e32 v4, s7
	s_cbranch_scc1 .LBB9_16
; %bb.13:
	s_mov_b64 s[2:3], 0
	v_mov_b32_e32 v6, s12
	v_mov_b32_e32 v4, s7
	s_and_b32 s13, s18, 0xff
.LBB9_14:                               ; =>This Inner Loop Header: Depth=1
	v_add_u32_e32 v7, v4, v6
	v_lshrrev_b32_e32 v7, 1, v7
	global_load_ubyte v8, v7, s[8:9]
	v_add_u32_e32 v9, 1, v7
	s_waitcnt vmcnt(0)
	v_and_b32_e32 v8, s13, v8
	v_cmp_gt_u16_sdwa s[16:17], v8, v3 src0_sel:DWORD src1_sel:BYTE_0
	v_cndmask_b32_e64 v10, 0, 1, s[16:17]
	v_cmp_le_u16_sdwa s[16:17], v3, v8 src0_sel:BYTE_0 src1_sel:DWORD
	v_cndmask_b32_e64 v8, 0, 1, s[16:17]
	v_cndmask_b32_e64 v8, v8, v10, s[0:1]
	v_and_b32_e32 v8, 1, v8
	v_cmp_eq_u32_e32 vcc, 1, v8
	v_cndmask_b32_e32 v6, v7, v6, vcc
	v_cndmask_b32_e32 v4, v4, v9, vcc
	v_cmp_ge_u32_e32 vcc, v4, v6
	s_or_b64 s[2:3], vcc, s[2:3]
	s_andn2_b64 exec, exec, s[2:3]
	s_cbranch_execnz .LBB9_14
; %bb.15:
	s_or_b64 exec, exec, s[2:3]
.LBB9_16:
	v_add_u32_e32 v6, v4, v0
	v_mov_b32_e32 v7, 0
	global_store_byte v6, v5, s[10:11]
	v_lshlrev_b64 v[6:7], 3, v[6:7]
	v_mov_b32_e32 v4, s15
	v_add_co_u32_e32 v6, vcc, s14, v6
	v_addc_co_u32_e32 v7, vcc, v4, v7, vcc
	global_store_dwordx2 v[6:7], v[1:2], off
.LBB9_17:
	s_or_b64 exec, exec, s[4:5]
	s_mov_b64 s[4:5], 0
.LBB9_18:
	s_andn2_b64 vcc, exec, s[4:5]
	s_cbranch_vccnz .LBB9_24
; %bb.19:
	s_cmp_ge_u32 s6, s12
	v_mov_b32_e32 v4, s7
	s_cbranch_scc1 .LBB9_23
; %bb.20:
	s_mov_b64 s[2:3], 0
	v_mov_b32_e32 v6, s12
	v_mov_b32_e32 v4, s7
	s_and_b32 s4, s18, 0xff
.LBB9_21:                               ; =>This Inner Loop Header: Depth=1
	v_add_u32_e32 v7, v4, v6
	v_lshrrev_b32_e32 v7, 1, v7
	global_load_ubyte v8, v7, s[8:9]
	v_add_u32_e32 v9, 1, v7
	s_waitcnt vmcnt(0)
	v_and_b32_e32 v8, s4, v8
	v_cmp_gt_u16_sdwa s[6:7], v8, v3 src0_sel:DWORD src1_sel:BYTE_0
	v_cndmask_b32_e64 v10, 0, 1, s[6:7]
	v_cmp_le_u16_sdwa s[6:7], v3, v8 src0_sel:BYTE_0 src1_sel:DWORD
	v_cndmask_b32_e64 v8, 0, 1, s[6:7]
	v_cndmask_b32_e64 v8, v8, v10, s[0:1]
	v_and_b32_e32 v8, 1, v8
	v_cmp_eq_u32_e32 vcc, 1, v8
	v_cndmask_b32_e32 v6, v7, v6, vcc
	v_cndmask_b32_e32 v4, v4, v9, vcc
	v_cmp_ge_u32_e32 vcc, v4, v6
	s_or_b64 s[2:3], vcc, s[2:3]
	s_andn2_b64 exec, exec, s[2:3]
	s_cbranch_execnz .LBB9_21
; %bb.22:
	s_or_b64 exec, exec, s[2:3]
.LBB9_23:
	v_add_u32_e32 v3, v4, v0
	v_mov_b32_e32 v4, 0
	global_store_byte v3, v5, s[10:11]
	v_lshlrev_b64 v[3:4], 3, v[3:4]
	v_mov_b32_e32 v0, s15
	v_add_co_u32_e32 v3, vcc, s14, v3
	v_addc_co_u32_e32 v4, vcc, v0, v4, vcc
	global_store_dwordx2 v[3:4], v[1:2], off
.LBB9_24:
	s_endpgm
	.section	.rodata,"a",@progbits
	.p2align	6, 0x0
	.amdhsa_kernel _ZN7rocprim17ROCPRIM_304000_NS6detail33device_block_merge_oddeven_kernelINS1_37wrapped_merge_sort_block_merge_configINS0_14default_configEhN2at4cuda3cub6detail10OpaqueTypeILi8EEEEEPhSC_PSA_SD_jNS1_19radix_merge_compareILb1ELb1EhNS0_19identity_decomposerEEEEEvT0_T1_T2_T3_T4_SL_T5_
		.amdhsa_group_segment_fixed_size 0
		.amdhsa_private_segment_fixed_size 0
		.amdhsa_kernarg_size 44
		.amdhsa_user_sgpr_count 6
		.amdhsa_user_sgpr_private_segment_buffer 1
		.amdhsa_user_sgpr_dispatch_ptr 0
		.amdhsa_user_sgpr_queue_ptr 0
		.amdhsa_user_sgpr_kernarg_segment_ptr 1
		.amdhsa_user_sgpr_dispatch_id 0
		.amdhsa_user_sgpr_flat_scratch_init 0
		.amdhsa_user_sgpr_private_segment_size 0
		.amdhsa_uses_dynamic_stack 0
		.amdhsa_system_sgpr_private_segment_wavefront_offset 0
		.amdhsa_system_sgpr_workgroup_id_x 1
		.amdhsa_system_sgpr_workgroup_id_y 0
		.amdhsa_system_sgpr_workgroup_id_z 0
		.amdhsa_system_sgpr_workgroup_info 0
		.amdhsa_system_vgpr_workitem_id 0
		.amdhsa_next_free_vgpr 11
		.amdhsa_next_free_sgpr 24
		.amdhsa_reserve_vcc 1
		.amdhsa_reserve_flat_scratch 0
		.amdhsa_float_round_mode_32 0
		.amdhsa_float_round_mode_16_64 0
		.amdhsa_float_denorm_mode_32 3
		.amdhsa_float_denorm_mode_16_64 3
		.amdhsa_dx10_clamp 1
		.amdhsa_ieee_mode 1
		.amdhsa_fp16_overflow 0
		.amdhsa_exception_fp_ieee_invalid_op 0
		.amdhsa_exception_fp_denorm_src 0
		.amdhsa_exception_fp_ieee_div_zero 0
		.amdhsa_exception_fp_ieee_overflow 0
		.amdhsa_exception_fp_ieee_underflow 0
		.amdhsa_exception_fp_ieee_inexact 0
		.amdhsa_exception_int_div_zero 0
	.end_amdhsa_kernel
	.section	.text._ZN7rocprim17ROCPRIM_304000_NS6detail33device_block_merge_oddeven_kernelINS1_37wrapped_merge_sort_block_merge_configINS0_14default_configEhN2at4cuda3cub6detail10OpaqueTypeILi8EEEEEPhSC_PSA_SD_jNS1_19radix_merge_compareILb1ELb1EhNS0_19identity_decomposerEEEEEvT0_T1_T2_T3_T4_SL_T5_,"axG",@progbits,_ZN7rocprim17ROCPRIM_304000_NS6detail33device_block_merge_oddeven_kernelINS1_37wrapped_merge_sort_block_merge_configINS0_14default_configEhN2at4cuda3cub6detail10OpaqueTypeILi8EEEEEPhSC_PSA_SD_jNS1_19radix_merge_compareILb1ELb1EhNS0_19identity_decomposerEEEEEvT0_T1_T2_T3_T4_SL_T5_,comdat
.Lfunc_end9:
	.size	_ZN7rocprim17ROCPRIM_304000_NS6detail33device_block_merge_oddeven_kernelINS1_37wrapped_merge_sort_block_merge_configINS0_14default_configEhN2at4cuda3cub6detail10OpaqueTypeILi8EEEEEPhSC_PSA_SD_jNS1_19radix_merge_compareILb1ELb1EhNS0_19identity_decomposerEEEEEvT0_T1_T2_T3_T4_SL_T5_, .Lfunc_end9-_ZN7rocprim17ROCPRIM_304000_NS6detail33device_block_merge_oddeven_kernelINS1_37wrapped_merge_sort_block_merge_configINS0_14default_configEhN2at4cuda3cub6detail10OpaqueTypeILi8EEEEEPhSC_PSA_SD_jNS1_19radix_merge_compareILb1ELb1EhNS0_19identity_decomposerEEEEEvT0_T1_T2_T3_T4_SL_T5_
                                        ; -- End function
	.set _ZN7rocprim17ROCPRIM_304000_NS6detail33device_block_merge_oddeven_kernelINS1_37wrapped_merge_sort_block_merge_configINS0_14default_configEhN2at4cuda3cub6detail10OpaqueTypeILi8EEEEEPhSC_PSA_SD_jNS1_19radix_merge_compareILb1ELb1EhNS0_19identity_decomposerEEEEEvT0_T1_T2_T3_T4_SL_T5_.num_vgpr, 11
	.set _ZN7rocprim17ROCPRIM_304000_NS6detail33device_block_merge_oddeven_kernelINS1_37wrapped_merge_sort_block_merge_configINS0_14default_configEhN2at4cuda3cub6detail10OpaqueTypeILi8EEEEEPhSC_PSA_SD_jNS1_19radix_merge_compareILb1ELb1EhNS0_19identity_decomposerEEEEEvT0_T1_T2_T3_T4_SL_T5_.num_agpr, 0
	.set _ZN7rocprim17ROCPRIM_304000_NS6detail33device_block_merge_oddeven_kernelINS1_37wrapped_merge_sort_block_merge_configINS0_14default_configEhN2at4cuda3cub6detail10OpaqueTypeILi8EEEEEPhSC_PSA_SD_jNS1_19radix_merge_compareILb1ELb1EhNS0_19identity_decomposerEEEEEvT0_T1_T2_T3_T4_SL_T5_.numbered_sgpr, 24
	.set _ZN7rocprim17ROCPRIM_304000_NS6detail33device_block_merge_oddeven_kernelINS1_37wrapped_merge_sort_block_merge_configINS0_14default_configEhN2at4cuda3cub6detail10OpaqueTypeILi8EEEEEPhSC_PSA_SD_jNS1_19radix_merge_compareILb1ELb1EhNS0_19identity_decomposerEEEEEvT0_T1_T2_T3_T4_SL_T5_.num_named_barrier, 0
	.set _ZN7rocprim17ROCPRIM_304000_NS6detail33device_block_merge_oddeven_kernelINS1_37wrapped_merge_sort_block_merge_configINS0_14default_configEhN2at4cuda3cub6detail10OpaqueTypeILi8EEEEEPhSC_PSA_SD_jNS1_19radix_merge_compareILb1ELb1EhNS0_19identity_decomposerEEEEEvT0_T1_T2_T3_T4_SL_T5_.private_seg_size, 0
	.set _ZN7rocprim17ROCPRIM_304000_NS6detail33device_block_merge_oddeven_kernelINS1_37wrapped_merge_sort_block_merge_configINS0_14default_configEhN2at4cuda3cub6detail10OpaqueTypeILi8EEEEEPhSC_PSA_SD_jNS1_19radix_merge_compareILb1ELb1EhNS0_19identity_decomposerEEEEEvT0_T1_T2_T3_T4_SL_T5_.uses_vcc, 1
	.set _ZN7rocprim17ROCPRIM_304000_NS6detail33device_block_merge_oddeven_kernelINS1_37wrapped_merge_sort_block_merge_configINS0_14default_configEhN2at4cuda3cub6detail10OpaqueTypeILi8EEEEEPhSC_PSA_SD_jNS1_19radix_merge_compareILb1ELb1EhNS0_19identity_decomposerEEEEEvT0_T1_T2_T3_T4_SL_T5_.uses_flat_scratch, 0
	.set _ZN7rocprim17ROCPRIM_304000_NS6detail33device_block_merge_oddeven_kernelINS1_37wrapped_merge_sort_block_merge_configINS0_14default_configEhN2at4cuda3cub6detail10OpaqueTypeILi8EEEEEPhSC_PSA_SD_jNS1_19radix_merge_compareILb1ELb1EhNS0_19identity_decomposerEEEEEvT0_T1_T2_T3_T4_SL_T5_.has_dyn_sized_stack, 0
	.set _ZN7rocprim17ROCPRIM_304000_NS6detail33device_block_merge_oddeven_kernelINS1_37wrapped_merge_sort_block_merge_configINS0_14default_configEhN2at4cuda3cub6detail10OpaqueTypeILi8EEEEEPhSC_PSA_SD_jNS1_19radix_merge_compareILb1ELb1EhNS0_19identity_decomposerEEEEEvT0_T1_T2_T3_T4_SL_T5_.has_recursion, 0
	.set _ZN7rocprim17ROCPRIM_304000_NS6detail33device_block_merge_oddeven_kernelINS1_37wrapped_merge_sort_block_merge_configINS0_14default_configEhN2at4cuda3cub6detail10OpaqueTypeILi8EEEEEPhSC_PSA_SD_jNS1_19radix_merge_compareILb1ELb1EhNS0_19identity_decomposerEEEEEvT0_T1_T2_T3_T4_SL_T5_.has_indirect_call, 0
	.section	.AMDGPU.csdata,"",@progbits
; Kernel info:
; codeLenInByte = 748
; TotalNumSgprs: 28
; NumVgprs: 11
; ScratchSize: 0
; MemoryBound: 0
; FloatMode: 240
; IeeeMode: 1
; LDSByteSize: 0 bytes/workgroup (compile time only)
; SGPRBlocks: 3
; VGPRBlocks: 2
; NumSGPRsForWavesPerEU: 28
; NumVGPRsForWavesPerEU: 11
; Occupancy: 10
; WaveLimiterHint : 0
; COMPUTE_PGM_RSRC2:SCRATCH_EN: 0
; COMPUTE_PGM_RSRC2:USER_SGPR: 6
; COMPUTE_PGM_RSRC2:TRAP_HANDLER: 0
; COMPUTE_PGM_RSRC2:TGID_X_EN: 1
; COMPUTE_PGM_RSRC2:TGID_Y_EN: 0
; COMPUTE_PGM_RSRC2:TGID_Z_EN: 0
; COMPUTE_PGM_RSRC2:TIDIG_COMP_CNT: 0
	.section	.text._ZN7rocprim17ROCPRIM_304000_NS6detail26onesweep_histograms_kernelINS1_34wrapped_radix_sort_onesweep_configINS0_14default_configEhN2at4cuda3cub6detail10OpaqueTypeILi8EEEEELb1EPKhmNS0_19identity_decomposerEEEvT1_PT2_SG_SG_T3_jj,"axG",@progbits,_ZN7rocprim17ROCPRIM_304000_NS6detail26onesweep_histograms_kernelINS1_34wrapped_radix_sort_onesweep_configINS0_14default_configEhN2at4cuda3cub6detail10OpaqueTypeILi8EEEEELb1EPKhmNS0_19identity_decomposerEEEvT1_PT2_SG_SG_T3_jj,comdat
	.protected	_ZN7rocprim17ROCPRIM_304000_NS6detail26onesweep_histograms_kernelINS1_34wrapped_radix_sort_onesweep_configINS0_14default_configEhN2at4cuda3cub6detail10OpaqueTypeILi8EEEEELb1EPKhmNS0_19identity_decomposerEEEvT1_PT2_SG_SG_T3_jj ; -- Begin function _ZN7rocprim17ROCPRIM_304000_NS6detail26onesweep_histograms_kernelINS1_34wrapped_radix_sort_onesweep_configINS0_14default_configEhN2at4cuda3cub6detail10OpaqueTypeILi8EEEEELb1EPKhmNS0_19identity_decomposerEEEvT1_PT2_SG_SG_T3_jj
	.globl	_ZN7rocprim17ROCPRIM_304000_NS6detail26onesweep_histograms_kernelINS1_34wrapped_radix_sort_onesweep_configINS0_14default_configEhN2at4cuda3cub6detail10OpaqueTypeILi8EEEEELb1EPKhmNS0_19identity_decomposerEEEvT1_PT2_SG_SG_T3_jj
	.p2align	8
	.type	_ZN7rocprim17ROCPRIM_304000_NS6detail26onesweep_histograms_kernelINS1_34wrapped_radix_sort_onesweep_configINS0_14default_configEhN2at4cuda3cub6detail10OpaqueTypeILi8EEEEELb1EPKhmNS0_19identity_decomposerEEEvT1_PT2_SG_SG_T3_jj,@function
_ZN7rocprim17ROCPRIM_304000_NS6detail26onesweep_histograms_kernelINS1_34wrapped_radix_sort_onesweep_configINS0_14default_configEhN2at4cuda3cub6detail10OpaqueTypeILi8EEEEELb1EPKhmNS0_19identity_decomposerEEEvT1_PT2_SG_SG_T3_jj: ; @_ZN7rocprim17ROCPRIM_304000_NS6detail26onesweep_histograms_kernelINS1_34wrapped_radix_sort_onesweep_configINS0_14default_configEhN2at4cuda3cub6detail10OpaqueTypeILi8EEEEELb1EPKhmNS0_19identity_decomposerEEEvT1_PT2_SG_SG_T3_jj
; %bb.0:
	s_load_dwordx8 s[12:19], s[4:5], 0x0
	s_load_dwordx2 s[20:21], s[4:5], 0x24
	v_mov_b32_e32 v1, s6
	v_mov_b32_e32 v2, 0
	s_mul_hi_u32 s0, s6, 0xc00
	s_mulk_i32 s6, 0xc00
	s_waitcnt lgkmcnt(0)
	v_cmp_le_u64_e32 vcc, s[18:19], v[1:2]
	s_add_u32 s12, s12, s6
	s_addc_u32 s13, s13, s0
	s_mov_b64 s[0:1], -1
	s_cbranch_vccz .LBB10_46
; %bb.1:
	s_mul_i32 s0, s18, 0xfffff400
	s_add_i32 s16, s0, s16
	v_mov_b32_e32 v1, s13
	v_add_co_u32_e32 v3, vcc, s12, v0
	v_addc_co_u32_e32 v4, vcc, 0, v1, vcc
	v_cmp_gt_u32_e64 s[6:7], s16, v0
	v_mov_b32_e32 v8, 0
	v_mov_b32_e32 v6, 0
	v_mov_b32_e32 v5, 0
	v_mov_b32_e32 v1, 0
	s_and_saveexec_b64 s[0:1], s[6:7]
	s_cbranch_execz .LBB10_3
; %bb.2:
	global_load_ubyte v8, v[3:4], off
	v_mov_b32_e32 v6, 0
	v_mov_b32_e32 v5, 0
	;; [unrolled: 1-line block ×3, first 2 shown]
.LBB10_3:
	s_or_b64 exec, exec, s[0:1]
	v_or_b32_e32 v7, 0x200, v0
	v_cmp_gt_u32_e64 s[0:1], s16, v7
	v_mov_b32_e32 v7, v2
	s_and_saveexec_b64 s[2:3], s[0:1]
	s_cbranch_execz .LBB10_5
; %bb.4:
	global_load_ubyte v7, v[3:4], off offset:512
.LBB10_5:
	s_or_b64 exec, exec, s[2:3]
	v_or_b32_e32 v9, 0x400, v0
	v_cmp_gt_u32_e64 s[2:3], s16, v9
	s_and_saveexec_b64 s[4:5], s[2:3]
	s_cbranch_execz .LBB10_7
; %bb.6:
	global_load_ubyte v2, v[3:4], off offset:1024
.LBB10_7:
	s_or_b64 exec, exec, s[4:5]
	v_or_b32_e32 v9, 0x600, v0
	v_cmp_gt_u32_e64 s[4:5], s16, v9
	;; [unrolled: 8-line block ×4, first 2 shown]
	s_and_saveexec_b64 s[16:17], s[10:11]
	s_cbranch_execz .LBB10_13
; %bb.12:
	global_load_ubyte v1, v[3:4], off offset:2560
.LBB10_13:
	s_or_b64 exec, exec, s[16:17]
	v_or_b32_e32 v3, 0xfffffe00, v0
	v_lshlrev_b32_e32 v4, 2, v0
	s_mov_b64 s[16:17], 0
	v_mov_b32_e32 v9, 0
.LBB10_14:                              ; =>This Inner Loop Header: Depth=1
	v_add_co_u32_e32 v3, vcc, 0x200, v3
	s_xor_b64 s[18:19], vcc, -1
	s_and_b64 s[18:19], exec, s[18:19]
	ds_write_b32 v4, v9
	s_or_b64 s[16:17], s[18:19], s[16:17]
	v_add_u32_e32 v4, 0x800, v4
	s_andn2_b64 exec, exec, s[16:17]
	s_cbranch_execnz .LBB10_14
; %bb.15:
	s_or_b64 exec, exec, s[16:17]
	s_cmp_gt_u32 s21, s20
	s_cselect_b64 s[16:17], -1, 0
	s_cmp_le_u32 s21, s20
	s_waitcnt vmcnt(0) lgkmcnt(0)
	s_barrier
	s_cbranch_scc1 .LBB10_40
; %bb.16:
	v_and_b32_e32 v3, 3, v0
	v_lshlrev_b32_e32 v3, 2, v3
	s_sub_i32 s22, s21, s20
	v_xor_b32_e32 v4, -1, v8
	v_mov_b32_e32 v8, 1
	s_mov_b32 s23, s22
	v_mov_b32_e32 v9, v3
	s_mov_b32 s24, s20
	s_branch .LBB10_18
.LBB10_17:                              ;   in Loop: Header=BB10_18 Depth=1
	s_or_b64 exec, exec, s[18:19]
	s_add_i32 s24, s24, 8
	s_add_i32 s23, s23, -8
	s_cmp_ge_u32 s24, s21
	v_add_u32_e32 v9, 0x1000, v9
	s_cbranch_scc1 .LBB10_20
.LBB10_18:                              ; =>This Inner Loop Header: Depth=1
	s_and_saveexec_b64 s[18:19], s[6:7]
	s_cbranch_execz .LBB10_17
; %bb.19:                               ;   in Loop: Header=BB10_18 Depth=1
	s_min_u32 s25, s23, 8
	v_lshrrev_b32_sdwa v10, s24, v4 dst_sel:DWORD dst_unused:UNUSED_PAD src0_sel:DWORD src1_sel:BYTE_0
	v_bfe_u32 v10, v10, 0, s25
	v_lshl_add_u32 v10, v10, 4, v9
	ds_add_u32 v10, v8
	s_branch .LBB10_17
.LBB10_20:
	v_xor_b32_e32 v4, -1, v7
	v_mov_b32_e32 v7, 1
	s_mov_b32 s18, s22
	v_mov_b32_e32 v8, v3
	s_mov_b32 s19, s20
	s_branch .LBB10_22
.LBB10_21:                              ;   in Loop: Header=BB10_22 Depth=1
	s_or_b64 exec, exec, s[6:7]
	s_add_i32 s19, s19, 8
	s_add_i32 s18, s18, -8
	s_cmp_lt_u32 s19, s21
	v_add_u32_e32 v8, 0x1000, v8
	s_cbranch_scc0 .LBB10_24
.LBB10_22:                              ; =>This Inner Loop Header: Depth=1
	s_and_saveexec_b64 s[6:7], s[0:1]
	s_cbranch_execz .LBB10_21
; %bb.23:                               ;   in Loop: Header=BB10_22 Depth=1
	s_min_u32 s23, s18, 8
	v_lshrrev_b32_sdwa v9, s19, v4 dst_sel:DWORD dst_unused:UNUSED_PAD src0_sel:DWORD src1_sel:BYTE_0
	v_bfe_u32 v9, v9, 0, s23
	v_lshl_add_u32 v9, v9, 4, v8
	ds_add_u32 v9, v7
	s_branch .LBB10_21
.LBB10_24:
	v_xor_b32_e32 v2, -1, v2
	v_mov_b32_e32 v4, 1
	s_mov_b32 s6, s22
	v_mov_b32_e32 v7, v3
	s_mov_b32 s7, s20
	s_branch .LBB10_26
.LBB10_25:                              ;   in Loop: Header=BB10_26 Depth=1
	s_or_b64 exec, exec, s[0:1]
	s_add_i32 s7, s7, 8
	s_add_i32 s6, s6, -8
	s_cmp_lt_u32 s7, s21
	v_add_u32_e32 v7, 0x1000, v7
	s_cbranch_scc0 .LBB10_28
.LBB10_26:                              ; =>This Inner Loop Header: Depth=1
	s_and_saveexec_b64 s[0:1], s[2:3]
	s_cbranch_execz .LBB10_25
; %bb.27:                               ;   in Loop: Header=BB10_26 Depth=1
	s_min_u32 s18, s6, 8
	v_lshrrev_b32_sdwa v8, s7, v2 dst_sel:DWORD dst_unused:UNUSED_PAD src0_sel:DWORD src1_sel:BYTE_0
	v_bfe_u32 v8, v8, 0, s18
	v_lshl_add_u32 v8, v8, 4, v7
	ds_add_u32 v8, v4
	s_branch .LBB10_25
.LBB10_28:
	;; [unrolled: 24-line block ×4, first 2 shown]
	v_xor_b32_e32 v1, -1, v1
	v_mov_b32_e32 v2, 1
	s_mov_b32 s2, s20
	s_branch .LBB10_38
.LBB10_37:                              ;   in Loop: Header=BB10_38 Depth=1
	s_or_b64 exec, exec, s[0:1]
	s_add_i32 s2, s2, 8
	s_add_i32 s22, s22, -8
	s_cmp_lt_u32 s2, s21
	v_add_u32_e32 v3, 0x1000, v3
	s_cbranch_scc0 .LBB10_40
.LBB10_38:                              ; =>This Inner Loop Header: Depth=1
	s_and_saveexec_b64 s[0:1], s[10:11]
	s_cbranch_execz .LBB10_37
; %bb.39:                               ;   in Loop: Header=BB10_38 Depth=1
	s_min_u32 s3, s22, 8
	v_lshrrev_b32_sdwa v4, s2, v1 dst_sel:DWORD dst_unused:UNUSED_PAD src0_sel:DWORD src1_sel:BYTE_0
	v_bfe_u32 v4, v4, 0, s3
	v_lshl_add_u32 v4, v4, 4, v3
	ds_add_u32 v4, v2
	s_branch .LBB10_37
.LBB10_40:
	s_and_b64 vcc, exec, s[16:17]
	s_waitcnt lgkmcnt(0)
	s_barrier
	s_cbranch_vccz .LBB10_45
; %bb.41:
	s_movk_i32 s0, 0x100
	v_cmp_gt_u32_e32 vcc, s0, v0
	v_lshlrev_b32_e32 v3, 4, v0
	v_mov_b32_e32 v2, 0
	v_mov_b32_e32 v1, v0
	s_mov_b32 s4, s20
	s_branch .LBB10_43
.LBB10_42:                              ;   in Loop: Header=BB10_43 Depth=1
	s_or_b64 exec, exec, s[2:3]
	s_add_i32 s4, s4, 8
	v_add_u32_e32 v1, 0x100, v1
	s_cmp_lt_u32 s4, s21
	v_add_u32_e32 v3, 0x1000, v3
	s_cbranch_scc0 .LBB10_45
.LBB10_43:                              ; =>This Inner Loop Header: Depth=1
	s_and_saveexec_b64 s[2:3], vcc
	s_cbranch_execz .LBB10_42
; %bb.44:                               ;   in Loop: Header=BB10_43 Depth=1
	ds_read2_b32 v[4:5], v3 offset1:1
	ds_read2_b32 v[6:7], v3 offset0:2 offset1:3
	v_lshlrev_b64 v[8:9], 3, v[1:2]
	v_mov_b32_e32 v10, s15
	s_waitcnt lgkmcnt(1)
	v_add_u32_e32 v4, v5, v4
	s_waitcnt lgkmcnt(0)
	v_add3_u32 v4, v4, v6, v7
	v_add_co_u32_e64 v6, s[0:1], s14, v8
	v_addc_co_u32_e64 v7, s[0:1], v10, v9, s[0:1]
	v_mov_b32_e32 v5, v2
	global_atomic_add_x2 v[6:7], v[4:5], off
	s_branch .LBB10_42
.LBB10_45:
	s_mov_b64 s[0:1], 0
.LBB10_46:
	s_and_b64 vcc, exec, s[0:1]
	s_cbranch_vccz .LBB10_74
; %bb.47:
	global_load_ubyte v3, v0, s[12:13]
	global_load_ubyte v4, v0, s[12:13] offset:512
	global_load_ubyte v5, v0, s[12:13] offset:1024
	;; [unrolled: 1-line block ×5, first 2 shown]
	s_cmp_eq_u32 s20, 0
	s_cselect_b64 s[0:1], -1, 0
	s_cmp_eq_u32 s21, 8
	s_cselect_b64 s[2:3], -1, 0
	s_and_b64 s[2:3], s[0:1], s[2:3]
	v_mov_b32_e32 v1, 0
	s_mov_b64 s[0:1], -1
	s_and_b64 vcc, exec, s[2:3]
	v_lshlrev_b32_e32 v9, 2, v0
	s_cbranch_vccnz .LBB10_69
; %bb.48:
	v_or_b32_e32 v2, 0xfffffe00, v0
	v_lshlrev_b32_e32 v10, 2, v0
	s_mov_b64 s[0:1], 0
.LBB10_49:                              ; =>This Inner Loop Header: Depth=1
	v_add_co_u32_e32 v2, vcc, 0x200, v2
	s_xor_b64 s[2:3], vcc, -1
	s_and_b64 s[2:3], exec, s[2:3]
	ds_write_b32 v10, v1
	s_or_b64 s[0:1], s[2:3], s[0:1]
	v_add_u32_e32 v10, 0x800, v10
	s_andn2_b64 exec, exec, s[0:1]
	s_cbranch_execnz .LBB10_49
; %bb.50:
	s_or_b64 exec, exec, s[0:1]
	s_cmp_gt_u32 s21, s20
	s_cselect_b64 s[0:1], -1, 0
	s_cmp_le_u32 s21, s20
	s_waitcnt vmcnt(0) lgkmcnt(0)
	s_barrier
	s_cbranch_scc1 .LBB10_63
; %bb.51:
	v_and_b32_e32 v1, 3, v0
	v_lshlrev_b32_e32 v1, 2, v1
	s_sub_i32 s2, s21, s20
	v_xor_b32_e32 v2, -1, v3
	v_mov_b32_e32 v10, 1
	s_mov_b32 s3, s2
	v_mov_b32_e32 v11, v1
	s_mov_b32 s4, s20
.LBB10_52:                              ; =>This Inner Loop Header: Depth=1
	s_min_u32 s5, s3, 8
	v_lshrrev_b32_sdwa v12, s4, v2 dst_sel:DWORD dst_unused:UNUSED_PAD src0_sel:DWORD src1_sel:BYTE_0
	v_bfe_u32 v12, v12, 0, s5
	v_lshl_add_u32 v12, v12, 4, v11
	ds_add_u32 v12, v10
	s_add_i32 s4, s4, 8
	s_add_i32 s3, s3, -8
	s_cmp_ge_u32 s4, s21
	v_add_u32_e32 v11, 0x1000, v11
	s_cbranch_scc0 .LBB10_52
; %bb.53:
	v_xor_b32_e32 v2, -1, v4
	v_mov_b32_e32 v10, 1
	s_mov_b32 s3, s2
	v_mov_b32_e32 v11, v1
	s_mov_b32 s4, s20
.LBB10_54:                              ; =>This Inner Loop Header: Depth=1
	s_min_u32 s5, s3, 8
	v_lshrrev_b32_sdwa v12, s4, v2 dst_sel:DWORD dst_unused:UNUSED_PAD src0_sel:DWORD src1_sel:BYTE_0
	v_bfe_u32 v12, v12, 0, s5
	v_lshl_add_u32 v12, v12, 4, v11
	ds_add_u32 v12, v10
	s_add_i32 s4, s4, 8
	s_add_i32 s3, s3, -8
	s_cmp_lt_u32 s4, s21
	v_add_u32_e32 v11, 0x1000, v11
	s_cbranch_scc1 .LBB10_54
; %bb.55:
	v_xor_b32_e32 v2, -1, v5
	v_mov_b32_e32 v10, 1
	s_mov_b32 s3, s2
	v_mov_b32_e32 v11, v1
	s_mov_b32 s4, s20
.LBB10_56:                              ; =>This Inner Loop Header: Depth=1
	s_min_u32 s5, s3, 8
	v_lshrrev_b32_sdwa v12, s4, v2 dst_sel:DWORD dst_unused:UNUSED_PAD src0_sel:DWORD src1_sel:BYTE_0
	v_bfe_u32 v12, v12, 0, s5
	v_lshl_add_u32 v12, v12, 4, v11
	ds_add_u32 v12, v10
	s_add_i32 s4, s4, 8
	s_add_i32 s3, s3, -8
	s_cmp_lt_u32 s4, s21
	v_add_u32_e32 v11, 0x1000, v11
	s_cbranch_scc1 .LBB10_56
	;; [unrolled: 17-line block ×4, first 2 shown]
; %bb.61:
	v_xor_b32_e32 v2, -1, v8
	v_mov_b32_e32 v10, 1
	s_mov_b32 s3, s20
.LBB10_62:                              ; =>This Inner Loop Header: Depth=1
	s_min_u32 s4, s2, 8
	v_lshrrev_b32_sdwa v11, s3, v2 dst_sel:DWORD dst_unused:UNUSED_PAD src0_sel:DWORD src1_sel:BYTE_0
	v_bfe_u32 v11, v11, 0, s4
	v_lshl_add_u32 v11, v11, 4, v1
	ds_add_u32 v11, v10
	s_add_i32 s3, s3, 8
	s_add_i32 s2, s2, -8
	s_cmp_lt_u32 s3, s21
	v_add_u32_e32 v1, 0x1000, v1
	s_cbranch_scc1 .LBB10_62
.LBB10_63:
	s_and_b64 vcc, exec, s[0:1]
	s_waitcnt lgkmcnt(0)
	s_barrier
	s_cbranch_vccz .LBB10_68
; %bb.64:
	s_movk_i32 s0, 0x100
	v_cmp_gt_u32_e32 vcc, s0, v0
	v_lshlrev_b32_e32 v10, 4, v0
	v_mov_b32_e32 v2, 0
	v_mov_b32_e32 v1, v0
	s_branch .LBB10_66
.LBB10_65:                              ;   in Loop: Header=BB10_66 Depth=1
	s_or_b64 exec, exec, s[2:3]
	s_add_i32 s20, s20, 8
	v_add_u32_e32 v1, 0x100, v1
	s_cmp_ge_u32 s20, s21
	v_add_u32_e32 v10, 0x1000, v10
	s_cbranch_scc1 .LBB10_68
.LBB10_66:                              ; =>This Inner Loop Header: Depth=1
	s_and_saveexec_b64 s[2:3], vcc
	s_cbranch_execz .LBB10_65
; %bb.67:                               ;   in Loop: Header=BB10_66 Depth=1
	ds_read2_b32 v[11:12], v10 offset1:1
	ds_read2_b32 v[13:14], v10 offset0:2 offset1:3
	v_lshlrev_b64 v[15:16], 3, v[1:2]
	v_mov_b32_e32 v17, s15
	s_waitcnt lgkmcnt(1)
	v_add_u32_e32 v11, v12, v11
	s_waitcnt lgkmcnt(0)
	v_add3_u32 v11, v11, v13, v14
	v_add_co_u32_e64 v13, s[0:1], s14, v15
	v_addc_co_u32_e64 v14, s[0:1], v17, v16, s[0:1]
	v_mov_b32_e32 v12, v2
	global_atomic_add_x2 v[13:14], v[11:12], off
	s_branch .LBB10_65
.LBB10_68:
	s_mov_b64 s[0:1], 0
.LBB10_69:
	s_and_b64 vcc, exec, s[0:1]
	s_cbranch_vccz .LBB10_74
; %bb.70:
	v_or_b32_e32 v1, 0xfffffe00, v0
	s_mov_b64 s[0:1], 0
	v_mov_b32_e32 v2, 0
.LBB10_71:                              ; =>This Inner Loop Header: Depth=1
	v_add_co_u32_e32 v1, vcc, 0x200, v1
	s_xor_b64 s[2:3], vcc, -1
	s_and_b64 s[2:3], exec, s[2:3]
	ds_write_b32 v9, v2
	s_or_b64 s[0:1], s[2:3], s[0:1]
	v_add_u32_e32 v9, 0x800, v9
	s_andn2_b64 exec, exec, s[0:1]
	s_cbranch_execnz .LBB10_71
; %bb.72:
	s_or_b64 exec, exec, s[0:1]
	s_waitcnt vmcnt(5)
	v_xor_b32_e32 v1, -1, v3
	s_waitcnt vmcnt(3)
	v_xor_b32_e32 v3, -1, v5
	;; [unrolled: 2-line block ×3, first 2 shown]
	v_and_b32_e32 v7, 3, v0
	v_and_b32_e32 v1, 0xff, v1
	v_lshlrev_b32_e32 v7, 2, v7
	v_xor_b32_e32 v2, -1, v4
	v_xor_b32_e32 v4, -1, v6
	s_waitcnt vmcnt(0)
	v_xor_b32_e32 v6, -1, v8
	v_lshl_or_b32 v1, v1, 4, v7
	v_mov_b32_e32 v8, 1
	s_waitcnt lgkmcnt(0)
	s_barrier
	ds_add_u32 v1, v8
	v_and_b32_e32 v1, 0xff, v2
	v_lshl_or_b32 v1, v1, 4, v7
	ds_add_u32 v1, v8
	v_and_b32_e32 v1, 0xff, v3
	v_lshl_or_b32 v1, v1, 4, v7
	;; [unrolled: 3-line block ×5, first 2 shown]
	ds_add_u32 v1, v8
	s_movk_i32 s0, 0x100
	v_cmp_gt_u32_e32 vcc, s0, v0
	s_waitcnt lgkmcnt(0)
	s_barrier
	s_and_saveexec_b64 s[0:1], vcc
	s_cbranch_execz .LBB10_74
; %bb.73:
	v_lshlrev_b32_e32 v3, 4, v0
	ds_read2_b32 v[1:2], v3 offset1:1
	ds_read2_b32 v[3:4], v3 offset0:2 offset1:3
	v_lshlrev_b32_e32 v5, 3, v0
	s_waitcnt lgkmcnt(1)
	v_add_u32_e32 v0, v2, v1
	s_waitcnt lgkmcnt(0)
	v_add3_u32 v0, v0, v3, v4
	v_mov_b32_e32 v1, 0
	global_atomic_add_x2 v5, v[0:1], s[14:15]
.LBB10_74:
	s_endpgm
	.section	.rodata,"a",@progbits
	.p2align	6, 0x0
	.amdhsa_kernel _ZN7rocprim17ROCPRIM_304000_NS6detail26onesweep_histograms_kernelINS1_34wrapped_radix_sort_onesweep_configINS0_14default_configEhN2at4cuda3cub6detail10OpaqueTypeILi8EEEEELb1EPKhmNS0_19identity_decomposerEEEvT1_PT2_SG_SG_T3_jj
		.amdhsa_group_segment_fixed_size 4096
		.amdhsa_private_segment_fixed_size 0
		.amdhsa_kernarg_size 44
		.amdhsa_user_sgpr_count 6
		.amdhsa_user_sgpr_private_segment_buffer 1
		.amdhsa_user_sgpr_dispatch_ptr 0
		.amdhsa_user_sgpr_queue_ptr 0
		.amdhsa_user_sgpr_kernarg_segment_ptr 1
		.amdhsa_user_sgpr_dispatch_id 0
		.amdhsa_user_sgpr_flat_scratch_init 0
		.amdhsa_user_sgpr_private_segment_size 0
		.amdhsa_uses_dynamic_stack 0
		.amdhsa_system_sgpr_private_segment_wavefront_offset 0
		.amdhsa_system_sgpr_workgroup_id_x 1
		.amdhsa_system_sgpr_workgroup_id_y 0
		.amdhsa_system_sgpr_workgroup_id_z 0
		.amdhsa_system_sgpr_workgroup_info 0
		.amdhsa_system_vgpr_workitem_id 0
		.amdhsa_next_free_vgpr 18
		.amdhsa_next_free_sgpr 26
		.amdhsa_reserve_vcc 1
		.amdhsa_reserve_flat_scratch 0
		.amdhsa_float_round_mode_32 0
		.amdhsa_float_round_mode_16_64 0
		.amdhsa_float_denorm_mode_32 3
		.amdhsa_float_denorm_mode_16_64 3
		.amdhsa_dx10_clamp 1
		.amdhsa_ieee_mode 1
		.amdhsa_fp16_overflow 0
		.amdhsa_exception_fp_ieee_invalid_op 0
		.amdhsa_exception_fp_denorm_src 0
		.amdhsa_exception_fp_ieee_div_zero 0
		.amdhsa_exception_fp_ieee_overflow 0
		.amdhsa_exception_fp_ieee_underflow 0
		.amdhsa_exception_fp_ieee_inexact 0
		.amdhsa_exception_int_div_zero 0
	.end_amdhsa_kernel
	.section	.text._ZN7rocprim17ROCPRIM_304000_NS6detail26onesweep_histograms_kernelINS1_34wrapped_radix_sort_onesweep_configINS0_14default_configEhN2at4cuda3cub6detail10OpaqueTypeILi8EEEEELb1EPKhmNS0_19identity_decomposerEEEvT1_PT2_SG_SG_T3_jj,"axG",@progbits,_ZN7rocprim17ROCPRIM_304000_NS6detail26onesweep_histograms_kernelINS1_34wrapped_radix_sort_onesweep_configINS0_14default_configEhN2at4cuda3cub6detail10OpaqueTypeILi8EEEEELb1EPKhmNS0_19identity_decomposerEEEvT1_PT2_SG_SG_T3_jj,comdat
.Lfunc_end10:
	.size	_ZN7rocprim17ROCPRIM_304000_NS6detail26onesweep_histograms_kernelINS1_34wrapped_radix_sort_onesweep_configINS0_14default_configEhN2at4cuda3cub6detail10OpaqueTypeILi8EEEEELb1EPKhmNS0_19identity_decomposerEEEvT1_PT2_SG_SG_T3_jj, .Lfunc_end10-_ZN7rocprim17ROCPRIM_304000_NS6detail26onesweep_histograms_kernelINS1_34wrapped_radix_sort_onesweep_configINS0_14default_configEhN2at4cuda3cub6detail10OpaqueTypeILi8EEEEELb1EPKhmNS0_19identity_decomposerEEEvT1_PT2_SG_SG_T3_jj
                                        ; -- End function
	.set _ZN7rocprim17ROCPRIM_304000_NS6detail26onesweep_histograms_kernelINS1_34wrapped_radix_sort_onesweep_configINS0_14default_configEhN2at4cuda3cub6detail10OpaqueTypeILi8EEEEELb1EPKhmNS0_19identity_decomposerEEEvT1_PT2_SG_SG_T3_jj.num_vgpr, 18
	.set _ZN7rocprim17ROCPRIM_304000_NS6detail26onesweep_histograms_kernelINS1_34wrapped_radix_sort_onesweep_configINS0_14default_configEhN2at4cuda3cub6detail10OpaqueTypeILi8EEEEELb1EPKhmNS0_19identity_decomposerEEEvT1_PT2_SG_SG_T3_jj.num_agpr, 0
	.set _ZN7rocprim17ROCPRIM_304000_NS6detail26onesweep_histograms_kernelINS1_34wrapped_radix_sort_onesweep_configINS0_14default_configEhN2at4cuda3cub6detail10OpaqueTypeILi8EEEEELb1EPKhmNS0_19identity_decomposerEEEvT1_PT2_SG_SG_T3_jj.numbered_sgpr, 26
	.set _ZN7rocprim17ROCPRIM_304000_NS6detail26onesweep_histograms_kernelINS1_34wrapped_radix_sort_onesweep_configINS0_14default_configEhN2at4cuda3cub6detail10OpaqueTypeILi8EEEEELb1EPKhmNS0_19identity_decomposerEEEvT1_PT2_SG_SG_T3_jj.num_named_barrier, 0
	.set _ZN7rocprim17ROCPRIM_304000_NS6detail26onesweep_histograms_kernelINS1_34wrapped_radix_sort_onesweep_configINS0_14default_configEhN2at4cuda3cub6detail10OpaqueTypeILi8EEEEELb1EPKhmNS0_19identity_decomposerEEEvT1_PT2_SG_SG_T3_jj.private_seg_size, 0
	.set _ZN7rocprim17ROCPRIM_304000_NS6detail26onesweep_histograms_kernelINS1_34wrapped_radix_sort_onesweep_configINS0_14default_configEhN2at4cuda3cub6detail10OpaqueTypeILi8EEEEELb1EPKhmNS0_19identity_decomposerEEEvT1_PT2_SG_SG_T3_jj.uses_vcc, 1
	.set _ZN7rocprim17ROCPRIM_304000_NS6detail26onesweep_histograms_kernelINS1_34wrapped_radix_sort_onesweep_configINS0_14default_configEhN2at4cuda3cub6detail10OpaqueTypeILi8EEEEELb1EPKhmNS0_19identity_decomposerEEEvT1_PT2_SG_SG_T3_jj.uses_flat_scratch, 0
	.set _ZN7rocprim17ROCPRIM_304000_NS6detail26onesweep_histograms_kernelINS1_34wrapped_radix_sort_onesweep_configINS0_14default_configEhN2at4cuda3cub6detail10OpaqueTypeILi8EEEEELb1EPKhmNS0_19identity_decomposerEEEvT1_PT2_SG_SG_T3_jj.has_dyn_sized_stack, 0
	.set _ZN7rocprim17ROCPRIM_304000_NS6detail26onesweep_histograms_kernelINS1_34wrapped_radix_sort_onesweep_configINS0_14default_configEhN2at4cuda3cub6detail10OpaqueTypeILi8EEEEELb1EPKhmNS0_19identity_decomposerEEEvT1_PT2_SG_SG_T3_jj.has_recursion, 0
	.set _ZN7rocprim17ROCPRIM_304000_NS6detail26onesweep_histograms_kernelINS1_34wrapped_radix_sort_onesweep_configINS0_14default_configEhN2at4cuda3cub6detail10OpaqueTypeILi8EEEEELb1EPKhmNS0_19identity_decomposerEEEvT1_PT2_SG_SG_T3_jj.has_indirect_call, 0
	.section	.AMDGPU.csdata,"",@progbits
; Kernel info:
; codeLenInByte = 2380
; TotalNumSgprs: 30
; NumVgprs: 18
; ScratchSize: 0
; MemoryBound: 0
; FloatMode: 240
; IeeeMode: 1
; LDSByteSize: 4096 bytes/workgroup (compile time only)
; SGPRBlocks: 3
; VGPRBlocks: 4
; NumSGPRsForWavesPerEU: 30
; NumVGPRsForWavesPerEU: 18
; Occupancy: 10
; WaveLimiterHint : 1
; COMPUTE_PGM_RSRC2:SCRATCH_EN: 0
; COMPUTE_PGM_RSRC2:USER_SGPR: 6
; COMPUTE_PGM_RSRC2:TRAP_HANDLER: 0
; COMPUTE_PGM_RSRC2:TGID_X_EN: 1
; COMPUTE_PGM_RSRC2:TGID_Y_EN: 0
; COMPUTE_PGM_RSRC2:TGID_Z_EN: 0
; COMPUTE_PGM_RSRC2:TIDIG_COMP_CNT: 0
	.section	.text._ZN7rocprim17ROCPRIM_304000_NS6detail31onesweep_scan_histograms_kernelINS1_34wrapped_radix_sort_onesweep_configINS0_14default_configEhN2at4cuda3cub6detail10OpaqueTypeILi8EEEEEmEEvPT0_,"axG",@progbits,_ZN7rocprim17ROCPRIM_304000_NS6detail31onesweep_scan_histograms_kernelINS1_34wrapped_radix_sort_onesweep_configINS0_14default_configEhN2at4cuda3cub6detail10OpaqueTypeILi8EEEEEmEEvPT0_,comdat
	.protected	_ZN7rocprim17ROCPRIM_304000_NS6detail31onesweep_scan_histograms_kernelINS1_34wrapped_radix_sort_onesweep_configINS0_14default_configEhN2at4cuda3cub6detail10OpaqueTypeILi8EEEEEmEEvPT0_ ; -- Begin function _ZN7rocprim17ROCPRIM_304000_NS6detail31onesweep_scan_histograms_kernelINS1_34wrapped_radix_sort_onesweep_configINS0_14default_configEhN2at4cuda3cub6detail10OpaqueTypeILi8EEEEEmEEvPT0_
	.globl	_ZN7rocprim17ROCPRIM_304000_NS6detail31onesweep_scan_histograms_kernelINS1_34wrapped_radix_sort_onesweep_configINS0_14default_configEhN2at4cuda3cub6detail10OpaqueTypeILi8EEEEEmEEvPT0_
	.p2align	8
	.type	_ZN7rocprim17ROCPRIM_304000_NS6detail31onesweep_scan_histograms_kernelINS1_34wrapped_radix_sort_onesweep_configINS0_14default_configEhN2at4cuda3cub6detail10OpaqueTypeILi8EEEEEmEEvPT0_,@function
_ZN7rocprim17ROCPRIM_304000_NS6detail31onesweep_scan_histograms_kernelINS1_34wrapped_radix_sort_onesweep_configINS0_14default_configEhN2at4cuda3cub6detail10OpaqueTypeILi8EEEEEmEEvPT0_: ; @_ZN7rocprim17ROCPRIM_304000_NS6detail31onesweep_scan_histograms_kernelINS1_34wrapped_radix_sort_onesweep_configINS0_14default_configEhN2at4cuda3cub6detail10OpaqueTypeILi8EEEEEmEEvPT0_
; %bb.0:
	s_load_dwordx2 s[0:1], s[4:5], 0x0
	s_lshl_b32 s2, s6, 8
	s_mov_b32 s3, 0
	s_lshl_b64 s[2:3], s[2:3], 3
	v_lshlrev_b32_e32 v5, 3, v0
	s_waitcnt lgkmcnt(0)
	s_add_u32 s2, s0, s2
	s_movk_i32 s0, 0x100
	s_addc_u32 s3, s1, s3
	v_cmp_gt_u32_e32 vcc, s0, v0
                                        ; implicit-def: $vgpr1_vgpr2
	s_and_saveexec_b64 s[0:1], vcc
	s_cbranch_execz .LBB11_2
; %bb.1:
	global_load_dwordx2 v[1:2], v5, s[2:3]
.LBB11_2:
	s_or_b64 exec, exec, s[0:1]
	v_mbcnt_lo_u32_b32 v3, -1, 0
	v_mbcnt_hi_u32_b32 v6, -1, v3
	v_and_b32_e32 v4, 15, v6
	s_waitcnt vmcnt(0)
	v_mov_b32_dpp v8, v1 row_shr:1 row_mask:0xf bank_mask:0xf
	v_mov_b32_dpp v7, v2 row_shr:1 row_mask:0xf bank_mask:0xf
	v_cmp_ne_u32_e64 s[0:1], 0, v4
	v_mov_b32_e32 v3, v1
	s_and_saveexec_b64 s[4:5], s[0:1]
; %bb.3:
	v_add_co_u32_e64 v3, s[0:1], v1, v8
	v_addc_co_u32_e64 v2, s[0:1], 0, v2, s[0:1]
	v_add_co_u32_e64 v1, s[0:1], 0, v3
	v_addc_co_u32_e64 v2, s[0:1], v7, v2, s[0:1]
; %bb.4:
	s_or_b64 exec, exec, s[4:5]
	v_mov_b32_dpp v8, v3 row_shr:2 row_mask:0xf bank_mask:0xf
	v_mov_b32_dpp v7, v2 row_shr:2 row_mask:0xf bank_mask:0xf
	v_cmp_lt_u32_e64 s[0:1], 1, v4
	s_and_saveexec_b64 s[4:5], s[0:1]
; %bb.5:
	v_add_co_u32_e64 v3, s[0:1], v1, v8
	v_addc_co_u32_e64 v2, s[0:1], 0, v2, s[0:1]
	v_add_co_u32_e64 v1, s[0:1], 0, v3
	v_addc_co_u32_e64 v2, s[0:1], v7, v2, s[0:1]
; %bb.6:
	s_or_b64 exec, exec, s[4:5]
	v_mov_b32_dpp v8, v3 row_shr:4 row_mask:0xf bank_mask:0xf
	v_mov_b32_dpp v7, v2 row_shr:4 row_mask:0xf bank_mask:0xf
	v_cmp_lt_u32_e64 s[0:1], 3, v4
	;; [unrolled: 11-line block ×3, first 2 shown]
	s_and_saveexec_b64 s[4:5], s[0:1]
; %bb.9:
	v_add_co_u32_e64 v3, s[0:1], v1, v8
	v_addc_co_u32_e64 v2, s[0:1], 0, v2, s[0:1]
	v_add_co_u32_e64 v1, s[0:1], 0, v3
	v_addc_co_u32_e64 v2, s[0:1], v7, v2, s[0:1]
; %bb.10:
	s_or_b64 exec, exec, s[4:5]
	v_and_b32_e32 v8, 16, v6
	v_mov_b32_dpp v7, v3 row_bcast:15 row_mask:0xf bank_mask:0xf
	v_mov_b32_dpp v4, v2 row_bcast:15 row_mask:0xf bank_mask:0xf
	v_cmp_ne_u32_e64 s[0:1], 0, v8
	s_and_saveexec_b64 s[4:5], s[0:1]
; %bb.11:
	v_add_co_u32_e64 v3, s[0:1], v1, v7
	v_addc_co_u32_e64 v2, s[0:1], 0, v2, s[0:1]
	v_add_co_u32_e64 v1, s[0:1], 0, v3
	v_addc_co_u32_e64 v2, s[0:1], v4, v2, s[0:1]
; %bb.12:
	s_or_b64 exec, exec, s[4:5]
	v_mov_b32_dpp v3, v3 row_bcast:31 row_mask:0xf bank_mask:0xf
	v_add_co_u32_e64 v3, s[0:1], v1, v3
	v_addc_co_u32_e64 v7, s[0:1], 0, v2, s[0:1]
	v_mov_b32_dpp v4, v2 row_bcast:31 row_mask:0xf bank_mask:0xf
	v_add_co_u32_e64 v3, s[0:1], 0, v3
	v_addc_co_u32_e64 v4, s[0:1], v7, v4, s[0:1]
	v_cmp_lt_u32_e64 s[0:1], 31, v6
	v_cndmask_b32_e64 v1, v1, v3, s[0:1]
	v_or_b32_e32 v3, 63, v0
	v_cndmask_b32_e64 v2, v2, v4, s[0:1]
	v_lshrrev_b32_e32 v7, 6, v0
	v_cmp_eq_u32_e64 s[0:1], v0, v3
	s_and_saveexec_b64 s[4:5], s[0:1]
; %bb.13:
	v_lshlrev_b32_e32 v3, 3, v7
	ds_write_b64 v3, v[1:2]
; %bb.14:
	s_or_b64 exec, exec, s[4:5]
	v_cmp_gt_u32_e64 s[0:1], 8, v0
	s_waitcnt lgkmcnt(0)
	s_barrier
	s_and_saveexec_b64 s[4:5], s[0:1]
	s_cbranch_execz .LBB11_20
; %bb.15:
	ds_read_b64 v[3:4], v5
	v_and_b32_e32 v8, 7, v6
	v_cmp_ne_u32_e64 s[0:1], 0, v8
	s_waitcnt lgkmcnt(0)
	v_mov_b32_dpp v11, v3 row_shr:1 row_mask:0xf bank_mask:0xf
	v_mov_b32_dpp v10, v4 row_shr:1 row_mask:0xf bank_mask:0xf
	v_mov_b32_e32 v9, v3
	s_and_saveexec_b64 s[6:7], s[0:1]
; %bb.16:
	v_add_co_u32_e64 v9, s[0:1], v3, v11
	v_addc_co_u32_e64 v4, s[0:1], 0, v4, s[0:1]
	v_add_co_u32_e64 v3, s[0:1], 0, v9
	v_addc_co_u32_e64 v4, s[0:1], v10, v4, s[0:1]
; %bb.17:
	s_or_b64 exec, exec, s[6:7]
	v_mov_b32_dpp v11, v9 row_shr:2 row_mask:0xf bank_mask:0xf
	v_mov_b32_dpp v10, v4 row_shr:2 row_mask:0xf bank_mask:0xf
	v_cmp_lt_u32_e64 s[0:1], 1, v8
	s_and_saveexec_b64 s[6:7], s[0:1]
; %bb.18:
	v_add_co_u32_e64 v9, s[0:1], v3, v11
	v_addc_co_u32_e64 v4, s[0:1], 0, v4, s[0:1]
	v_add_co_u32_e64 v3, s[0:1], 0, v9
	v_addc_co_u32_e64 v4, s[0:1], v10, v4, s[0:1]
; %bb.19:
	s_or_b64 exec, exec, s[6:7]
	v_mov_b32_dpp v9, v9 row_shr:4 row_mask:0xf bank_mask:0xf
	v_cmp_lt_u32_e64 s[0:1], 3, v8
	v_mov_b32_dpp v10, v4 row_shr:4 row_mask:0xf bank_mask:0xf
	v_cndmask_b32_e64 v9, 0, v9, s[0:1]
	v_cndmask_b32_e64 v8, 0, v10, s[0:1]
	v_add_co_u32_e64 v3, s[0:1], v9, v3
	v_addc_co_u32_e64 v4, s[0:1], v8, v4, s[0:1]
	ds_write_b64 v5, v[3:4]
.LBB11_20:
	s_or_b64 exec, exec, s[4:5]
	v_mov_b32_e32 v3, 0
	v_mov_b32_e32 v4, 0
	v_cmp_lt_u32_e64 s[0:1], 63, v0
	s_waitcnt lgkmcnt(0)
	s_barrier
	s_and_saveexec_b64 s[4:5], s[0:1]
; %bb.21:
	v_lshl_add_u32 v0, v7, 3, -8
	ds_read_b64 v[3:4], v0
; %bb.22:
	s_or_b64 exec, exec, s[4:5]
	s_waitcnt lgkmcnt(0)
	v_add_co_u32_e64 v0, s[0:1], v3, v1
	v_addc_co_u32_e64 v1, s[0:1], v4, v2, s[0:1]
	v_add_u32_e32 v2, -1, v6
	v_and_b32_e32 v7, 64, v6
	v_cmp_lt_i32_e64 s[0:1], v2, v7
	v_cndmask_b32_e64 v2, v2, v6, s[0:1]
	v_lshlrev_b32_e32 v2, 2, v2
	ds_bpermute_b32 v0, v2, v0
	ds_bpermute_b32 v1, v2, v1
	s_and_saveexec_b64 s[0:1], vcc
	s_cbranch_execz .LBB11_24
; %bb.23:
	v_cmp_eq_u32_e32 vcc, 0, v6
	s_waitcnt lgkmcnt(0)
	v_cndmask_b32_e32 v1, v1, v4, vcc
	v_cndmask_b32_e32 v0, v0, v3, vcc
	global_store_dwordx2 v5, v[0:1], s[2:3]
.LBB11_24:
	s_endpgm
	.section	.rodata,"a",@progbits
	.p2align	6, 0x0
	.amdhsa_kernel _ZN7rocprim17ROCPRIM_304000_NS6detail31onesweep_scan_histograms_kernelINS1_34wrapped_radix_sort_onesweep_configINS0_14default_configEhN2at4cuda3cub6detail10OpaqueTypeILi8EEEEEmEEvPT0_
		.amdhsa_group_segment_fixed_size 64
		.amdhsa_private_segment_fixed_size 0
		.amdhsa_kernarg_size 8
		.amdhsa_user_sgpr_count 6
		.amdhsa_user_sgpr_private_segment_buffer 1
		.amdhsa_user_sgpr_dispatch_ptr 0
		.amdhsa_user_sgpr_queue_ptr 0
		.amdhsa_user_sgpr_kernarg_segment_ptr 1
		.amdhsa_user_sgpr_dispatch_id 0
		.amdhsa_user_sgpr_flat_scratch_init 0
		.amdhsa_user_sgpr_private_segment_size 0
		.amdhsa_uses_dynamic_stack 0
		.amdhsa_system_sgpr_private_segment_wavefront_offset 0
		.amdhsa_system_sgpr_workgroup_id_x 1
		.amdhsa_system_sgpr_workgroup_id_y 0
		.amdhsa_system_sgpr_workgroup_id_z 0
		.amdhsa_system_sgpr_workgroup_info 0
		.amdhsa_system_vgpr_workitem_id 0
		.amdhsa_next_free_vgpr 12
		.amdhsa_next_free_sgpr 8
		.amdhsa_reserve_vcc 1
		.amdhsa_reserve_flat_scratch 0
		.amdhsa_float_round_mode_32 0
		.amdhsa_float_round_mode_16_64 0
		.amdhsa_float_denorm_mode_32 3
		.amdhsa_float_denorm_mode_16_64 3
		.amdhsa_dx10_clamp 1
		.amdhsa_ieee_mode 1
		.amdhsa_fp16_overflow 0
		.amdhsa_exception_fp_ieee_invalid_op 0
		.amdhsa_exception_fp_denorm_src 0
		.amdhsa_exception_fp_ieee_div_zero 0
		.amdhsa_exception_fp_ieee_overflow 0
		.amdhsa_exception_fp_ieee_underflow 0
		.amdhsa_exception_fp_ieee_inexact 0
		.amdhsa_exception_int_div_zero 0
	.end_amdhsa_kernel
	.section	.text._ZN7rocprim17ROCPRIM_304000_NS6detail31onesweep_scan_histograms_kernelINS1_34wrapped_radix_sort_onesweep_configINS0_14default_configEhN2at4cuda3cub6detail10OpaqueTypeILi8EEEEEmEEvPT0_,"axG",@progbits,_ZN7rocprim17ROCPRIM_304000_NS6detail31onesweep_scan_histograms_kernelINS1_34wrapped_radix_sort_onesweep_configINS0_14default_configEhN2at4cuda3cub6detail10OpaqueTypeILi8EEEEEmEEvPT0_,comdat
.Lfunc_end11:
	.size	_ZN7rocprim17ROCPRIM_304000_NS6detail31onesweep_scan_histograms_kernelINS1_34wrapped_radix_sort_onesweep_configINS0_14default_configEhN2at4cuda3cub6detail10OpaqueTypeILi8EEEEEmEEvPT0_, .Lfunc_end11-_ZN7rocprim17ROCPRIM_304000_NS6detail31onesweep_scan_histograms_kernelINS1_34wrapped_radix_sort_onesweep_configINS0_14default_configEhN2at4cuda3cub6detail10OpaqueTypeILi8EEEEEmEEvPT0_
                                        ; -- End function
	.set _ZN7rocprim17ROCPRIM_304000_NS6detail31onesweep_scan_histograms_kernelINS1_34wrapped_radix_sort_onesweep_configINS0_14default_configEhN2at4cuda3cub6detail10OpaqueTypeILi8EEEEEmEEvPT0_.num_vgpr, 12
	.set _ZN7rocprim17ROCPRIM_304000_NS6detail31onesweep_scan_histograms_kernelINS1_34wrapped_radix_sort_onesweep_configINS0_14default_configEhN2at4cuda3cub6detail10OpaqueTypeILi8EEEEEmEEvPT0_.num_agpr, 0
	.set _ZN7rocprim17ROCPRIM_304000_NS6detail31onesweep_scan_histograms_kernelINS1_34wrapped_radix_sort_onesweep_configINS0_14default_configEhN2at4cuda3cub6detail10OpaqueTypeILi8EEEEEmEEvPT0_.numbered_sgpr, 8
	.set _ZN7rocprim17ROCPRIM_304000_NS6detail31onesweep_scan_histograms_kernelINS1_34wrapped_radix_sort_onesweep_configINS0_14default_configEhN2at4cuda3cub6detail10OpaqueTypeILi8EEEEEmEEvPT0_.num_named_barrier, 0
	.set _ZN7rocprim17ROCPRIM_304000_NS6detail31onesweep_scan_histograms_kernelINS1_34wrapped_radix_sort_onesweep_configINS0_14default_configEhN2at4cuda3cub6detail10OpaqueTypeILi8EEEEEmEEvPT0_.private_seg_size, 0
	.set _ZN7rocprim17ROCPRIM_304000_NS6detail31onesweep_scan_histograms_kernelINS1_34wrapped_radix_sort_onesweep_configINS0_14default_configEhN2at4cuda3cub6detail10OpaqueTypeILi8EEEEEmEEvPT0_.uses_vcc, 1
	.set _ZN7rocprim17ROCPRIM_304000_NS6detail31onesweep_scan_histograms_kernelINS1_34wrapped_radix_sort_onesweep_configINS0_14default_configEhN2at4cuda3cub6detail10OpaqueTypeILi8EEEEEmEEvPT0_.uses_flat_scratch, 0
	.set _ZN7rocprim17ROCPRIM_304000_NS6detail31onesweep_scan_histograms_kernelINS1_34wrapped_radix_sort_onesweep_configINS0_14default_configEhN2at4cuda3cub6detail10OpaqueTypeILi8EEEEEmEEvPT0_.has_dyn_sized_stack, 0
	.set _ZN7rocprim17ROCPRIM_304000_NS6detail31onesweep_scan_histograms_kernelINS1_34wrapped_radix_sort_onesweep_configINS0_14default_configEhN2at4cuda3cub6detail10OpaqueTypeILi8EEEEEmEEvPT0_.has_recursion, 0
	.set _ZN7rocprim17ROCPRIM_304000_NS6detail31onesweep_scan_histograms_kernelINS1_34wrapped_radix_sort_onesweep_configINS0_14default_configEhN2at4cuda3cub6detail10OpaqueTypeILi8EEEEEmEEvPT0_.has_indirect_call, 0
	.section	.AMDGPU.csdata,"",@progbits
; Kernel info:
; codeLenInByte = 912
; TotalNumSgprs: 12
; NumVgprs: 12
; ScratchSize: 0
; MemoryBound: 0
; FloatMode: 240
; IeeeMode: 1
; LDSByteSize: 64 bytes/workgroup (compile time only)
; SGPRBlocks: 1
; VGPRBlocks: 2
; NumSGPRsForWavesPerEU: 12
; NumVGPRsForWavesPerEU: 12
; Occupancy: 10
; WaveLimiterHint : 0
; COMPUTE_PGM_RSRC2:SCRATCH_EN: 0
; COMPUTE_PGM_RSRC2:USER_SGPR: 6
; COMPUTE_PGM_RSRC2:TRAP_HANDLER: 0
; COMPUTE_PGM_RSRC2:TGID_X_EN: 1
; COMPUTE_PGM_RSRC2:TGID_Y_EN: 0
; COMPUTE_PGM_RSRC2:TGID_Z_EN: 0
; COMPUTE_PGM_RSRC2:TIDIG_COMP_CNT: 0
	.section	.text._ZN7rocprim17ROCPRIM_304000_NS6detail16transform_kernelINS1_24wrapped_transform_configINS0_14default_configEhEEhPKhPhNS0_8identityIhEEEEvT1_mT2_T3_,"axG",@progbits,_ZN7rocprim17ROCPRIM_304000_NS6detail16transform_kernelINS1_24wrapped_transform_configINS0_14default_configEhEEhPKhPhNS0_8identityIhEEEEvT1_mT2_T3_,comdat
	.protected	_ZN7rocprim17ROCPRIM_304000_NS6detail16transform_kernelINS1_24wrapped_transform_configINS0_14default_configEhEEhPKhPhNS0_8identityIhEEEEvT1_mT2_T3_ ; -- Begin function _ZN7rocprim17ROCPRIM_304000_NS6detail16transform_kernelINS1_24wrapped_transform_configINS0_14default_configEhEEhPKhPhNS0_8identityIhEEEEvT1_mT2_T3_
	.globl	_ZN7rocprim17ROCPRIM_304000_NS6detail16transform_kernelINS1_24wrapped_transform_configINS0_14default_configEhEEhPKhPhNS0_8identityIhEEEEvT1_mT2_T3_
	.p2align	8
	.type	_ZN7rocprim17ROCPRIM_304000_NS6detail16transform_kernelINS1_24wrapped_transform_configINS0_14default_configEhEEhPKhPhNS0_8identityIhEEEEvT1_mT2_T3_,@function
_ZN7rocprim17ROCPRIM_304000_NS6detail16transform_kernelINS1_24wrapped_transform_configINS0_14default_configEhEEhPKhPhNS0_8identityIhEEEEvT1_mT2_T3_: ; @_ZN7rocprim17ROCPRIM_304000_NS6detail16transform_kernelINS1_24wrapped_transform_configINS0_14default_configEhEEhPKhPhNS0_8identityIhEEEEvT1_mT2_T3_
; %bb.0:
	s_load_dword s7, s[4:5], 0x20
	s_load_dwordx4 s[0:3], s[4:5], 0x0
	s_load_dwordx2 s[34:35], s[4:5], 0x10
	s_lshl_b32 s33, s6, 10
	s_waitcnt lgkmcnt(0)
	s_add_i32 s7, s7, -1
	s_add_u32 s0, s0, s33
	s_addc_u32 s1, s1, 0
	v_mov_b32_e32 v2, s1
	v_add_co_u32_e32 v1, vcc, s0, v0
	s_cmp_lg_u32 s6, s7
	v_addc_co_u32_e32 v2, vcc, 0, v2, vcc
	s_cbranch_scc0 .LBB12_2
; %bb.1:
	global_load_ubyte v6, v[1:2], off
	global_load_ubyte v7, v[1:2], off offset:64
	global_load_ubyte v8, v[1:2], off offset:128
	;; [unrolled: 1-line block ×15, first 2 shown]
	s_add_u32 s3, s34, s33
	s_addc_u32 s4, s35, 0
	v_mov_b32_e32 v5, s4
	v_add_co_u32_e32 v4, vcc, s3, v0
	v_addc_co_u32_e32 v5, vcc, 0, v5, vcc
	s_mov_b64 s[36:37], -1
	s_waitcnt vmcnt(15)
	global_store_byte v[4:5], v6, off
	s_waitcnt vmcnt(15)
	global_store_byte v[4:5], v7, off offset:64
	s_waitcnt vmcnt(15)
	global_store_byte v[4:5], v8, off offset:128
	;; [unrolled: 2-line block ×14, first 2 shown]
	s_cbranch_execz .LBB12_3
	s_branch .LBB12_66
.LBB12_2:
	s_mov_b64 s[36:37], 0
                                        ; implicit-def: $vgpr3
.LBB12_3:
	s_sub_i32 s30, s2, s33
	v_cmp_gt_u32_e32 vcc, s30, v0
	v_mov_b32_e32 v20, 0
	v_mov_b32_e32 v21, 0
	;; [unrolled: 1-line block ×15, first 2 shown]
	s_and_saveexec_b64 s[0:1], vcc
	s_cbranch_execz .LBB12_5
; %bb.4:
	global_load_ubyte v21, v[1:2], off
	v_mov_b32_e32 v22, 0
	v_mov_b32_e32 v16, 0
	;; [unrolled: 1-line block ×13, first 2 shown]
.LBB12_5:
	s_or_b64 exec, exec, s[0:1]
	s_waitcnt vmcnt(15)
	v_or_b32_e32 v3, 64, v0
	v_cmp_gt_u32_e64 s[0:1], s30, v3
	v_mov_b32_e32 v23, v20
	s_and_saveexec_b64 s[2:3], s[0:1]
	s_cbranch_execz .LBB12_7
; %bb.6:
	global_load_ubyte v23, v[1:2], off offset:64
.LBB12_7:
	s_or_b64 exec, exec, s[2:3]
	v_or_b32_e32 v3, 0x80, v0
	v_cmp_gt_u32_e64 s[2:3], s30, v3
	s_and_saveexec_b64 s[4:5], s[2:3]
	s_cbranch_execz .LBB12_9
; %bb.8:
	global_load_ubyte v20, v[1:2], off offset:128
.LBB12_9:
	s_or_b64 exec, exec, s[4:5]
	v_or_b32_e32 v3, 0xc0, v0
	v_cmp_gt_u32_e64 s[4:5], s30, v3
	;; [unrolled: 8-line block ×14, first 2 shown]
	s_and_saveexec_b64 s[30:31], s[28:29]
	s_cbranch_execz .LBB12_35
; %bb.34:
	global_load_ubyte v11, v[1:2], off offset:960
.LBB12_35:
	s_or_b64 exec, exec, s[30:31]
	s_mov_b32 s30, 0xffff
	s_waitcnt vmcnt(0)
	v_and_b32_sdwa v1, s30, v21 dst_sel:DWORD dst_unused:UNUSED_PAD src0_sel:DWORD src1_sel:BYTE_0
	s_add_u32 s30, s34, s33
	s_addc_u32 s31, s35, 0
	v_cndmask_b32_e32 v5, 0, v1, vcc
	v_mov_b32_e32 v2, s31
	v_add_co_u32_e64 v1, s[30:31], s30, v0
	v_mov_b32_e32 v6, 0
	v_addc_co_u32_e64 v2, s[30:31], 0, v2, s[30:31]
	s_and_saveexec_b64 s[30:31], vcc
	s_cbranch_execz .LBB12_37
; %bb.36:
	global_store_byte v[1:2], v5, off
.LBB12_37:
	s_or_b64 exec, exec, s[30:31]
	s_mov_b32 s30, 0xc0c0004
	v_perm_b32 v3, v21, v23, s30
	v_perm_b32 v4, v20, v22, s30
	v_lshl_or_b32 v24, v4, 16, v3
	v_cndmask_b32_e64 v3, v5, v24, s[0:1]
	s_and_saveexec_b64 s[30:31], s[0:1]
	s_cbranch_execz .LBB12_39
; %bb.38:
	v_lshrrev_b32_e32 v4, 8, v3
	global_store_byte v[1:2], v4, off offset:64
.LBB12_39:
	s_or_b64 exec, exec, s[30:31]
	v_and_b32_e32 v4, 0xffffff00, v3
	v_or_b32_e32 v26, v5, v4
	v_mov_b32_e32 v4, 8
	s_mov_b64 vcc, s[2:3]
	v_lshrrev_b32_sdwa v25, v4, v3 dst_sel:BYTE_1 dst_unused:UNUSED_PAD src0_sel:DWORD src1_sel:DWORD
	v_lshrrev_b64 v[3:4], 24, 0
	v_lshrrev_b64 v[6:7], 24, v[5:6]
	v_cndmask_b32_sdwa v4, v26, v24, vcc dst_sel:DWORD dst_unused:UNUSED_PAD src0_sel:WORD_0 src1_sel:DWORD
	s_and_saveexec_b64 s[0:1], s[2:3]
	s_cbranch_execz .LBB12_41
; %bb.40:
	global_store_byte_d16_hi v[1:2], v4, off offset:128
.LBB12_41:
	s_or_b64 exec, exec, s[0:1]
	s_mov_b32 s0, 0xc0c0006
	v_or_b32_e32 v5, v5, v25
	v_perm_b32 v4, v4, v6, s0
	v_and_b32_e32 v5, 0xffff, v5
	s_mov_b32 s0, 0xc0c0004
	v_lshl_or_b32 v4, v4, 16, v5
	v_perm_b32 v5, v21, v23, s0
	v_perm_b32 v6, v20, v22, s0
	v_lshl_or_b32 v5, v6, 16, v5
	v_cndmask_b32_e64 v5, v4, v5, s[4:5]
	v_perm_b32 v4, v16, v17, s0
	v_perm_b32 v6, v18, v19, s0
	v_lshl_or_b32 v4, v6, 16, v4
	s_and_saveexec_b64 s[0:1], s[4:5]
	s_cbranch_execz .LBB12_43
; %bb.42:
	v_lshrrev_b32_e32 v5, 24, v5
	global_store_byte v[1:2], v5, off offset:192
.LBB12_43:
	s_or_b64 exec, exec, s[0:1]
	v_cndmask_b32_e64 v4, 0, v4, s[6:7]
	s_and_saveexec_b64 s[0:1], s[6:7]
	s_cbranch_execz .LBB12_45
; %bb.44:
	global_store_byte v[1:2], v4, off offset:256
.LBB12_45:
	s_or_b64 exec, exec, s[0:1]
	s_mov_b32 s0, 0xc0c0004
	v_perm_b32 v5, v16, v17, s0
	v_perm_b32 v7, v18, v19, s0
	v_and_b32_e32 v6, 0xff, v4
	v_lshl_or_b32 v7, v7, 16, v5
	v_cndmask_b32_e64 v20, v6, v7, s[8:9]
	v_lshrrev_b32_e32 v5, 8, v20
	s_and_saveexec_b64 s[0:1], s[8:9]
	s_cbranch_execz .LBB12_47
; %bb.46:
	global_store_byte v[1:2], v5, off offset:320
.LBB12_47:
	s_or_b64 exec, exec, s[0:1]
	v_and_b32_e32 v20, 0xffffff00, v20
	v_or_b32_e32 v6, v6, v20
	s_mov_b64 vcc, s[10:11]
	v_cndmask_b32_sdwa v6, v6, v7, vcc dst_sel:DWORD dst_unused:UNUSED_PAD src0_sel:WORD_0 src1_sel:DWORD
	s_and_saveexec_b64 s[0:1], s[10:11]
	s_cbranch_execz .LBB12_49
; %bb.48:
	global_store_byte_d16_hi v[1:2], v6, off offset:384
.LBB12_49:
	s_or_b64 exec, exec, s[0:1]
	s_mov_b32 s0, 0xc0c0004
	v_perm_b32 v4, v4, v5, s0
	s_mov_b32 s1, 0xff0000
	v_and_or_b32 v4, v6, s1, v4
	v_perm_b32 v5, v16, v17, s0
	v_perm_b32 v6, v18, v19, s0
	v_lshl_or_b32 v5, v6, 16, v5
	v_cndmask_b32_e64 v5, v4, v5, s[12:13]
	v_perm_b32 v4, v12, v13, s0
	v_perm_b32 v6, v14, v15, s0
	v_lshl_or_b32 v4, v6, 16, v4
	s_and_saveexec_b64 s[0:1], s[12:13]
	s_cbranch_execz .LBB12_51
; %bb.50:
	v_lshrrev_b32_e32 v5, 24, v5
	global_store_byte v[1:2], v5, off offset:448
.LBB12_51:
	s_or_b64 exec, exec, s[0:1]
	v_lshl_or_b32 v5, v3, 24, 0
	v_cndmask_b32_e64 v4, v5, v4, s[14:15]
	s_and_saveexec_b64 s[0:1], s[14:15]
	s_cbranch_execz .LBB12_53
; %bb.52:
	global_store_byte v[1:2], v4, off offset:512
.LBB12_53:
	s_or_b64 exec, exec, s[0:1]
	s_mov_b32 s0, 0xc0c0004
	s_mov_b32 s1, 0x40c0c00
	v_perm_b32 v6, v12, v13, s0
	v_perm_b32 v7, v14, v15, s0
	v_perm_b32 v5, v3, v4, s1
	v_lshl_or_b32 v6, v7, 16, v6
	v_cndmask_b32_e64 v7, v5, v6, s[16:17]
	v_lshrrev_b32_e32 v5, 8, v7
	s_and_saveexec_b64 s[0:1], s[16:17]
	s_cbranch_execz .LBB12_55
; %bb.54:
	global_store_byte v[1:2], v5, off offset:576
.LBB12_55:
	s_or_b64 exec, exec, s[0:1]
	s_mov_b32 s0, 0xc0c0104
	v_perm_b32 v7, v4, v7, s0
	v_lshl_or_b32 v7, v3, 24, v7
	v_cndmask_b32_e64 v6, v7, v6, s[18:19]
	s_and_saveexec_b64 s[0:1], s[18:19]
	s_cbranch_execz .LBB12_57
; %bb.56:
	global_store_byte_d16_hi v[1:2], v6, off offset:640
.LBB12_57:
	s_or_b64 exec, exec, s[0:1]
	s_mov_b32 s0, 0xc0c0004
	s_mov_b32 s1, 0xc0c0006
	v_perm_b32 v4, v4, v5, s0
	v_perm_b32 v3, v6, v3, s1
	v_lshl_or_b32 v3, v3, 16, v4
	v_perm_b32 v4, v12, v13, s0
	v_perm_b32 v5, v14, v15, s0
	v_lshl_or_b32 v4, v5, 16, v4
	v_cndmask_b32_e64 v4, v3, v4, s[20:21]
	v_perm_b32 v3, v8, v9, s0
	v_perm_b32 v5, v10, v11, s0
	v_lshl_or_b32 v3, v5, 16, v3
	s_and_saveexec_b64 s[0:1], s[20:21]
	s_cbranch_execz .LBB12_59
; %bb.58:
	v_lshrrev_b32_e32 v4, 24, v4
	global_store_byte v[1:2], v4, off offset:704
.LBB12_59:
	s_or_b64 exec, exec, s[0:1]
	v_cndmask_b32_e64 v4, 0, v3, s[22:23]
	s_and_saveexec_b64 s[0:1], s[22:23]
	s_cbranch_execz .LBB12_61
; %bb.60:
	global_store_byte v[1:2], v4, off offset:768
.LBB12_61:
	s_or_b64 exec, exec, s[0:1]
	s_mov_b32 s0, 0xc0c0004
	v_perm_b32 v3, v8, v9, s0
	v_perm_b32 v5, v10, v11, s0
	v_lshl_or_b32 v3, v5, 16, v3
	s_mov_b64 vcc, s[24:25]
	v_cndmask_b32_sdwa v3, v4, v3, vcc dst_sel:DWORD dst_unused:UNUSED_PAD src0_sel:BYTE_0 src1_sel:DWORD
	v_lshrrev_b32_e32 v5, 8, v3
	s_and_saveexec_b64 s[0:1], s[24:25]
	s_cbranch_execnz .LBB12_69
; %bb.62:
	s_or_b64 exec, exec, s[0:1]
	s_and_saveexec_b64 s[0:1], s[26:27]
	s_cbranch_execnz .LBB12_70
.LBB12_63:
	s_or_b64 exec, exec, s[0:1]
                                        ; implicit-def: $vgpr3
	s_and_saveexec_b64 s[0:1], s[28:29]
.LBB12_64:
	s_mov_b32 s2, 0xc0c0004
	v_perm_b32 v1, v8, v9, s2
	v_perm_b32 v2, v10, v11, s2
	v_lshl_or_b32 v1, v2, 16, v1
	v_perm_b32 v2, v4, v5, s2
	v_cndmask_b32_e64 v1, v2, v1, s[28:29]
	v_lshrrev_b32_e32 v3, 24, v1
	s_or_b64 s[36:37], s[36:37], exec
.LBB12_65:
	s_or_b64 exec, exec, s[0:1]
.LBB12_66:
	s_and_saveexec_b64 s[0:1], s[36:37]
	s_cbranch_execnz .LBB12_68
; %bb.67:
	s_endpgm
.LBB12_68:
	s_add_u32 s0, s34, s33
	s_addc_u32 s1, s35, 0
	v_mov_b32_e32 v1, s1
	v_add_co_u32_e32 v0, vcc, s0, v0
	v_addc_co_u32_e32 v1, vcc, 0, v1, vcc
	s_waitcnt vmcnt(15)
	global_store_byte v[0:1], v3, off offset:960
	s_endpgm
.LBB12_69:
	global_store_byte v[1:2], v5, off offset:832
	s_or_b64 exec, exec, s[0:1]
	s_and_saveexec_b64 s[0:1], s[26:27]
	s_cbranch_execz .LBB12_63
.LBB12_70:
	s_mov_b32 s2, 0xc0c0004
	v_perm_b32 v3, v8, v9, s2
	v_perm_b32 v6, v10, v11, s2
	v_lshl_or_b32 v3, v6, 16, v3
	v_perm_b32 v6, v4, v5, s2
	v_cndmask_b32_e64 v3, v6, v3, s[26:27]
	global_store_byte_d16_hi v[1:2], v3, off offset:896
	s_or_b64 exec, exec, s[0:1]
                                        ; implicit-def: $vgpr3
	s_and_saveexec_b64 s[0:1], s[28:29]
	s_cbranch_execnz .LBB12_64
	s_branch .LBB12_65
	.section	.rodata,"a",@progbits
	.p2align	6, 0x0
	.amdhsa_kernel _ZN7rocprim17ROCPRIM_304000_NS6detail16transform_kernelINS1_24wrapped_transform_configINS0_14default_configEhEEhPKhPhNS0_8identityIhEEEEvT1_mT2_T3_
		.amdhsa_group_segment_fixed_size 0
		.amdhsa_private_segment_fixed_size 0
		.amdhsa_kernarg_size 288
		.amdhsa_user_sgpr_count 6
		.amdhsa_user_sgpr_private_segment_buffer 1
		.amdhsa_user_sgpr_dispatch_ptr 0
		.amdhsa_user_sgpr_queue_ptr 0
		.amdhsa_user_sgpr_kernarg_segment_ptr 1
		.amdhsa_user_sgpr_dispatch_id 0
		.amdhsa_user_sgpr_flat_scratch_init 0
		.amdhsa_user_sgpr_private_segment_size 0
		.amdhsa_uses_dynamic_stack 0
		.amdhsa_system_sgpr_private_segment_wavefront_offset 0
		.amdhsa_system_sgpr_workgroup_id_x 1
		.amdhsa_system_sgpr_workgroup_id_y 0
		.amdhsa_system_sgpr_workgroup_id_z 0
		.amdhsa_system_sgpr_workgroup_info 0
		.amdhsa_system_vgpr_workitem_id 0
		.amdhsa_next_free_vgpr 27
		.amdhsa_next_free_sgpr 38
		.amdhsa_reserve_vcc 1
		.amdhsa_reserve_flat_scratch 0
		.amdhsa_float_round_mode_32 0
		.amdhsa_float_round_mode_16_64 0
		.amdhsa_float_denorm_mode_32 3
		.amdhsa_float_denorm_mode_16_64 3
		.amdhsa_dx10_clamp 1
		.amdhsa_ieee_mode 1
		.amdhsa_fp16_overflow 0
		.amdhsa_exception_fp_ieee_invalid_op 0
		.amdhsa_exception_fp_denorm_src 0
		.amdhsa_exception_fp_ieee_div_zero 0
		.amdhsa_exception_fp_ieee_overflow 0
		.amdhsa_exception_fp_ieee_underflow 0
		.amdhsa_exception_fp_ieee_inexact 0
		.amdhsa_exception_int_div_zero 0
	.end_amdhsa_kernel
	.section	.text._ZN7rocprim17ROCPRIM_304000_NS6detail16transform_kernelINS1_24wrapped_transform_configINS0_14default_configEhEEhPKhPhNS0_8identityIhEEEEvT1_mT2_T3_,"axG",@progbits,_ZN7rocprim17ROCPRIM_304000_NS6detail16transform_kernelINS1_24wrapped_transform_configINS0_14default_configEhEEhPKhPhNS0_8identityIhEEEEvT1_mT2_T3_,comdat
.Lfunc_end12:
	.size	_ZN7rocprim17ROCPRIM_304000_NS6detail16transform_kernelINS1_24wrapped_transform_configINS0_14default_configEhEEhPKhPhNS0_8identityIhEEEEvT1_mT2_T3_, .Lfunc_end12-_ZN7rocprim17ROCPRIM_304000_NS6detail16transform_kernelINS1_24wrapped_transform_configINS0_14default_configEhEEhPKhPhNS0_8identityIhEEEEvT1_mT2_T3_
                                        ; -- End function
	.set _ZN7rocprim17ROCPRIM_304000_NS6detail16transform_kernelINS1_24wrapped_transform_configINS0_14default_configEhEEhPKhPhNS0_8identityIhEEEEvT1_mT2_T3_.num_vgpr, 27
	.set _ZN7rocprim17ROCPRIM_304000_NS6detail16transform_kernelINS1_24wrapped_transform_configINS0_14default_configEhEEhPKhPhNS0_8identityIhEEEEvT1_mT2_T3_.num_agpr, 0
	.set _ZN7rocprim17ROCPRIM_304000_NS6detail16transform_kernelINS1_24wrapped_transform_configINS0_14default_configEhEEhPKhPhNS0_8identityIhEEEEvT1_mT2_T3_.numbered_sgpr, 38
	.set _ZN7rocprim17ROCPRIM_304000_NS6detail16transform_kernelINS1_24wrapped_transform_configINS0_14default_configEhEEhPKhPhNS0_8identityIhEEEEvT1_mT2_T3_.num_named_barrier, 0
	.set _ZN7rocprim17ROCPRIM_304000_NS6detail16transform_kernelINS1_24wrapped_transform_configINS0_14default_configEhEEhPKhPhNS0_8identityIhEEEEvT1_mT2_T3_.private_seg_size, 0
	.set _ZN7rocprim17ROCPRIM_304000_NS6detail16transform_kernelINS1_24wrapped_transform_configINS0_14default_configEhEEhPKhPhNS0_8identityIhEEEEvT1_mT2_T3_.uses_vcc, 1
	.set _ZN7rocprim17ROCPRIM_304000_NS6detail16transform_kernelINS1_24wrapped_transform_configINS0_14default_configEhEEhPKhPhNS0_8identityIhEEEEvT1_mT2_T3_.uses_flat_scratch, 0
	.set _ZN7rocprim17ROCPRIM_304000_NS6detail16transform_kernelINS1_24wrapped_transform_configINS0_14default_configEhEEhPKhPhNS0_8identityIhEEEEvT1_mT2_T3_.has_dyn_sized_stack, 0
	.set _ZN7rocprim17ROCPRIM_304000_NS6detail16transform_kernelINS1_24wrapped_transform_configINS0_14default_configEhEEhPKhPhNS0_8identityIhEEEEvT1_mT2_T3_.has_recursion, 0
	.set _ZN7rocprim17ROCPRIM_304000_NS6detail16transform_kernelINS1_24wrapped_transform_configINS0_14default_configEhEEhPKhPhNS0_8identityIhEEEEvT1_mT2_T3_.has_indirect_call, 0
	.section	.AMDGPU.csdata,"",@progbits
; Kernel info:
; codeLenInByte = 2276
; TotalNumSgprs: 42
; NumVgprs: 27
; ScratchSize: 0
; MemoryBound: 0
; FloatMode: 240
; IeeeMode: 1
; LDSByteSize: 0 bytes/workgroup (compile time only)
; SGPRBlocks: 5
; VGPRBlocks: 6
; NumSGPRsForWavesPerEU: 42
; NumVGPRsForWavesPerEU: 27
; Occupancy: 9
; WaveLimiterHint : 0
; COMPUTE_PGM_RSRC2:SCRATCH_EN: 0
; COMPUTE_PGM_RSRC2:USER_SGPR: 6
; COMPUTE_PGM_RSRC2:TRAP_HANDLER: 0
; COMPUTE_PGM_RSRC2:TGID_X_EN: 1
; COMPUTE_PGM_RSRC2:TGID_Y_EN: 0
; COMPUTE_PGM_RSRC2:TGID_Z_EN: 0
; COMPUTE_PGM_RSRC2:TIDIG_COMP_CNT: 0
	.section	.text._ZN7rocprim17ROCPRIM_304000_NS6detail16transform_kernelINS1_24wrapped_transform_configINS0_14default_configEN2at4cuda3cub6detail10OpaqueTypeILi8EEEEESA_PKSA_PSA_NS0_8identityISA_EEEEvT1_mT2_T3_,"axG",@progbits,_ZN7rocprim17ROCPRIM_304000_NS6detail16transform_kernelINS1_24wrapped_transform_configINS0_14default_configEN2at4cuda3cub6detail10OpaqueTypeILi8EEEEESA_PKSA_PSA_NS0_8identityISA_EEEEvT1_mT2_T3_,comdat
	.protected	_ZN7rocprim17ROCPRIM_304000_NS6detail16transform_kernelINS1_24wrapped_transform_configINS0_14default_configEN2at4cuda3cub6detail10OpaqueTypeILi8EEEEESA_PKSA_PSA_NS0_8identityISA_EEEEvT1_mT2_T3_ ; -- Begin function _ZN7rocprim17ROCPRIM_304000_NS6detail16transform_kernelINS1_24wrapped_transform_configINS0_14default_configEN2at4cuda3cub6detail10OpaqueTypeILi8EEEEESA_PKSA_PSA_NS0_8identityISA_EEEEvT1_mT2_T3_
	.globl	_ZN7rocprim17ROCPRIM_304000_NS6detail16transform_kernelINS1_24wrapped_transform_configINS0_14default_configEN2at4cuda3cub6detail10OpaqueTypeILi8EEEEESA_PKSA_PSA_NS0_8identityISA_EEEEvT1_mT2_T3_
	.p2align	8
	.type	_ZN7rocprim17ROCPRIM_304000_NS6detail16transform_kernelINS1_24wrapped_transform_configINS0_14default_configEN2at4cuda3cub6detail10OpaqueTypeILi8EEEEESA_PKSA_PSA_NS0_8identityISA_EEEEvT1_mT2_T3_,@function
_ZN7rocprim17ROCPRIM_304000_NS6detail16transform_kernelINS1_24wrapped_transform_configINS0_14default_configEN2at4cuda3cub6detail10OpaqueTypeILi8EEEEESA_PKSA_PSA_NS0_8identityISA_EEEEvT1_mT2_T3_: ; @_ZN7rocprim17ROCPRIM_304000_NS6detail16transform_kernelINS1_24wrapped_transform_configINS0_14default_configEN2at4cuda3cub6detail10OpaqueTypeILi8EEEEESA_PKSA_PSA_NS0_8identityISA_EEEEvT1_mT2_T3_
; %bb.0:
	s_load_dword s7, s[4:5], 0x20
	s_load_dwordx4 s[0:3], s[4:5], 0x0
	s_lshl_b32 s8, s6, 9
	s_waitcnt lgkmcnt(0)
	s_add_i32 s7, s7, -1
	s_cmp_lg_u32 s6, s7
	s_cselect_b64 s[6:7], -1, 0
	s_sub_i32 s2, s2, s8
	v_cmp_gt_u32_e32 vcc, s2, v0
	s_or_b64 s[2:3], vcc, s[6:7]
	s_and_saveexec_b64 s[6:7], s[2:3]
	s_cbranch_execz .LBB13_2
; %bb.1:
	s_load_dwordx2 s[2:3], s[4:5], 0x10
	s_mov_b32 s9, 0
	s_lshl_b64 s[4:5], s[8:9], 3
	v_lshlrev_b32_e32 v2, 3, v0
	s_waitcnt lgkmcnt(0)
	s_add_u32 s2, s2, s4
	s_addc_u32 s3, s3, s5
	s_add_u32 s0, s0, s4
	s_addc_u32 s1, s1, s5
	global_load_dwordx2 v[0:1], v2, s[0:1]
	s_waitcnt vmcnt(0)
	global_store_dwordx2 v2, v[0:1], s[2:3]
.LBB13_2:
	s_endpgm
	.section	.rodata,"a",@progbits
	.p2align	6, 0x0
	.amdhsa_kernel _ZN7rocprim17ROCPRIM_304000_NS6detail16transform_kernelINS1_24wrapped_transform_configINS0_14default_configEN2at4cuda3cub6detail10OpaqueTypeILi8EEEEESA_PKSA_PSA_NS0_8identityISA_EEEEvT1_mT2_T3_
		.amdhsa_group_segment_fixed_size 0
		.amdhsa_private_segment_fixed_size 0
		.amdhsa_kernarg_size 288
		.amdhsa_user_sgpr_count 6
		.amdhsa_user_sgpr_private_segment_buffer 1
		.amdhsa_user_sgpr_dispatch_ptr 0
		.amdhsa_user_sgpr_queue_ptr 0
		.amdhsa_user_sgpr_kernarg_segment_ptr 1
		.amdhsa_user_sgpr_dispatch_id 0
		.amdhsa_user_sgpr_flat_scratch_init 0
		.amdhsa_user_sgpr_private_segment_size 0
		.amdhsa_uses_dynamic_stack 0
		.amdhsa_system_sgpr_private_segment_wavefront_offset 0
		.amdhsa_system_sgpr_workgroup_id_x 1
		.amdhsa_system_sgpr_workgroup_id_y 0
		.amdhsa_system_sgpr_workgroup_id_z 0
		.amdhsa_system_sgpr_workgroup_info 0
		.amdhsa_system_vgpr_workitem_id 0
		.amdhsa_next_free_vgpr 3
		.amdhsa_next_free_sgpr 10
		.amdhsa_reserve_vcc 1
		.amdhsa_reserve_flat_scratch 0
		.amdhsa_float_round_mode_32 0
		.amdhsa_float_round_mode_16_64 0
		.amdhsa_float_denorm_mode_32 3
		.amdhsa_float_denorm_mode_16_64 3
		.amdhsa_dx10_clamp 1
		.amdhsa_ieee_mode 1
		.amdhsa_fp16_overflow 0
		.amdhsa_exception_fp_ieee_invalid_op 0
		.amdhsa_exception_fp_denorm_src 0
		.amdhsa_exception_fp_ieee_div_zero 0
		.amdhsa_exception_fp_ieee_overflow 0
		.amdhsa_exception_fp_ieee_underflow 0
		.amdhsa_exception_fp_ieee_inexact 0
		.amdhsa_exception_int_div_zero 0
	.end_amdhsa_kernel
	.section	.text._ZN7rocprim17ROCPRIM_304000_NS6detail16transform_kernelINS1_24wrapped_transform_configINS0_14default_configEN2at4cuda3cub6detail10OpaqueTypeILi8EEEEESA_PKSA_PSA_NS0_8identityISA_EEEEvT1_mT2_T3_,"axG",@progbits,_ZN7rocprim17ROCPRIM_304000_NS6detail16transform_kernelINS1_24wrapped_transform_configINS0_14default_configEN2at4cuda3cub6detail10OpaqueTypeILi8EEEEESA_PKSA_PSA_NS0_8identityISA_EEEEvT1_mT2_T3_,comdat
.Lfunc_end13:
	.size	_ZN7rocprim17ROCPRIM_304000_NS6detail16transform_kernelINS1_24wrapped_transform_configINS0_14default_configEN2at4cuda3cub6detail10OpaqueTypeILi8EEEEESA_PKSA_PSA_NS0_8identityISA_EEEEvT1_mT2_T3_, .Lfunc_end13-_ZN7rocprim17ROCPRIM_304000_NS6detail16transform_kernelINS1_24wrapped_transform_configINS0_14default_configEN2at4cuda3cub6detail10OpaqueTypeILi8EEEEESA_PKSA_PSA_NS0_8identityISA_EEEEvT1_mT2_T3_
                                        ; -- End function
	.set _ZN7rocprim17ROCPRIM_304000_NS6detail16transform_kernelINS1_24wrapped_transform_configINS0_14default_configEN2at4cuda3cub6detail10OpaqueTypeILi8EEEEESA_PKSA_PSA_NS0_8identityISA_EEEEvT1_mT2_T3_.num_vgpr, 3
	.set _ZN7rocprim17ROCPRIM_304000_NS6detail16transform_kernelINS1_24wrapped_transform_configINS0_14default_configEN2at4cuda3cub6detail10OpaqueTypeILi8EEEEESA_PKSA_PSA_NS0_8identityISA_EEEEvT1_mT2_T3_.num_agpr, 0
	.set _ZN7rocprim17ROCPRIM_304000_NS6detail16transform_kernelINS1_24wrapped_transform_configINS0_14default_configEN2at4cuda3cub6detail10OpaqueTypeILi8EEEEESA_PKSA_PSA_NS0_8identityISA_EEEEvT1_mT2_T3_.numbered_sgpr, 10
	.set _ZN7rocprim17ROCPRIM_304000_NS6detail16transform_kernelINS1_24wrapped_transform_configINS0_14default_configEN2at4cuda3cub6detail10OpaqueTypeILi8EEEEESA_PKSA_PSA_NS0_8identityISA_EEEEvT1_mT2_T3_.num_named_barrier, 0
	.set _ZN7rocprim17ROCPRIM_304000_NS6detail16transform_kernelINS1_24wrapped_transform_configINS0_14default_configEN2at4cuda3cub6detail10OpaqueTypeILi8EEEEESA_PKSA_PSA_NS0_8identityISA_EEEEvT1_mT2_T3_.private_seg_size, 0
	.set _ZN7rocprim17ROCPRIM_304000_NS6detail16transform_kernelINS1_24wrapped_transform_configINS0_14default_configEN2at4cuda3cub6detail10OpaqueTypeILi8EEEEESA_PKSA_PSA_NS0_8identityISA_EEEEvT1_mT2_T3_.uses_vcc, 1
	.set _ZN7rocprim17ROCPRIM_304000_NS6detail16transform_kernelINS1_24wrapped_transform_configINS0_14default_configEN2at4cuda3cub6detail10OpaqueTypeILi8EEEEESA_PKSA_PSA_NS0_8identityISA_EEEEvT1_mT2_T3_.uses_flat_scratch, 0
	.set _ZN7rocprim17ROCPRIM_304000_NS6detail16transform_kernelINS1_24wrapped_transform_configINS0_14default_configEN2at4cuda3cub6detail10OpaqueTypeILi8EEEEESA_PKSA_PSA_NS0_8identityISA_EEEEvT1_mT2_T3_.has_dyn_sized_stack, 0
	.set _ZN7rocprim17ROCPRIM_304000_NS6detail16transform_kernelINS1_24wrapped_transform_configINS0_14default_configEN2at4cuda3cub6detail10OpaqueTypeILi8EEEEESA_PKSA_PSA_NS0_8identityISA_EEEEvT1_mT2_T3_.has_recursion, 0
	.set _ZN7rocprim17ROCPRIM_304000_NS6detail16transform_kernelINS1_24wrapped_transform_configINS0_14default_configEN2at4cuda3cub6detail10OpaqueTypeILi8EEEEESA_PKSA_PSA_NS0_8identityISA_EEEEvT1_mT2_T3_.has_indirect_call, 0
	.section	.AMDGPU.csdata,"",@progbits
; Kernel info:
; codeLenInByte = 120
; TotalNumSgprs: 14
; NumVgprs: 3
; ScratchSize: 0
; MemoryBound: 0
; FloatMode: 240
; IeeeMode: 1
; LDSByteSize: 0 bytes/workgroup (compile time only)
; SGPRBlocks: 1
; VGPRBlocks: 0
; NumSGPRsForWavesPerEU: 14
; NumVGPRsForWavesPerEU: 3
; Occupancy: 10
; WaveLimiterHint : 0
; COMPUTE_PGM_RSRC2:SCRATCH_EN: 0
; COMPUTE_PGM_RSRC2:USER_SGPR: 6
; COMPUTE_PGM_RSRC2:TRAP_HANDLER: 0
; COMPUTE_PGM_RSRC2:TGID_X_EN: 1
; COMPUTE_PGM_RSRC2:TGID_Y_EN: 0
; COMPUTE_PGM_RSRC2:TGID_Z_EN: 0
; COMPUTE_PGM_RSRC2:TIDIG_COMP_CNT: 0
	.section	.text._ZN7rocprim17ROCPRIM_304000_NS6detail25onesweep_iteration_kernelINS1_34wrapped_radix_sort_onesweep_configINS0_14default_configEhN2at4cuda3cub6detail10OpaqueTypeILi8EEEEELb1EPKhPhPKSA_PSA_mNS0_19identity_decomposerEEEvT1_T2_T3_T4_jPT5_SO_PNS1_23onesweep_lookback_stateET6_jjj,"axG",@progbits,_ZN7rocprim17ROCPRIM_304000_NS6detail25onesweep_iteration_kernelINS1_34wrapped_radix_sort_onesweep_configINS0_14default_configEhN2at4cuda3cub6detail10OpaqueTypeILi8EEEEELb1EPKhPhPKSA_PSA_mNS0_19identity_decomposerEEEvT1_T2_T3_T4_jPT5_SO_PNS1_23onesweep_lookback_stateET6_jjj,comdat
	.protected	_ZN7rocprim17ROCPRIM_304000_NS6detail25onesweep_iteration_kernelINS1_34wrapped_radix_sort_onesweep_configINS0_14default_configEhN2at4cuda3cub6detail10OpaqueTypeILi8EEEEELb1EPKhPhPKSA_PSA_mNS0_19identity_decomposerEEEvT1_T2_T3_T4_jPT5_SO_PNS1_23onesweep_lookback_stateET6_jjj ; -- Begin function _ZN7rocprim17ROCPRIM_304000_NS6detail25onesweep_iteration_kernelINS1_34wrapped_radix_sort_onesweep_configINS0_14default_configEhN2at4cuda3cub6detail10OpaqueTypeILi8EEEEELb1EPKhPhPKSA_PSA_mNS0_19identity_decomposerEEEvT1_T2_T3_T4_jPT5_SO_PNS1_23onesweep_lookback_stateET6_jjj
	.globl	_ZN7rocprim17ROCPRIM_304000_NS6detail25onesweep_iteration_kernelINS1_34wrapped_radix_sort_onesweep_configINS0_14default_configEhN2at4cuda3cub6detail10OpaqueTypeILi8EEEEELb1EPKhPhPKSA_PSA_mNS0_19identity_decomposerEEEvT1_T2_T3_T4_jPT5_SO_PNS1_23onesweep_lookback_stateET6_jjj
	.p2align	8
	.type	_ZN7rocprim17ROCPRIM_304000_NS6detail25onesweep_iteration_kernelINS1_34wrapped_radix_sort_onesweep_configINS0_14default_configEhN2at4cuda3cub6detail10OpaqueTypeILi8EEEEELb1EPKhPhPKSA_PSA_mNS0_19identity_decomposerEEEvT1_T2_T3_T4_jPT5_SO_PNS1_23onesweep_lookback_stateET6_jjj,@function
_ZN7rocprim17ROCPRIM_304000_NS6detail25onesweep_iteration_kernelINS1_34wrapped_radix_sort_onesweep_configINS0_14default_configEhN2at4cuda3cub6detail10OpaqueTypeILi8EEEEELb1EPKhPhPKSA_PSA_mNS0_19identity_decomposerEEEvT1_T2_T3_T4_jPT5_SO_PNS1_23onesweep_lookback_stateET6_jjj: ; @_ZN7rocprim17ROCPRIM_304000_NS6detail25onesweep_iteration_kernelINS1_34wrapped_radix_sort_onesweep_configINS0_14default_configEhN2at4cuda3cub6detail10OpaqueTypeILi8EEEEELb1EPKhPhPKSA_PSA_mNS0_19identity_decomposerEEEvT1_T2_T3_T4_jPT5_SO_PNS1_23onesweep_lookback_stateET6_jjj
; %bb.0:
	s_load_dwordx4 s[48:51], s[4:5], 0x44
	s_load_dwordx8 s[36:43], s[4:5], 0x0
	s_load_dwordx4 s[44:47], s[4:5], 0x28
	s_load_dwordx2 s[34:35], s[4:5], 0x38
	s_mov_b64 s[0:1], -1
	s_waitcnt lgkmcnt(0)
	s_cmp_ge_u32 s6, s50
	s_mul_i32 s30, s6, 0xc00
	v_mbcnt_lo_u32_b32 v19, -1, 0
	s_cbranch_scc0 .LBB14_96
; %bb.1:
	s_load_dword s0, s[4:5], 0x20
	s_mul_i32 s33, s50, 0xfffff400
	v_mbcnt_hi_u32_b32 v12, -1, v19
	v_and_b32_e32 v7, 0x1c0, v0
	v_mul_u32_u24_e32 v11, 6, v7
	s_waitcnt lgkmcnt(0)
	s_add_i32 s33, s33, s0
	s_add_u32 s0, s36, s30
	s_addc_u32 s1, s37, 0
	v_mov_b32_e32 v3, s1
	v_add_co_u32_e32 v4, vcc, s0, v12
	v_addc_co_u32_e32 v5, vcc, 0, v3, vcc
	v_add_co_u32_e32 v3, vcc, v4, v11
	v_addc_co_u32_e32 v4, vcc, 0, v5, vcc
	v_or_b32_e32 v8, v12, v11
	s_mov_b32 s31, 0
	v_mov_b32_e32 v18, 0
	v_cmp_gt_u32_e32 vcc, s33, v8
	v_mov_b32_e32 v5, 0
	v_mov_b32_e32 v20, 0
	;; [unrolled: 1-line block ×4, first 2 shown]
	s_and_saveexec_b64 s[0:1], vcc
	s_cbranch_execz .LBB14_3
; %bb.2:
	global_load_ubyte v5, v[3:4], off
	v_mov_b32_e32 v20, 0
	v_mov_b32_e32 v14, 0
	;; [unrolled: 1-line block ×3, first 2 shown]
.LBB14_3:
	s_or_b64 exec, exec, s[0:1]
	v_add_u32_e32 v9, 64, v8
	v_cmp_gt_u32_e64 s[0:1], s33, v9
	v_mov_b32_e32 v13, v18
	s_and_saveexec_b64 s[2:3], s[0:1]
	s_cbranch_execz .LBB14_5
; %bb.4:
	global_load_ubyte v13, v[3:4], off offset:64
.LBB14_5:
	s_or_b64 exec, exec, s[2:3]
	v_add_u32_e32 v9, 0x80, v8
	v_cmp_gt_u32_e64 s[2:3], s33, v9
	s_and_saveexec_b64 s[8:9], s[2:3]
	s_cbranch_execz .LBB14_7
; %bb.6:
	global_load_ubyte v18, v[3:4], off offset:128
.LBB14_7:
	s_or_b64 exec, exec, s[8:9]
	v_add_u32_e32 v9, 0xc0, v8
	v_cmp_gt_u32_e64 s[26:27], s33, v9
	;; [unrolled: 8-line block ×4, first 2 shown]
	s_and_saveexec_b64 s[12:13], s[10:11]
	s_cbranch_execz .LBB14_13
; %bb.12:
	global_load_ubyte v6, v[3:4], off offset:320
.LBB14_13:
	s_or_b64 exec, exec, s[12:13]
	s_load_dword s12, s[4:5], 0x5c
	s_load_dword s7, s[4:5], 0x50
	s_add_u32 s13, s4, 0x50
	s_addc_u32 s14, s5, 0
	v_mov_b32_e32 v3, 0
	s_waitcnt lgkmcnt(0)
	s_lshr_b32 s15, s12, 16
	s_cmp_lt_u32 s6, s7
	s_cselect_b32 s12, 12, 18
	s_add_u32 s12, s13, s12
	s_addc_u32 s13, s14, 0
	global_load_ushort v10, v3, s[12:13]
	s_waitcnt vmcnt(1)
	v_xor_b32_e32 v8, -1, v5
	s_lshl_b32 s12, -1, s49
	v_lshrrev_b32_sdwa v4, s48, v8 dst_sel:DWORD dst_unused:UNUSED_PAD src0_sel:DWORD src1_sel:BYTE_0
	s_not_b32 s52, s12
	v_and_b32_e32 v15, s52, v4
	v_and_b32_e32 v16, 1, v15
	v_add_co_u32_e64 v21, s[12:13], -1, v16
	v_lshlrev_b32_e32 v4, 30, v15
	v_addc_co_u32_e64 v22, s[12:13], 0, -1, s[12:13]
	v_mad_u32_u24 v5, v2, s15, v1
	v_cmp_ne_u32_e64 s[12:13], 0, v16
	v_cmp_gt_i64_e64 s[14:15], 0, v[3:4]
	v_not_b32_e32 v16, v4
	v_lshlrev_b32_e32 v4, 29, v15
	v_xor_b32_e32 v22, s13, v22
	v_xor_b32_e32 v21, s12, v21
	v_ashrrev_i32_e32 v16, 31, v16
	v_cmp_gt_i64_e64 s[12:13], 0, v[3:4]
	v_not_b32_e32 v23, v4
	v_lshlrev_b32_e32 v4, 28, v15
	v_and_b32_e32 v22, exec_hi, v22
	v_and_b32_e32 v21, exec_lo, v21
	v_xor_b32_e32 v24, s15, v16
	v_xor_b32_e32 v16, s14, v16
	v_ashrrev_i32_e32 v23, 31, v23
	v_cmp_gt_i64_e64 s[14:15], 0, v[3:4]
	v_not_b32_e32 v25, v4
	v_lshlrev_b32_e32 v4, 27, v15
	v_and_b32_e32 v22, v22, v24
	v_and_b32_e32 v16, v21, v16
	v_xor_b32_e32 v21, s13, v23
	v_xor_b32_e32 v23, s12, v23
	v_ashrrev_i32_e32 v24, 31, v25
	v_cmp_gt_i64_e64 s[12:13], 0, v[3:4]
	v_not_b32_e32 v25, v4
	v_lshlrev_b32_e32 v4, 26, v15
	v_and_b32_e32 v21, v22, v21
	v_and_b32_e32 v16, v16, v23
	;; [unrolled: 8-line block ×3, first 2 shown]
	v_xor_b32_e32 v22, s13, v24
	v_xor_b32_e32 v23, s12, v24
	v_ashrrev_i32_e32 v24, 31, v25
	v_cmp_gt_i64_e64 s[12:13], 0, v[3:4]
	v_not_b32_e32 v25, v4
	v_mul_u32_u24_e32 v17, 36, v15
	v_lshlrev_b32_e32 v4, 24, v15
	v_and_b32_e32 v15, v21, v22
	v_and_b32_e32 v16, v16, v23
	v_xor_b32_e32 v21, s15, v24
	v_xor_b32_e32 v22, s14, v24
	v_ashrrev_i32_e32 v23, 31, v25
	v_and_b32_e32 v15, v15, v21
	v_and_b32_e32 v16, v16, v22
	v_xor_b32_e32 v21, s13, v23
	v_xor_b32_e32 v22, s12, v23
	v_and_b32_e32 v21, v15, v21
	v_and_b32_e32 v22, v16, v22
	v_cmp_gt_i64_e64 s[14:15], 0, v[3:4]
	v_not_b32_e32 v4, v4
	v_ashrrev_i32_e32 v4, 31, v4
	v_xor_b32_e32 v23, s15, v4
	v_xor_b32_e32 v4, s14, v4
	v_and_b32_e32 v4, v22, v4
	v_mul_u32_u24_e32 v9, 20, v0
	ds_write2_b32 v9, v3, v3 offset0:8 offset1:9
	ds_write2_b32 v9, v3, v3 offset0:10 offset1:11
	ds_write_b32 v9, v3 offset:48
	s_waitcnt vmcnt(0) lgkmcnt(0)
	s_barrier
	; wave barrier
	v_mad_u64_u32 v[15:16], s[12:13], v5, v10, v[0:1]
	v_and_b32_e32 v5, v21, v23
	v_cmp_ne_u64_e64 s[12:13], 0, v[4:5]
	v_lshrrev_b32_e32 v10, 4, v15
	v_and_b32_e32 v23, 0xffffffc, v10
	v_mbcnt_lo_u32_b32 v10, v4, 0
	v_mbcnt_hi_u32_b32 v10, v5, v10
	v_cmp_eq_u32_e64 s[14:15], 0, v10
	s_and_b64 s[14:15], s[12:13], s[14:15]
	v_add_u32_e32 v16, v23, v17
	s_and_saveexec_b64 s[12:13], s[14:15]
; %bb.14:
	v_bcnt_u32_b32 v4, v4, 0
	v_bcnt_u32_b32 v4, v5, v4
	ds_write_b32 v16, v4 offset:32
; %bb.15:
	s_or_b64 exec, exec, s[12:13]
	v_xor_b32_e32 v13, -1, v13
	v_lshrrev_b32_sdwa v4, s48, v13 dst_sel:DWORD dst_unused:UNUSED_PAD src0_sel:DWORD src1_sel:BYTE_0
	v_and_b32_e32 v5, s52, v4
	v_mad_u32_u24 v4, v5, 36, v23
	; wave barrier
	ds_read_b32 v15, v4 offset:32
	v_and_b32_e32 v4, 1, v5
	v_add_co_u32_e64 v17, s[12:13], -1, v4
	v_addc_co_u32_e64 v22, s[12:13], 0, -1, s[12:13]
	v_cmp_ne_u32_e64 s[12:13], 0, v4
	v_xor_b32_e32 v4, s13, v22
	v_and_b32_e32 v22, exec_hi, v4
	v_lshlrev_b32_e32 v4, 30, v5
	v_xor_b32_e32 v17, s12, v17
	v_cmp_gt_i64_e64 s[12:13], 0, v[3:4]
	v_not_b32_e32 v4, v4
	v_ashrrev_i32_e32 v4, 31, v4
	v_and_b32_e32 v17, exec_lo, v17
	v_xor_b32_e32 v24, s13, v4
	v_xor_b32_e32 v4, s12, v4
	v_and_b32_e32 v17, v17, v4
	v_lshlrev_b32_e32 v4, 29, v5
	v_cmp_gt_i64_e64 s[12:13], 0, v[3:4]
	v_not_b32_e32 v4, v4
	v_ashrrev_i32_e32 v4, 31, v4
	v_and_b32_e32 v22, v22, v24
	v_xor_b32_e32 v24, s13, v4
	v_xor_b32_e32 v4, s12, v4
	v_and_b32_e32 v17, v17, v4
	v_lshlrev_b32_e32 v4, 28, v5
	v_cmp_gt_i64_e64 s[12:13], 0, v[3:4]
	v_not_b32_e32 v4, v4
	v_ashrrev_i32_e32 v4, 31, v4
	v_and_b32_e32 v22, v22, v24
	;; [unrolled: 8-line block ×5, first 2 shown]
	v_xor_b32_e32 v24, s13, v4
	v_xor_b32_e32 v4, s12, v4
	v_and_b32_e32 v17, v17, v4
	v_lshlrev_b32_e32 v4, 24, v5
	v_cmp_gt_i64_e64 s[12:13], 0, v[3:4]
	v_not_b32_e32 v3, v4
	v_ashrrev_i32_e32 v3, 31, v3
	v_xor_b32_e32 v4, s13, v3
	v_xor_b32_e32 v3, s12, v3
	v_and_b32_e32 v22, v22, v24
	v_and_b32_e32 v3, v17, v3
	v_mul_u32_u24_e32 v21, 36, v5
	v_and_b32_e32 v4, v22, v4
	v_mbcnt_lo_u32_b32 v5, v3, 0
	v_mbcnt_hi_u32_b32 v17, v4, v5
	v_cmp_ne_u64_e64 s[12:13], 0, v[3:4]
	v_cmp_eq_u32_e64 s[14:15], 0, v17
	s_and_b64 s[14:15], s[12:13], s[14:15]
	v_add_u32_e32 v22, v23, v21
	; wave barrier
	s_and_saveexec_b64 s[12:13], s[14:15]
	s_cbranch_execz .LBB14_17
; %bb.16:
	v_bcnt_u32_b32 v3, v3, 0
	v_bcnt_u32_b32 v3, v4, v3
	s_waitcnt lgkmcnt(0)
	v_add_u32_e32 v3, v15, v3
	ds_write_b32 v22, v3 offset:32
.LBB14_17:
	s_or_b64 exec, exec, s[12:13]
	v_xor_b32_e32 v18, -1, v18
	v_lshrrev_b32_sdwa v3, s48, v18 dst_sel:DWORD dst_unused:UNUSED_PAD src0_sel:DWORD src1_sel:BYTE_0
	v_and_b32_e32 v5, s52, v3
	v_and_b32_e32 v4, 1, v5
	v_add_co_u32_e64 v24, s[12:13], -1, v4
	v_addc_co_u32_e64 v26, s[12:13], 0, -1, s[12:13]
	v_cmp_ne_u32_e64 s[12:13], 0, v4
	v_mad_u32_u24 v3, v5, 36, v23
	v_xor_b32_e32 v4, s13, v26
	; wave barrier
	ds_read_b32 v21, v3 offset:32
	v_mov_b32_e32 v3, 0
	v_and_b32_e32 v26, exec_hi, v4
	v_lshlrev_b32_e32 v4, 30, v5
	v_xor_b32_e32 v24, s12, v24
	v_cmp_gt_i64_e64 s[12:13], 0, v[3:4]
	v_not_b32_e32 v4, v4
	v_ashrrev_i32_e32 v4, 31, v4
	v_and_b32_e32 v24, exec_lo, v24
	v_xor_b32_e32 v27, s13, v4
	v_xor_b32_e32 v4, s12, v4
	v_and_b32_e32 v24, v24, v4
	v_lshlrev_b32_e32 v4, 29, v5
	v_cmp_gt_i64_e64 s[12:13], 0, v[3:4]
	v_not_b32_e32 v4, v4
	v_ashrrev_i32_e32 v4, 31, v4
	v_and_b32_e32 v26, v26, v27
	v_xor_b32_e32 v27, s13, v4
	v_xor_b32_e32 v4, s12, v4
	v_and_b32_e32 v24, v24, v4
	v_lshlrev_b32_e32 v4, 28, v5
	v_cmp_gt_i64_e64 s[12:13], 0, v[3:4]
	v_not_b32_e32 v4, v4
	v_ashrrev_i32_e32 v4, 31, v4
	v_and_b32_e32 v26, v26, v27
	;; [unrolled: 8-line block ×5, first 2 shown]
	v_xor_b32_e32 v27, s13, v4
	v_xor_b32_e32 v4, s12, v4
	v_and_b32_e32 v24, v24, v4
	v_lshlrev_b32_e32 v4, 24, v5
	v_cmp_gt_i64_e64 s[12:13], 0, v[3:4]
	v_not_b32_e32 v4, v4
	v_ashrrev_i32_e32 v4, 31, v4
	v_mul_u32_u24_e32 v25, 36, v5
	v_xor_b32_e32 v5, s13, v4
	v_xor_b32_e32 v4, s12, v4
	v_and_b32_e32 v26, v26, v27
	v_and_b32_e32 v4, v24, v4
	;; [unrolled: 1-line block ×3, first 2 shown]
	v_mbcnt_lo_u32_b32 v24, v4, 0
	v_mbcnt_hi_u32_b32 v24, v5, v24
	v_cmp_ne_u64_e64 s[12:13], 0, v[4:5]
	v_cmp_eq_u32_e64 s[14:15], 0, v24
	s_and_b64 s[14:15], s[12:13], s[14:15]
	v_add_u32_e32 v27, v23, v25
	; wave barrier
	s_and_saveexec_b64 s[12:13], s[14:15]
	s_cbranch_execz .LBB14_19
; %bb.18:
	v_bcnt_u32_b32 v4, v4, 0
	v_bcnt_u32_b32 v4, v5, v4
	s_waitcnt lgkmcnt(0)
	v_add_u32_e32 v4, v21, v4
	ds_write_b32 v27, v4 offset:32
.LBB14_19:
	s_or_b64 exec, exec, s[12:13]
	v_xor_b32_e32 v25, -1, v20
	v_lshrrev_b32_sdwa v4, s48, v25 dst_sel:DWORD dst_unused:UNUSED_PAD src0_sel:DWORD src1_sel:BYTE_0
	v_and_b32_e32 v5, s52, v4
	v_mad_u32_u24 v4, v5, 36, v23
	; wave barrier
	ds_read_b32 v26, v4 offset:32
	v_and_b32_e32 v4, 1, v5
	v_add_co_u32_e64 v28, s[12:13], -1, v4
	v_addc_co_u32_e64 v29, s[12:13], 0, -1, s[12:13]
	v_cmp_ne_u32_e64 s[12:13], 0, v4
	v_xor_b32_e32 v4, s13, v29
	v_and_b32_e32 v29, exec_hi, v4
	v_lshlrev_b32_e32 v4, 30, v5
	v_xor_b32_e32 v28, s12, v28
	v_cmp_gt_i64_e64 s[12:13], 0, v[3:4]
	v_not_b32_e32 v4, v4
	v_ashrrev_i32_e32 v4, 31, v4
	v_and_b32_e32 v28, exec_lo, v28
	v_xor_b32_e32 v30, s13, v4
	v_xor_b32_e32 v4, s12, v4
	v_and_b32_e32 v28, v28, v4
	v_lshlrev_b32_e32 v4, 29, v5
	v_cmp_gt_i64_e64 s[12:13], 0, v[3:4]
	v_not_b32_e32 v4, v4
	v_ashrrev_i32_e32 v4, 31, v4
	v_and_b32_e32 v29, v29, v30
	v_xor_b32_e32 v30, s13, v4
	v_xor_b32_e32 v4, s12, v4
	v_and_b32_e32 v28, v28, v4
	v_lshlrev_b32_e32 v4, 28, v5
	v_cmp_gt_i64_e64 s[12:13], 0, v[3:4]
	v_not_b32_e32 v4, v4
	v_ashrrev_i32_e32 v4, 31, v4
	v_and_b32_e32 v29, v29, v30
	;; [unrolled: 8-line block ×5, first 2 shown]
	v_xor_b32_e32 v30, s13, v4
	v_xor_b32_e32 v4, s12, v4
	v_and_b32_e32 v28, v28, v4
	v_lshlrev_b32_e32 v4, 24, v5
	v_cmp_gt_i64_e64 s[12:13], 0, v[3:4]
	v_not_b32_e32 v3, v4
	v_ashrrev_i32_e32 v3, 31, v3
	v_xor_b32_e32 v4, s13, v3
	v_xor_b32_e32 v3, s12, v3
	v_and_b32_e32 v29, v29, v30
	v_and_b32_e32 v3, v28, v3
	v_mul_u32_u24_e32 v20, 36, v5
	v_and_b32_e32 v4, v29, v4
	v_mbcnt_lo_u32_b32 v5, v3, 0
	v_mbcnt_hi_u32_b32 v30, v4, v5
	v_cmp_ne_u64_e64 s[12:13], 0, v[3:4]
	v_cmp_eq_u32_e64 s[14:15], 0, v30
	s_and_b64 s[14:15], s[12:13], s[14:15]
	v_add_u32_e32 v20, v23, v20
	; wave barrier
	s_and_saveexec_b64 s[12:13], s[14:15]
	s_cbranch_execz .LBB14_21
; %bb.20:
	v_bcnt_u32_b32 v3, v3, 0
	v_bcnt_u32_b32 v3, v4, v3
	s_waitcnt lgkmcnt(0)
	v_add_u32_e32 v3, v26, v3
	ds_write_b32 v20, v3 offset:32
.LBB14_21:
	s_or_b64 exec, exec, s[12:13]
	v_xor_b32_e32 v14, -1, v14
	v_lshrrev_b32_sdwa v3, s48, v14 dst_sel:DWORD dst_unused:UNUSED_PAD src0_sel:DWORD src1_sel:BYTE_0
	v_and_b32_e32 v5, s52, v3
	v_and_b32_e32 v4, 1, v5
	v_add_co_u32_e64 v29, s[12:13], -1, v4
	v_addc_co_u32_e64 v32, s[12:13], 0, -1, s[12:13]
	v_cmp_ne_u32_e64 s[12:13], 0, v4
	v_mad_u32_u24 v3, v5, 36, v23
	v_xor_b32_e32 v4, s13, v32
	; wave barrier
	ds_read_b32 v31, v3 offset:32
	v_mov_b32_e32 v3, 0
	v_and_b32_e32 v32, exec_hi, v4
	v_lshlrev_b32_e32 v4, 30, v5
	v_xor_b32_e32 v29, s12, v29
	v_cmp_gt_i64_e64 s[12:13], 0, v[3:4]
	v_not_b32_e32 v4, v4
	v_ashrrev_i32_e32 v4, 31, v4
	v_and_b32_e32 v29, exec_lo, v29
	v_xor_b32_e32 v33, s13, v4
	v_xor_b32_e32 v4, s12, v4
	v_and_b32_e32 v29, v29, v4
	v_lshlrev_b32_e32 v4, 29, v5
	v_cmp_gt_i64_e64 s[12:13], 0, v[3:4]
	v_not_b32_e32 v4, v4
	v_ashrrev_i32_e32 v4, 31, v4
	v_and_b32_e32 v32, v32, v33
	v_xor_b32_e32 v33, s13, v4
	v_xor_b32_e32 v4, s12, v4
	v_and_b32_e32 v29, v29, v4
	v_lshlrev_b32_e32 v4, 28, v5
	v_cmp_gt_i64_e64 s[12:13], 0, v[3:4]
	v_not_b32_e32 v4, v4
	v_ashrrev_i32_e32 v4, 31, v4
	v_and_b32_e32 v32, v32, v33
	;; [unrolled: 8-line block ×5, first 2 shown]
	v_xor_b32_e32 v33, s13, v4
	v_xor_b32_e32 v4, s12, v4
	v_and_b32_e32 v29, v29, v4
	v_lshlrev_b32_e32 v4, 24, v5
	v_cmp_gt_i64_e64 s[12:13], 0, v[3:4]
	v_not_b32_e32 v4, v4
	v_ashrrev_i32_e32 v4, 31, v4
	v_mul_u32_u24_e32 v28, 36, v5
	v_xor_b32_e32 v5, s13, v4
	v_xor_b32_e32 v4, s12, v4
	v_and_b32_e32 v32, v32, v33
	v_and_b32_e32 v4, v29, v4
	;; [unrolled: 1-line block ×3, first 2 shown]
	v_mbcnt_lo_u32_b32 v29, v4, 0
	v_mbcnt_hi_u32_b32 v32, v5, v29
	v_cmp_ne_u64_e64 s[12:13], 0, v[4:5]
	v_cmp_eq_u32_e64 s[14:15], 0, v32
	s_and_b64 s[14:15], s[12:13], s[14:15]
	v_add_u32_e32 v28, v23, v28
	; wave barrier
	s_and_saveexec_b64 s[12:13], s[14:15]
	s_cbranch_execz .LBB14_23
; %bb.22:
	v_bcnt_u32_b32 v4, v4, 0
	v_bcnt_u32_b32 v4, v5, v4
	s_waitcnt lgkmcnt(0)
	v_add_u32_e32 v4, v31, v4
	ds_write_b32 v28, v4 offset:32
.LBB14_23:
	s_or_b64 exec, exec, s[12:13]
	v_xor_b32_e32 v33, -1, v6
	v_lshrrev_b32_sdwa v4, s48, v33 dst_sel:DWORD dst_unused:UNUSED_PAD src0_sel:DWORD src1_sel:BYTE_0
	v_and_b32_e32 v5, s52, v4
	v_mad_u32_u24 v4, v5, 36, v23
	; wave barrier
	ds_read_b32 v34, v4 offset:32
	v_and_b32_e32 v4, 1, v5
	v_add_co_u32_e64 v29, s[12:13], -1, v4
	v_addc_co_u32_e64 v35, s[12:13], 0, -1, s[12:13]
	v_cmp_ne_u32_e64 s[12:13], 0, v4
	v_xor_b32_e32 v4, s13, v35
	v_and_b32_e32 v35, exec_hi, v4
	v_lshlrev_b32_e32 v4, 30, v5
	v_xor_b32_e32 v29, s12, v29
	v_cmp_gt_i64_e64 s[12:13], 0, v[3:4]
	v_not_b32_e32 v4, v4
	v_ashrrev_i32_e32 v4, 31, v4
	v_and_b32_e32 v29, exec_lo, v29
	v_xor_b32_e32 v36, s13, v4
	v_xor_b32_e32 v4, s12, v4
	v_and_b32_e32 v29, v29, v4
	v_lshlrev_b32_e32 v4, 29, v5
	v_cmp_gt_i64_e64 s[12:13], 0, v[3:4]
	v_not_b32_e32 v4, v4
	v_ashrrev_i32_e32 v4, 31, v4
	v_and_b32_e32 v35, v35, v36
	v_xor_b32_e32 v36, s13, v4
	v_xor_b32_e32 v4, s12, v4
	v_and_b32_e32 v29, v29, v4
	v_lshlrev_b32_e32 v4, 28, v5
	v_cmp_gt_i64_e64 s[12:13], 0, v[3:4]
	v_not_b32_e32 v4, v4
	v_ashrrev_i32_e32 v4, 31, v4
	v_and_b32_e32 v35, v35, v36
	v_xor_b32_e32 v36, s13, v4
	v_xor_b32_e32 v4, s12, v4
	v_and_b32_e32 v29, v29, v4
	v_lshlrev_b32_e32 v4, 27, v5
	v_cmp_gt_i64_e64 s[12:13], 0, v[3:4]
	v_not_b32_e32 v4, v4
	v_ashrrev_i32_e32 v4, 31, v4
	v_and_b32_e32 v35, v35, v36
	v_xor_b32_e32 v36, s13, v4
	v_xor_b32_e32 v4, s12, v4
	v_and_b32_e32 v29, v29, v4
	v_lshlrev_b32_e32 v4, 26, v5
	v_cmp_gt_i64_e64 s[12:13], 0, v[3:4]
	v_not_b32_e32 v4, v4
	v_ashrrev_i32_e32 v4, 31, v4
	v_and_b32_e32 v35, v35, v36
	v_xor_b32_e32 v36, s13, v4
	v_xor_b32_e32 v4, s12, v4
	v_and_b32_e32 v29, v29, v4
	v_lshlrev_b32_e32 v4, 25, v5
	v_cmp_gt_i64_e64 s[12:13], 0, v[3:4]
	v_not_b32_e32 v4, v4
	v_ashrrev_i32_e32 v4, 31, v4
	v_and_b32_e32 v35, v35, v36
	v_xor_b32_e32 v36, s13, v4
	v_xor_b32_e32 v4, s12, v4
	v_and_b32_e32 v29, v29, v4
	v_lshlrev_b32_e32 v4, 24, v5
	v_cmp_gt_i64_e64 s[12:13], 0, v[3:4]
	v_not_b32_e32 v3, v4
	v_ashrrev_i32_e32 v3, 31, v3
	v_xor_b32_e32 v4, s13, v3
	v_xor_b32_e32 v3, s12, v3
	v_and_b32_e32 v35, v35, v36
	v_and_b32_e32 v3, v29, v3
	v_mul_u32_u24_e32 v6, 36, v5
	v_and_b32_e32 v4, v35, v4
	v_mbcnt_lo_u32_b32 v5, v3, 0
	v_mbcnt_hi_u32_b32 v35, v4, v5
	v_cmp_ne_u64_e64 s[12:13], 0, v[3:4]
	v_cmp_eq_u32_e64 s[14:15], 0, v35
	s_and_b64 s[14:15], s[12:13], s[14:15]
	v_add_u32_e32 v23, v23, v6
	; wave barrier
	s_and_saveexec_b64 s[12:13], s[14:15]
	s_cbranch_execz .LBB14_25
; %bb.24:
	v_bcnt_u32_b32 v3, v3, 0
	v_bcnt_u32_b32 v3, v4, v3
	s_waitcnt lgkmcnt(0)
	v_add_u32_e32 v3, v34, v3
	ds_write_b32 v23, v3 offset:32
.LBB14_25:
	s_or_b64 exec, exec, s[12:13]
	; wave barrier
	s_waitcnt lgkmcnt(0)
	s_barrier
	ds_read2_b32 v[5:6], v9 offset0:8 offset1:9
	ds_read2_b32 v[3:4], v9 offset0:10 offset1:11
	ds_read_b32 v29, v9 offset:48
	v_min_u32_e32 v7, 0x1c0, v7
	v_or_b32_e32 v7, 63, v7
	s_waitcnt lgkmcnt(1)
	v_add3_u32 v36, v6, v5, v3
	s_waitcnt lgkmcnt(0)
	v_add3_u32 v29, v36, v4, v29
	v_and_b32_e32 v36, 15, v12
	v_cmp_ne_u32_e64 s[12:13], 0, v36
	v_mov_b32_dpp v37, v29 row_shr:1 row_mask:0xf bank_mask:0xf
	v_cndmask_b32_e64 v37, 0, v37, s[12:13]
	v_add_u32_e32 v29, v37, v29
	v_cmp_lt_u32_e64 s[12:13], 1, v36
	s_nop 0
	v_mov_b32_dpp v37, v29 row_shr:2 row_mask:0xf bank_mask:0xf
	v_cndmask_b32_e64 v37, 0, v37, s[12:13]
	v_add_u32_e32 v29, v29, v37
	v_cmp_lt_u32_e64 s[12:13], 3, v36
	s_nop 0
	;; [unrolled: 5-line block ×3, first 2 shown]
	v_mov_b32_dpp v37, v29 row_shr:8 row_mask:0xf bank_mask:0xf
	v_cndmask_b32_e64 v36, 0, v37, s[12:13]
	v_add_u32_e32 v29, v29, v36
	v_bfe_i32 v37, v12, 4, 1
	v_cmp_lt_u32_e64 s[12:13], 31, v12
	v_mov_b32_dpp v36, v29 row_bcast:15 row_mask:0xf bank_mask:0xf
	v_and_b32_e32 v36, v37, v36
	v_add_u32_e32 v29, v29, v36
	s_nop 1
	v_mov_b32_dpp v36, v29 row_bcast:31 row_mask:0xf bank_mask:0xf
	v_cndmask_b32_e64 v36, 0, v36, s[12:13]
	v_add_u32_e32 v29, v29, v36
	v_lshrrev_b32_e32 v36, 6, v0
	v_cmp_eq_u32_e64 s[12:13], v0, v7
	s_and_saveexec_b64 s[14:15], s[12:13]
; %bb.26:
	v_lshlrev_b32_e32 v7, 2, v36
	ds_write_b32 v7, v29
; %bb.27:
	s_or_b64 exec, exec, s[14:15]
	v_cmp_gt_u32_e64 s[12:13], 8, v0
	s_waitcnt lgkmcnt(0)
	s_barrier
	s_and_saveexec_b64 s[14:15], s[12:13]
	s_cbranch_execz .LBB14_29
; %bb.28:
	v_lshlrev_b32_e32 v7, 2, v0
	ds_read_b32 v37, v7
	v_and_b32_e32 v38, 7, v12
	v_cmp_ne_u32_e64 s[12:13], 0, v38
	s_waitcnt lgkmcnt(0)
	v_mov_b32_dpp v39, v37 row_shr:1 row_mask:0xf bank_mask:0xf
	v_cndmask_b32_e64 v39, 0, v39, s[12:13]
	v_add_u32_e32 v37, v39, v37
	v_cmp_lt_u32_e64 s[12:13], 1, v38
	s_nop 0
	v_mov_b32_dpp v39, v37 row_shr:2 row_mask:0xf bank_mask:0xf
	v_cndmask_b32_e64 v39, 0, v39, s[12:13]
	v_add_u32_e32 v37, v37, v39
	v_cmp_lt_u32_e64 s[12:13], 3, v38
	s_nop 0
	v_mov_b32_dpp v39, v37 row_shr:4 row_mask:0xf bank_mask:0xf
	v_cndmask_b32_e64 v38, 0, v39, s[12:13]
	v_add_u32_e32 v37, v37, v38
	ds_write_b32 v7, v37
.LBB14_29:
	s_or_b64 exec, exec, s[14:15]
	v_cmp_lt_u32_e64 s[12:13], 63, v0
	v_mov_b32_e32 v7, 0
	s_waitcnt lgkmcnt(0)
	s_barrier
	s_and_saveexec_b64 s[14:15], s[12:13]
; %bb.30:
	v_lshl_add_u32 v7, v36, 2, -4
	ds_read_b32 v7, v7
; %bb.31:
	s_or_b64 exec, exec, s[14:15]
	v_add_u32_e32 v36, -1, v12
	v_and_b32_e32 v37, 64, v12
	v_cmp_lt_i32_e64 s[12:13], v36, v37
	v_cndmask_b32_e64 v36, v36, v12, s[12:13]
	s_waitcnt lgkmcnt(0)
	v_add_u32_e32 v29, v7, v29
	v_lshlrev_b32_e32 v36, 2, v36
	ds_bpermute_b32 v29, v36, v29
	v_cmp_eq_u32_e64 s[12:13], 0, v12
	s_movk_i32 s16, 0x100
	v_cmp_gt_u32_e64 s[14:15], s16, v0
	s_waitcnt lgkmcnt(0)
	v_cndmask_b32_e64 v7, v29, v7, s[12:13]
	v_cmp_ne_u32_e64 s[12:13], 0, v0
	v_cndmask_b32_e64 v7, 0, v7, s[12:13]
	v_add_u32_e32 v5, v7, v5
	v_add_u32_e32 v6, v5, v6
	;; [unrolled: 1-line block ×4, first 2 shown]
	ds_write2_b32 v9, v7, v5 offset0:8 offset1:9
	ds_write2_b32 v9, v6, v3 offset0:10 offset1:11
	ds_write_b32 v9, v4 offset:48
	s_waitcnt lgkmcnt(0)
	s_barrier
	ds_read_b32 v5, v16 offset:32
	ds_read_b32 v6, v22 offset:32
	;; [unrolled: 1-line block ×6, first 2 shown]
	s_movk_i32 s12, 0xff
	v_mov_b32_e32 v3, 0
	v_cmp_lt_u32_e64 s[12:13], s12, v0
	v_mov_b32_e32 v4, 0
                                        ; implicit-def: $vgpr20
	s_and_saveexec_b64 s[18:19], s[14:15]
	s_cbranch_execz .LBB14_35
; %bb.32:
	v_mul_u32_u24_e32 v3, 36, v0
	ds_read_b32 v3, v3 offset:32
	v_add_u32_e32 v20, 1, v0
	v_cmp_ne_u32_e64 s[16:17], s16, v20
	v_mov_b32_e32 v4, 0xc00
	s_and_saveexec_b64 s[20:21], s[16:17]
; %bb.33:
	v_mul_u32_u24_e32 v4, 36, v20
	ds_read_b32 v4, v4 offset:32
; %bb.34:
	s_or_b64 exec, exec, s[20:21]
	s_waitcnt lgkmcnt(0)
	v_sub_u32_e32 v20, v4, v3
	v_mov_b32_e32 v4, 0
.LBB14_35:
	s_or_b64 exec, exec, s[18:19]
	s_waitcnt lgkmcnt(5)
	v_add_u32_e32 v29, v5, v10
	s_waitcnt lgkmcnt(4)
	v_add3_u32 v28, v17, v15, v6
	s_waitcnt lgkmcnt(3)
	v_add3_u32 v27, v24, v21, v7
	;; [unrolled: 2-line block ×5, first 2 shown]
	v_mov_b32_e32 v6, 0
	v_lshlrev_b32_e32 v21, 3, v0
	s_barrier
	ds_write_b8 v29, v8 offset:2048
	ds_write_b8 v28, v13 offset:2048
	;; [unrolled: 1-line block ×6, first 2 shown]
	s_waitcnt lgkmcnt(0)
	s_barrier
	s_and_saveexec_b64 s[16:17], s[14:15]
	s_cbranch_execz .LBB14_45
; %bb.36:
	v_lshl_add_u32 v5, s6, 8, v0
	v_lshlrev_b64 v[7:8], 2, v[5:6]
	v_mov_b32_e32 v13, s35
	v_add_co_u32_e64 v7, s[14:15], s34, v7
	v_addc_co_u32_e64 v8, s[14:15], v13, v8, s[14:15]
	v_or_b32_e32 v5, 2.0, v20
	s_mov_b64 s[18:19], 0
	s_brev_b32 s24, -4
	s_mov_b32 s25, s6
	v_mov_b32_e32 v14, 0
	global_store_dword v[7:8], v5, off
                                        ; implicit-def: $sgpr14_sgpr15
	s_branch .LBB14_39
.LBB14_37:                              ;   in Loop: Header=BB14_39 Depth=1
	s_or_b64 exec, exec, s[22:23]
.LBB14_38:                              ;   in Loop: Header=BB14_39 Depth=1
	s_or_b64 exec, exec, s[20:21]
	v_and_b32_e32 v9, 0x3fffffff, v5
	v_add_u32_e32 v14, v9, v14
	v_cmp_gt_i32_e64 s[14:15], -2.0, v5
	s_and_b64 s[20:21], exec, s[14:15]
	s_or_b64 s[18:19], s[20:21], s[18:19]
	s_andn2_b64 exec, exec, s[18:19]
	s_cbranch_execz .LBB14_44
.LBB14_39:                              ; =>This Loop Header: Depth=1
                                        ;     Child Loop BB14_42 Depth 2
	s_or_b64 s[14:15], s[14:15], exec
	s_cmp_eq_u32 s25, 0
	s_cbranch_scc1 .LBB14_43
; %bb.40:                               ;   in Loop: Header=BB14_39 Depth=1
	s_add_i32 s25, s25, -1
	v_lshl_or_b32 v5, s25, 8, v0
	v_lshlrev_b64 v[9:10], 2, v[5:6]
	v_add_co_u32_e64 v9, s[14:15], s34, v9
	v_addc_co_u32_e64 v10, s[14:15], v13, v10, s[14:15]
	global_load_dword v5, v[9:10], off glc
	s_waitcnt vmcnt(0)
	v_cmp_gt_u32_e64 s[14:15], 2.0, v5
	s_and_saveexec_b64 s[20:21], s[14:15]
	s_cbranch_execz .LBB14_38
; %bb.41:                               ;   in Loop: Header=BB14_39 Depth=1
	s_mov_b64 s[22:23], 0
.LBB14_42:                              ;   Parent Loop BB14_39 Depth=1
                                        ; =>  This Inner Loop Header: Depth=2
	global_load_dword v5, v[9:10], off glc
	s_waitcnt vmcnt(0)
	v_cmp_lt_u32_e64 s[14:15], s24, v5
	s_or_b64 s[22:23], s[14:15], s[22:23]
	s_andn2_b64 exec, exec, s[22:23]
	s_cbranch_execnz .LBB14_42
	s_branch .LBB14_37
.LBB14_43:                              ;   in Loop: Header=BB14_39 Depth=1
                                        ; implicit-def: $sgpr25
	s_and_b64 s[20:21], exec, s[14:15]
	s_or_b64 s[18:19], s[20:21], s[18:19]
	s_andn2_b64 exec, exec, s[18:19]
	s_cbranch_execnz .LBB14_39
.LBB14_44:
	s_or_b64 exec, exec, s[18:19]
	v_add_u32_e32 v5, v14, v20
	v_or_b32_e32 v5, 0x80000000, v5
	global_store_dword v[7:8], v5, off
	global_load_dwordx2 v[5:6], v21, s[44:45]
	v_sub_co_u32_e64 v7, s[14:15], v14, v3
	v_subb_co_u32_e64 v8, s[14:15], 0, v4, s[14:15]
	s_waitcnt vmcnt(0)
	v_add_co_u32_e64 v5, s[14:15], v7, v5
	v_addc_co_u32_e64 v6, s[14:15], v8, v6, s[14:15]
	ds_write_b64 v21, v[5:6]
.LBB14_45:
	s_or_b64 exec, exec, s[16:17]
	v_cmp_gt_u32_e64 s[14:15], s33, v0
	s_waitcnt lgkmcnt(0)
	s_barrier
	s_and_saveexec_b64 s[18:19], s[14:15]
	s_cbranch_execz .LBB14_47
; %bb.46:
	ds_read_u8 v7, v0 offset:2048
	v_mov_b32_e32 v8, s39
	s_waitcnt lgkmcnt(0)
	v_lshrrev_b32_sdwa v5, s48, v7 dst_sel:DWORD dst_unused:UNUSED_PAD src0_sel:DWORD src1_sel:BYTE_0
	v_and_b32_e32 v5, s52, v5
	v_lshlrev_b32_e32 v5, 3, v5
	ds_read_b64 v[5:6], v5
	v_xor_b32_e32 v7, -1, v7
	s_waitcnt lgkmcnt(0)
	v_add_co_u32_e64 v5, s[16:17], s38, v5
	v_addc_co_u32_e64 v6, s[16:17], v8, v6, s[16:17]
	v_add_co_u32_e64 v5, s[16:17], v5, v0
	v_addc_co_u32_e64 v6, s[16:17], 0, v6, s[16:17]
	global_store_byte v[5:6], v7, off
.LBB14_47:
	s_or_b64 exec, exec, s[18:19]
	v_or_b32_e32 v25, 0x200, v0
	v_cmp_gt_u32_e64 s[16:17], s33, v25
	s_and_saveexec_b64 s[20:21], s[16:17]
	s_cbranch_execz .LBB14_49
; %bb.48:
	ds_read_u8 v7, v0 offset:2560
	v_mov_b32_e32 v8, s39
	s_waitcnt lgkmcnt(0)
	v_lshrrev_b32_sdwa v5, s48, v7 dst_sel:DWORD dst_unused:UNUSED_PAD src0_sel:DWORD src1_sel:BYTE_0
	v_and_b32_e32 v5, s52, v5
	v_lshlrev_b32_e32 v5, 3, v5
	ds_read_b64 v[5:6], v5
	v_xor_b32_e32 v7, -1, v7
	s_waitcnt lgkmcnt(0)
	v_add_co_u32_e64 v5, s[18:19], s38, v5
	v_addc_co_u32_e64 v6, s[18:19], v8, v6, s[18:19]
	v_add_co_u32_e64 v5, s[18:19], v5, v0
	v_addc_co_u32_e64 v6, s[18:19], 0, v6, s[18:19]
	global_store_byte v[5:6], v7, off offset:512
.LBB14_49:
	s_or_b64 exec, exec, s[20:21]
	v_or_b32_e32 v26, 0x400, v0
	v_cmp_gt_u32_e64 s[18:19], s33, v26
	s_and_saveexec_b64 s[22:23], s[18:19]
	s_cbranch_execz .LBB14_51
; %bb.50:
	ds_read_u8 v7, v0 offset:3072
	v_mov_b32_e32 v8, s39
	s_waitcnt lgkmcnt(0)
	v_lshrrev_b32_sdwa v5, s48, v7 dst_sel:DWORD dst_unused:UNUSED_PAD src0_sel:DWORD src1_sel:BYTE_0
	v_and_b32_e32 v5, s52, v5
	v_lshlrev_b32_e32 v5, 3, v5
	ds_read_b64 v[5:6], v5
	v_xor_b32_e32 v7, -1, v7
	s_waitcnt lgkmcnt(0)
	v_add_co_u32_e64 v5, s[20:21], s38, v5
	v_addc_co_u32_e64 v6, s[20:21], v8, v6, s[20:21]
	v_add_co_u32_e64 v5, s[20:21], v5, v0
	v_addc_co_u32_e64 v6, s[20:21], 0, v6, s[20:21]
	global_store_byte v[5:6], v7, off offset:1024
.LBB14_51:
	s_or_b64 exec, exec, s[22:23]
	v_or_b32_e32 v30, 0x600, v0
	v_cmp_gt_u32_e64 s[20:21], s33, v30
	s_and_saveexec_b64 s[24:25], s[20:21]
	s_cbranch_execz .LBB14_53
; %bb.52:
	ds_read_u8 v7, v0 offset:3584
	v_mov_b32_e32 v8, s39
	s_waitcnt lgkmcnt(0)
	v_lshrrev_b32_sdwa v5, s48, v7 dst_sel:DWORD dst_unused:UNUSED_PAD src0_sel:DWORD src1_sel:BYTE_0
	v_and_b32_e32 v5, s52, v5
	v_lshlrev_b32_e32 v5, 3, v5
	ds_read_b64 v[5:6], v5
	v_xor_b32_e32 v7, -1, v7
	s_waitcnt lgkmcnt(0)
	v_add_co_u32_e64 v5, s[22:23], s38, v5
	v_addc_co_u32_e64 v6, s[22:23], v8, v6, s[22:23]
	v_add_co_u32_e64 v5, s[22:23], v5, v0
	v_addc_co_u32_e64 v6, s[22:23], 0, v6, s[22:23]
	global_store_byte v[5:6], v7, off offset:1536
.LBB14_53:
	s_or_b64 exec, exec, s[24:25]
	v_or_b32_e32 v31, 0x800, v0
	v_cmp_gt_u32_e64 s[22:23], s33, v31
	s_and_saveexec_b64 s[28:29], s[22:23]
	s_cbranch_execz .LBB14_55
; %bb.54:
	ds_read_u8 v7, v0 offset:4096
	v_mov_b32_e32 v8, s39
	s_waitcnt lgkmcnt(0)
	v_lshrrev_b32_sdwa v5, s48, v7 dst_sel:DWORD dst_unused:UNUSED_PAD src0_sel:DWORD src1_sel:BYTE_0
	v_and_b32_e32 v5, s52, v5
	v_lshlrev_b32_e32 v5, 3, v5
	ds_read_b64 v[5:6], v5
	v_xor_b32_e32 v7, -1, v7
	s_waitcnt lgkmcnt(0)
	v_add_co_u32_e64 v5, s[24:25], s38, v5
	v_addc_co_u32_e64 v6, s[24:25], v8, v6, s[24:25]
	v_add_co_u32_e64 v5, s[24:25], v5, v0
	v_addc_co_u32_e64 v6, s[24:25], 0, v6, s[24:25]
	global_store_byte v[5:6], v7, off offset:2048
.LBB14_55:
	s_or_b64 exec, exec, s[28:29]
	v_or_b32_e32 v32, 0xa00, v0
	v_cmp_gt_u32_e64 s[24:25], s33, v32
	s_and_saveexec_b64 s[50:51], s[24:25]
	s_cbranch_execz .LBB14_57
; %bb.56:
	ds_read_u8 v7, v0 offset:4608
	v_mov_b32_e32 v8, s39
	s_waitcnt lgkmcnt(0)
	v_lshrrev_b32_sdwa v5, s48, v7 dst_sel:DWORD dst_unused:UNUSED_PAD src0_sel:DWORD src1_sel:BYTE_0
	v_and_b32_e32 v5, s52, v5
	v_lshlrev_b32_e32 v5, 3, v5
	ds_read_b64 v[5:6], v5
	v_xor_b32_e32 v7, -1, v7
	s_waitcnt lgkmcnt(0)
	v_add_co_u32_e64 v5, s[28:29], s38, v5
	v_addc_co_u32_e64 v6, s[28:29], v8, v6, s[28:29]
	v_add_co_u32_e64 v5, s[28:29], v5, v0
	v_addc_co_u32_e64 v6, s[28:29], 0, v6, s[28:29]
	global_store_byte v[5:6], v7, off offset:2560
.LBB14_57:
	s_or_b64 exec, exec, s[50:51]
	s_lshl_b64 s[28:29], s[30:31], 3
	s_add_u32 s28, s40, s28
	s_addc_u32 s29, s41, s29
	v_lshlrev_b32_e32 v5, 3, v12
	v_mov_b32_e32 v6, s29
	v_add_co_u32_e64 v5, s[28:29], s28, v5
	v_addc_co_u32_e64 v6, s[28:29], 0, v6, s[28:29]
	v_lshlrev_b32_e32 v7, 3, v11
	v_add_co_u32_e64 v17, s[28:29], v5, v7
	v_addc_co_u32_e64 v18, s[28:29], 0, v6, s[28:29]
                                        ; implicit-def: $vgpr5_vgpr6
	s_and_saveexec_b64 s[28:29], vcc
	s_xor_b64 s[28:29], exec, s[28:29]
	s_cbranch_execz .LBB14_63
; %bb.58:
	global_load_dwordx2 v[5:6], v[17:18], off
	s_or_b64 exec, exec, s[28:29]
                                        ; implicit-def: $vgpr7_vgpr8
	s_and_saveexec_b64 s[28:29], s[0:1]
	s_cbranch_execnz .LBB14_64
.LBB14_59:
	s_or_b64 exec, exec, s[28:29]
                                        ; implicit-def: $vgpr9_vgpr10
	s_and_saveexec_b64 s[0:1], s[2:3]
	s_cbranch_execz .LBB14_65
.LBB14_60:
	global_load_dwordx2 v[9:10], v[17:18], off offset:1024
	s_or_b64 exec, exec, s[0:1]
                                        ; implicit-def: $vgpr11_vgpr12
	s_and_saveexec_b64 s[0:1], s[26:27]
	s_cbranch_execnz .LBB14_66
.LBB14_61:
	s_or_b64 exec, exec, s[0:1]
                                        ; implicit-def: $vgpr13_vgpr14
	s_and_saveexec_b64 s[0:1], s[8:9]
	s_cbranch_execz .LBB14_67
.LBB14_62:
	global_load_dwordx2 v[13:14], v[17:18], off offset:2048
	s_or_b64 exec, exec, s[0:1]
                                        ; implicit-def: $vgpr15_vgpr16
	s_and_saveexec_b64 s[0:1], s[10:11]
	s_cbranch_execnz .LBB14_68
	s_branch .LBB14_69
.LBB14_63:
	s_or_b64 exec, exec, s[28:29]
                                        ; implicit-def: $vgpr7_vgpr8
	s_and_saveexec_b64 s[28:29], s[0:1]
	s_cbranch_execz .LBB14_59
.LBB14_64:
	global_load_dwordx2 v[7:8], v[17:18], off offset:512
	s_or_b64 exec, exec, s[28:29]
                                        ; implicit-def: $vgpr9_vgpr10
	s_and_saveexec_b64 s[0:1], s[2:3]
	s_cbranch_execnz .LBB14_60
.LBB14_65:
	s_or_b64 exec, exec, s[0:1]
                                        ; implicit-def: $vgpr11_vgpr12
	s_and_saveexec_b64 s[0:1], s[26:27]
	s_cbranch_execz .LBB14_61
.LBB14_66:
	global_load_dwordx2 v[11:12], v[17:18], off offset:1536
	s_or_b64 exec, exec, s[0:1]
                                        ; implicit-def: $vgpr13_vgpr14
	s_and_saveexec_b64 s[0:1], s[8:9]
	s_cbranch_execnz .LBB14_62
.LBB14_67:
	s_or_b64 exec, exec, s[0:1]
                                        ; implicit-def: $vgpr15_vgpr16
	s_and_saveexec_b64 s[0:1], s[10:11]
	s_cbranch_execz .LBB14_69
.LBB14_68:
	global_load_dwordx2 v[15:16], v[17:18], off offset:2560
.LBB14_69:
	s_or_b64 exec, exec, s[0:1]
	v_mov_b32_e32 v34, 0
	v_mov_b32_e32 v36, 0
	s_and_saveexec_b64 s[0:1], s[14:15]
	s_cbranch_execz .LBB14_71
; %bb.70:
	ds_read_u8 v17, v0 offset:2048
	s_waitcnt lgkmcnt(0)
	v_lshrrev_b32_e32 v17, s48, v17
	v_and_b32_e32 v36, s52, v17
.LBB14_71:
	s_or_b64 exec, exec, s[0:1]
	s_and_saveexec_b64 s[0:1], s[16:17]
	s_cbranch_execz .LBB14_73
; %bb.72:
	ds_read_u8 v17, v0 offset:2560
	s_waitcnt lgkmcnt(0)
	v_lshrrev_b32_e32 v17, s48, v17
	v_and_b32_e32 v34, s52, v17
.LBB14_73:
	s_or_b64 exec, exec, s[0:1]
	v_mov_b32_e32 v18, 0
	v_mov_b32_e32 v35, 0
	s_and_saveexec_b64 s[0:1], s[18:19]
	s_cbranch_execz .LBB14_75
; %bb.74:
	ds_read_u8 v17, v0 offset:3072
	s_waitcnt lgkmcnt(0)
	v_lshrrev_b32_e32 v17, s48, v17
	v_and_b32_e32 v35, s52, v17
.LBB14_75:
	s_or_b64 exec, exec, s[0:1]
	s_and_saveexec_b64 s[0:1], s[20:21]
	s_cbranch_execz .LBB14_77
; %bb.76:
	ds_read_u8 v17, v0 offset:3584
	s_waitcnt lgkmcnt(0)
	v_lshrrev_b32_e32 v17, s48, v17
	v_and_b32_e32 v18, s52, v17
.LBB14_77:
	s_or_b64 exec, exec, s[0:1]
	v_mov_b32_e32 v17, 0
	v_mov_b32_e32 v33, 0
	s_and_saveexec_b64 s[0:1], s[22:23]
	s_cbranch_execz .LBB14_79
; %bb.78:
	ds_read_u8 v33, v0 offset:4096
	s_waitcnt lgkmcnt(0)
	v_lshrrev_b32_e32 v33, s48, v33
	v_and_b32_e32 v33, s52, v33
.LBB14_79:
	s_or_b64 exec, exec, s[0:1]
	s_and_saveexec_b64 s[0:1], s[24:25]
	s_cbranch_execz .LBB14_81
; %bb.80:
	ds_read_u8 v17, v0 offset:4608
	s_waitcnt lgkmcnt(0)
	v_lshrrev_b32_e32 v17, s48, v17
	v_and_b32_e32 v17, s52, v17
.LBB14_81:
	s_or_b64 exec, exec, s[0:1]
	v_lshlrev_b32_e32 v29, 3, v29
	s_waitcnt vmcnt(0)
	s_barrier
	ds_write_b64 v29, v[5:6] offset:2048
	v_lshlrev_b32_e32 v5, 3, v28
	ds_write_b64 v5, v[7:8] offset:2048
	v_lshlrev_b32_e32 v5, 3, v27
	;; [unrolled: 2-line block ×5, first 2 shown]
	ds_write_b64 v5, v[15:16] offset:2048
	s_waitcnt lgkmcnt(0)
	s_barrier
	s_and_saveexec_b64 s[0:1], s[14:15]
	s_cbranch_execz .LBB14_87
; %bb.82:
	v_lshlrev_b32_e32 v5, 3, v36
	ds_read_b64 v[5:6], v5
	ds_read_b64 v[7:8], v21 offset:2048
	v_mov_b32_e32 v9, s43
	s_waitcnt lgkmcnt(1)
	v_lshlrev_b64 v[5:6], 3, v[5:6]
	v_add_co_u32_e32 v5, vcc, s42, v5
	v_addc_co_u32_e32 v6, vcc, v9, v6, vcc
	v_add_co_u32_e32 v5, vcc, v5, v21
	v_addc_co_u32_e32 v6, vcc, 0, v6, vcc
	s_waitcnt lgkmcnt(0)
	global_store_dwordx2 v[5:6], v[7:8], off
	s_or_b64 exec, exec, s[0:1]
	s_and_saveexec_b64 s[0:1], s[16:17]
	s_cbranch_execnz .LBB14_88
.LBB14_83:
	s_or_b64 exec, exec, s[0:1]
	s_and_saveexec_b64 s[0:1], s[18:19]
	s_cbranch_execz .LBB14_89
.LBB14_84:
	v_lshlrev_b32_e32 v5, 3, v35
	ds_read_b64 v[5:6], v5
	ds_read_b64 v[7:8], v21 offset:10240
	v_mov_b32_e32 v9, s43
	s_waitcnt lgkmcnt(1)
	v_lshlrev_b64 v[5:6], 3, v[5:6]
	v_add_co_u32_e32 v5, vcc, s42, v5
	v_addc_co_u32_e32 v6, vcc, v9, v6, vcc
	v_lshlrev_b32_e32 v9, 3, v26
	v_add_co_u32_e32 v5, vcc, v5, v9
	v_addc_co_u32_e32 v6, vcc, 0, v6, vcc
	s_waitcnt lgkmcnt(0)
	global_store_dwordx2 v[5:6], v[7:8], off
	s_or_b64 exec, exec, s[0:1]
	s_and_saveexec_b64 s[0:1], s[20:21]
	s_cbranch_execnz .LBB14_90
.LBB14_85:
	s_or_b64 exec, exec, s[0:1]
	s_and_saveexec_b64 s[0:1], s[22:23]
	s_cbranch_execz .LBB14_91
.LBB14_86:
	v_lshlrev_b32_e32 v5, 3, v33
	ds_read_b64 v[5:6], v5
	ds_read_b64 v[7:8], v21 offset:18432
	v_mov_b32_e32 v9, s43
	s_waitcnt lgkmcnt(1)
	v_lshlrev_b64 v[5:6], 3, v[5:6]
	v_add_co_u32_e32 v5, vcc, s42, v5
	v_addc_co_u32_e32 v6, vcc, v9, v6, vcc
	v_lshlrev_b32_e32 v9, 3, v31
	v_add_co_u32_e32 v5, vcc, v5, v9
	v_addc_co_u32_e32 v6, vcc, 0, v6, vcc
	s_waitcnt lgkmcnt(0)
	global_store_dwordx2 v[5:6], v[7:8], off
	s_or_b64 exec, exec, s[0:1]
	s_and_saveexec_b64 s[0:1], s[24:25]
	s_cbranch_execnz .LBB14_92
	s_branch .LBB14_93
.LBB14_87:
	s_or_b64 exec, exec, s[0:1]
	s_and_saveexec_b64 s[0:1], s[16:17]
	s_cbranch_execz .LBB14_83
.LBB14_88:
	v_lshlrev_b32_e32 v5, 3, v34
	ds_read_b64 v[5:6], v5
	ds_read_b64 v[7:8], v21 offset:6144
	v_mov_b32_e32 v9, s43
	s_waitcnt lgkmcnt(1)
	v_lshlrev_b64 v[5:6], 3, v[5:6]
	v_add_co_u32_e32 v5, vcc, s42, v5
	v_addc_co_u32_e32 v6, vcc, v9, v6, vcc
	v_lshlrev_b32_e32 v9, 3, v25
	v_add_co_u32_e32 v5, vcc, v5, v9
	v_addc_co_u32_e32 v6, vcc, 0, v6, vcc
	s_waitcnt lgkmcnt(0)
	global_store_dwordx2 v[5:6], v[7:8], off
	s_or_b64 exec, exec, s[0:1]
	s_and_saveexec_b64 s[0:1], s[18:19]
	s_cbranch_execnz .LBB14_84
.LBB14_89:
	s_or_b64 exec, exec, s[0:1]
	s_and_saveexec_b64 s[0:1], s[20:21]
	s_cbranch_execz .LBB14_85
.LBB14_90:
	v_lshlrev_b32_e32 v5, 3, v18
	ds_read_b64 v[5:6], v5
	ds_read_b64 v[7:8], v21 offset:14336
	v_mov_b32_e32 v9, s43
	s_waitcnt lgkmcnt(1)
	v_lshlrev_b64 v[5:6], 3, v[5:6]
	v_add_co_u32_e32 v5, vcc, s42, v5
	v_addc_co_u32_e32 v6, vcc, v9, v6, vcc
	v_lshlrev_b32_e32 v9, 3, v30
	v_add_co_u32_e32 v5, vcc, v5, v9
	v_addc_co_u32_e32 v6, vcc, 0, v6, vcc
	s_waitcnt lgkmcnt(0)
	global_store_dwordx2 v[5:6], v[7:8], off
	s_or_b64 exec, exec, s[0:1]
	s_and_saveexec_b64 s[0:1], s[22:23]
	s_cbranch_execnz .LBB14_86
.LBB14_91:
	s_or_b64 exec, exec, s[0:1]
	s_and_saveexec_b64 s[0:1], s[24:25]
	s_cbranch_execz .LBB14_93
.LBB14_92:
	v_lshlrev_b32_e32 v5, 3, v17
	ds_read_b64 v[5:6], v5
	ds_read_b64 v[7:8], v21 offset:22528
	v_mov_b32_e32 v9, s43
	s_waitcnt lgkmcnt(1)
	v_lshlrev_b64 v[5:6], 3, v[5:6]
	v_add_co_u32_e32 v5, vcc, s42, v5
	v_addc_co_u32_e32 v6, vcc, v9, v6, vcc
	v_lshlrev_b32_e32 v9, 3, v32
	v_add_co_u32_e32 v5, vcc, v5, v9
	v_addc_co_u32_e32 v6, vcc, 0, v6, vcc
	s_waitcnt lgkmcnt(0)
	global_store_dwordx2 v[5:6], v[7:8], off
.LBB14_93:
	s_or_b64 exec, exec, s[0:1]
	s_add_i32 s7, s7, -1
	s_cmp_eq_u32 s6, s7
	s_cselect_b64 s[0:1], -1, 0
	s_xor_b64 s[2:3], s[12:13], -1
	s_and_b64 s[2:3], s[2:3], s[0:1]
	s_and_saveexec_b64 s[0:1], s[2:3]
	s_cbranch_execz .LBB14_95
; %bb.94:
	ds_read_b64 v[5:6], v21
	v_add_co_u32_e32 v3, vcc, v3, v20
	v_addc_co_u32_e32 v4, vcc, 0, v4, vcc
	s_waitcnt lgkmcnt(0)
	v_add_co_u32_e32 v3, vcc, v3, v5
	v_addc_co_u32_e32 v4, vcc, v4, v6, vcc
	global_store_dwordx2 v21, v[3:4], s[46:47]
.LBB14_95:
	s_or_b64 exec, exec, s[0:1]
	s_mov_b64 s[0:1], 0
.LBB14_96:
	s_and_b64 vcc, exec, s[0:1]
	s_cbranch_vccz .LBB14_131
; %bb.97:
	s_add_u32 s0, s36, s30
	s_addc_u32 s1, s37, 0
	v_mbcnt_hi_u32_b32 v10, -1, v19
	v_and_b32_e32 v7, 0x1c0, v0
	v_mov_b32_e32 v3, s1
	v_add_co_u32_e32 v4, vcc, s0, v10
	v_mul_u32_u24_e32 v9, 6, v7
	v_addc_co_u32_e32 v3, vcc, 0, v3, vcc
	v_add_co_u32_e32 v4, vcc, v4, v9
	v_addc_co_u32_e32 v5, vcc, 0, v3, vcc
	global_load_ubyte v8, v[4:5], off
	s_load_dword s0, s[4:5], 0x5c
	s_load_dword s7, s[4:5], 0x50
	s_add_u32 s1, s4, 0x50
	s_addc_u32 s2, s5, 0
	v_mov_b32_e32 v3, 0
	s_waitcnt lgkmcnt(0)
	s_lshr_b32 s3, s0, 16
	s_cmp_lt_u32 s6, s7
	s_cselect_b32 s0, 12, 18
	s_add_u32 s0, s1, s0
	s_addc_u32 s1, s2, 0
	global_load_ushort v12, v3, s[0:1]
	v_mul_u32_u24_e32 v6, 20, v0
	ds_write2_b32 v6, v3, v3 offset0:8 offset1:9
	ds_write2_b32 v6, v3, v3 offset0:10 offset1:11
	ds_write_b32 v6, v3 offset:48
	global_load_ubyte v11, v[4:5], off offset:64
	global_load_ubyte v15, v[4:5], off offset:128
	;; [unrolled: 1-line block ×5, first 2 shown]
	s_lshl_b32 s0, -1, s49
	v_mad_u32_u24 v1, v2, s3, v1
	s_not_b32 s12, s0
	s_mov_b32 s31, 0
	s_waitcnt vmcnt(0) lgkmcnt(0)
	s_barrier
	; wave barrier
	v_xor_b32_e32 v5, 0xff, v8
	v_lshrrev_b32_e32 v2, s48, v5
	v_and_b32_e32 v8, s12, v2
	v_and_b32_e32 v2, 1, v8
	v_add_co_u32_e32 v14, vcc, -1, v2
	v_lshlrev_b32_e32 v4, 30, v8
	v_addc_co_u32_e64 v16, s[0:1], 0, -1, vcc
	v_cmp_ne_u32_e32 vcc, 0, v2
	v_cmp_gt_i64_e64 s[0:1], 0, v[3:4]
	v_not_b32_e32 v18, v4
	v_lshlrev_b32_e32 v4, 29, v8
	v_mad_u64_u32 v[1:2], s[2:3], v1, v12, v[0:1]
	v_xor_b32_e32 v2, vcc_hi, v16
	v_xor_b32_e32 v12, vcc_lo, v14
	v_ashrrev_i32_e32 v14, 31, v18
	v_cmp_gt_i64_e32 vcc, 0, v[3:4]
	v_not_b32_e32 v16, v4
	v_lshlrev_b32_e32 v4, 28, v8
	v_and_b32_e32 v2, exec_hi, v2
	v_and_b32_e32 v12, exec_lo, v12
	v_xor_b32_e32 v18, s1, v14
	v_xor_b32_e32 v14, s0, v14
	v_ashrrev_i32_e32 v16, 31, v16
	v_cmp_gt_i64_e64 s[0:1], 0, v[3:4]
	v_not_b32_e32 v19, v4
	v_lshlrev_b32_e32 v4, 27, v8
	v_and_b32_e32 v2, v2, v18
	v_and_b32_e32 v12, v12, v14
	v_xor_b32_e32 v14, vcc_hi, v16
	v_xor_b32_e32 v16, vcc_lo, v16
	v_ashrrev_i32_e32 v18, 31, v19
	v_cmp_gt_i64_e32 vcc, 0, v[3:4]
	v_not_b32_e32 v19, v4
	v_lshlrev_b32_e32 v4, 26, v8
	v_and_b32_e32 v2, v2, v14
	v_and_b32_e32 v12, v12, v16
	v_xor_b32_e32 v14, s1, v18
	v_xor_b32_e32 v16, s0, v18
	v_ashrrev_i32_e32 v18, 31, v19
	v_cmp_gt_i64_e64 s[0:1], 0, v[3:4]
	v_not_b32_e32 v4, v4
	v_lshrrev_b32_e32 v1, 4, v1
	v_and_b32_e32 v2, v2, v14
	v_and_b32_e32 v12, v12, v16
	v_xor_b32_e32 v14, vcc_hi, v18
	v_xor_b32_e32 v16, vcc_lo, v18
	v_ashrrev_i32_e32 v4, 31, v4
	v_and_b32_e32 v18, 0xffffffc, v1
	v_and_b32_e32 v1, v2, v14
	;; [unrolled: 1-line block ×3, first 2 shown]
	v_xor_b32_e32 v12, s1, v4
	v_xor_b32_e32 v4, s0, v4
	v_and_b32_e32 v2, v2, v4
	v_lshlrev_b32_e32 v4, 25, v8
	v_cmp_gt_i64_e32 vcc, 0, v[3:4]
	v_not_b32_e32 v4, v4
	v_ashrrev_i32_e32 v4, 31, v4
	v_and_b32_e32 v1, v1, v12
	v_xor_b32_e32 v12, vcc_hi, v4
	v_xor_b32_e32 v4, vcc_lo, v4
	v_and_b32_e32 v1, v1, v12
	v_and_b32_e32 v12, v2, v4
	v_lshlrev_b32_e32 v4, 24, v8
	v_cmp_gt_i64_e32 vcc, 0, v[3:4]
	v_not_b32_e32 v2, v4
	v_ashrrev_i32_e32 v2, 31, v2
	v_mul_u32_u24_e32 v13, 36, v8
	v_xor_b32_e32 v4, vcc_hi, v2
	v_xor_b32_e32 v8, vcc_lo, v2
	v_and_b32_e32 v2, v1, v4
	v_and_b32_e32 v1, v12, v8
	v_mbcnt_lo_u32_b32 v4, v1, 0
	v_mbcnt_hi_u32_b32 v8, v2, v4
	v_cmp_ne_u64_e32 vcc, 0, v[1:2]
	v_cmp_eq_u32_e64 s[0:1], 0, v8
	s_and_b64 s[2:3], vcc, s[0:1]
	v_add_u32_e32 v13, v18, v13
	s_and_saveexec_b64 s[0:1], s[2:3]
; %bb.98:
	v_bcnt_u32_b32 v1, v1, 0
	v_bcnt_u32_b32 v1, v2, v1
	ds_write_b32 v13, v1 offset:32
; %bb.99:
	s_or_b64 exec, exec, s[0:1]
	v_xor_b32_e32 v11, -1, v11
	v_lshrrev_b32_sdwa v1, s48, v11 dst_sel:DWORD dst_unused:UNUSED_PAD src0_sel:DWORD src1_sel:BYTE_0
	v_and_b32_e32 v1, s12, v1
	v_mad_u32_u24 v2, v1, 36, v18
	; wave barrier
	ds_read_b32 v12, v2 offset:32
	v_and_b32_e32 v2, 1, v1
	v_add_co_u32_e32 v4, vcc, -1, v2
	v_addc_co_u32_e64 v14, s[0:1], 0, -1, vcc
	v_cmp_ne_u32_e32 vcc, 0, v2
	v_xor_b32_e32 v4, vcc_lo, v4
	v_xor_b32_e32 v2, vcc_hi, v14
	v_and_b32_e32 v14, exec_lo, v4
	v_lshlrev_b32_e32 v4, 30, v1
	v_cmp_gt_i64_e32 vcc, 0, v[3:4]
	v_not_b32_e32 v4, v4
	v_ashrrev_i32_e32 v4, 31, v4
	v_xor_b32_e32 v19, vcc_hi, v4
	v_xor_b32_e32 v4, vcc_lo, v4
	v_and_b32_e32 v14, v14, v4
	v_lshlrev_b32_e32 v4, 29, v1
	v_cmp_gt_i64_e32 vcc, 0, v[3:4]
	v_not_b32_e32 v4, v4
	v_and_b32_e32 v2, exec_hi, v2
	v_ashrrev_i32_e32 v4, 31, v4
	v_and_b32_e32 v2, v2, v19
	v_xor_b32_e32 v19, vcc_hi, v4
	v_xor_b32_e32 v4, vcc_lo, v4
	v_and_b32_e32 v14, v14, v4
	v_lshlrev_b32_e32 v4, 28, v1
	v_cmp_gt_i64_e32 vcc, 0, v[3:4]
	v_not_b32_e32 v4, v4
	v_ashrrev_i32_e32 v4, 31, v4
	v_and_b32_e32 v2, v2, v19
	v_xor_b32_e32 v19, vcc_hi, v4
	v_xor_b32_e32 v4, vcc_lo, v4
	v_and_b32_e32 v14, v14, v4
	v_lshlrev_b32_e32 v4, 27, v1
	v_cmp_gt_i64_e32 vcc, 0, v[3:4]
	v_not_b32_e32 v4, v4
	;; [unrolled: 8-line block ×4, first 2 shown]
	v_ashrrev_i32_e32 v4, 31, v4
	v_and_b32_e32 v2, v2, v19
	v_xor_b32_e32 v19, vcc_hi, v4
	v_xor_b32_e32 v4, vcc_lo, v4
	v_and_b32_e32 v14, v14, v4
	v_lshlrev_b32_e32 v4, 24, v1
	v_mul_u32_u24_e32 v16, 36, v1
	v_cmp_gt_i64_e32 vcc, 0, v[3:4]
	v_not_b32_e32 v1, v4
	v_ashrrev_i32_e32 v1, 31, v1
	v_xor_b32_e32 v3, vcc_hi, v1
	v_xor_b32_e32 v1, vcc_lo, v1
	v_and_b32_e32 v2, v2, v19
	v_and_b32_e32 v1, v14, v1
	;; [unrolled: 1-line block ×3, first 2 shown]
	v_mbcnt_lo_u32_b32 v3, v1, 0
	v_mbcnt_hi_u32_b32 v14, v2, v3
	v_cmp_ne_u64_e32 vcc, 0, v[1:2]
	v_cmp_eq_u32_e64 s[0:1], 0, v14
	s_and_b64 s[2:3], vcc, s[0:1]
	v_add_u32_e32 v19, v18, v16
	; wave barrier
	s_and_saveexec_b64 s[0:1], s[2:3]
	s_cbranch_execz .LBB14_101
; %bb.100:
	v_bcnt_u32_b32 v1, v1, 0
	v_bcnt_u32_b32 v1, v2, v1
	s_waitcnt lgkmcnt(0)
	v_add_u32_e32 v1, v12, v1
	ds_write_b32 v19, v1 offset:32
.LBB14_101:
	s_or_b64 exec, exec, s[0:1]
	v_xor_b32_e32 v15, -1, v15
	v_lshrrev_b32_sdwa v1, s48, v15 dst_sel:DWORD dst_unused:UNUSED_PAD src0_sel:DWORD src1_sel:BYTE_0
	v_and_b32_e32 v3, s12, v1
	v_and_b32_e32 v2, 1, v3
	v_add_co_u32_e32 v20, vcc, -1, v2
	v_addc_co_u32_e64 v22, s[0:1], 0, -1, vcc
	v_cmp_ne_u32_e32 vcc, 0, v2
	v_mad_u32_u24 v1, v3, 36, v18
	v_xor_b32_e32 v2, vcc_hi, v22
	; wave barrier
	ds_read_b32 v16, v1 offset:32
	v_mov_b32_e32 v1, 0
	v_and_b32_e32 v22, exec_hi, v2
	v_lshlrev_b32_e32 v2, 30, v3
	v_xor_b32_e32 v20, vcc_lo, v20
	v_cmp_gt_i64_e32 vcc, 0, v[1:2]
	v_not_b32_e32 v2, v2
	v_ashrrev_i32_e32 v2, 31, v2
	v_and_b32_e32 v20, exec_lo, v20
	v_xor_b32_e32 v24, vcc_hi, v2
	v_xor_b32_e32 v2, vcc_lo, v2
	v_and_b32_e32 v20, v20, v2
	v_lshlrev_b32_e32 v2, 29, v3
	v_cmp_gt_i64_e32 vcc, 0, v[1:2]
	v_not_b32_e32 v2, v2
	v_ashrrev_i32_e32 v2, 31, v2
	v_and_b32_e32 v22, v22, v24
	v_xor_b32_e32 v24, vcc_hi, v2
	v_xor_b32_e32 v2, vcc_lo, v2
	v_and_b32_e32 v20, v20, v2
	v_lshlrev_b32_e32 v2, 28, v3
	v_cmp_gt_i64_e32 vcc, 0, v[1:2]
	v_not_b32_e32 v2, v2
	v_ashrrev_i32_e32 v2, 31, v2
	v_and_b32_e32 v22, v22, v24
	;; [unrolled: 8-line block ×5, first 2 shown]
	v_xor_b32_e32 v24, vcc_hi, v2
	v_xor_b32_e32 v2, vcc_lo, v2
	v_and_b32_e32 v20, v20, v2
	v_lshlrev_b32_e32 v2, 24, v3
	v_cmp_gt_i64_e32 vcc, 0, v[1:2]
	v_not_b32_e32 v2, v2
	v_ashrrev_i32_e32 v2, 31, v2
	v_mul_u32_u24_e32 v4, 36, v3
	v_xor_b32_e32 v3, vcc_hi, v2
	v_xor_b32_e32 v2, vcc_lo, v2
	v_and_b32_e32 v22, v22, v24
	v_and_b32_e32 v2, v20, v2
	;; [unrolled: 1-line block ×3, first 2 shown]
	v_mbcnt_lo_u32_b32 v20, v2, 0
	v_mbcnt_hi_u32_b32 v20, v3, v20
	v_cmp_ne_u64_e32 vcc, 0, v[2:3]
	v_cmp_eq_u32_e64 s[0:1], 0, v20
	s_and_b64 s[2:3], vcc, s[0:1]
	v_add_u32_e32 v24, v18, v4
	; wave barrier
	s_and_saveexec_b64 s[0:1], s[2:3]
	s_cbranch_execz .LBB14_103
; %bb.102:
	v_bcnt_u32_b32 v2, v2, 0
	v_bcnt_u32_b32 v2, v3, v2
	s_waitcnt lgkmcnt(0)
	v_add_u32_e32 v2, v16, v2
	ds_write_b32 v24, v2 offset:32
.LBB14_103:
	s_or_b64 exec, exec, s[0:1]
	v_xor_b32_e32 v21, -1, v21
	v_lshrrev_b32_sdwa v2, s48, v21 dst_sel:DWORD dst_unused:UNUSED_PAD src0_sel:DWORD src1_sel:BYTE_0
	v_and_b32_e32 v3, s12, v2
	v_mad_u32_u24 v2, v3, 36, v18
	; wave barrier
	ds_read_b32 v22, v2 offset:32
	v_and_b32_e32 v2, 1, v3
	v_add_co_u32_e32 v25, vcc, -1, v2
	v_addc_co_u32_e64 v26, s[0:1], 0, -1, vcc
	v_cmp_ne_u32_e32 vcc, 0, v2
	v_xor_b32_e32 v2, vcc_hi, v26
	v_and_b32_e32 v26, exec_hi, v2
	v_lshlrev_b32_e32 v2, 30, v3
	v_xor_b32_e32 v25, vcc_lo, v25
	v_cmp_gt_i64_e32 vcc, 0, v[1:2]
	v_not_b32_e32 v2, v2
	v_ashrrev_i32_e32 v2, 31, v2
	v_and_b32_e32 v25, exec_lo, v25
	v_xor_b32_e32 v27, vcc_hi, v2
	v_xor_b32_e32 v2, vcc_lo, v2
	v_and_b32_e32 v25, v25, v2
	v_lshlrev_b32_e32 v2, 29, v3
	v_cmp_gt_i64_e32 vcc, 0, v[1:2]
	v_not_b32_e32 v2, v2
	v_ashrrev_i32_e32 v2, 31, v2
	v_and_b32_e32 v26, v26, v27
	v_xor_b32_e32 v27, vcc_hi, v2
	v_xor_b32_e32 v2, vcc_lo, v2
	v_and_b32_e32 v25, v25, v2
	v_lshlrev_b32_e32 v2, 28, v3
	v_cmp_gt_i64_e32 vcc, 0, v[1:2]
	v_not_b32_e32 v2, v2
	v_ashrrev_i32_e32 v2, 31, v2
	v_and_b32_e32 v26, v26, v27
	;; [unrolled: 8-line block ×5, first 2 shown]
	v_xor_b32_e32 v27, vcc_hi, v2
	v_xor_b32_e32 v2, vcc_lo, v2
	v_and_b32_e32 v25, v25, v2
	v_lshlrev_b32_e32 v2, 24, v3
	v_cmp_gt_i64_e32 vcc, 0, v[1:2]
	v_not_b32_e32 v1, v2
	v_ashrrev_i32_e32 v1, 31, v1
	v_xor_b32_e32 v2, vcc_hi, v1
	v_xor_b32_e32 v1, vcc_lo, v1
	v_and_b32_e32 v26, v26, v27
	v_and_b32_e32 v1, v25, v1
	v_mul_u32_u24_e32 v4, 36, v3
	v_and_b32_e32 v2, v26, v2
	v_mbcnt_lo_u32_b32 v3, v1, 0
	v_mbcnt_hi_u32_b32 v25, v2, v3
	v_cmp_ne_u64_e32 vcc, 0, v[1:2]
	v_cmp_eq_u32_e64 s[0:1], 0, v25
	s_and_b64 s[2:3], vcc, s[0:1]
	v_add_u32_e32 v27, v18, v4
	; wave barrier
	s_and_saveexec_b64 s[0:1], s[2:3]
	s_cbranch_execz .LBB14_105
; %bb.104:
	v_bcnt_u32_b32 v1, v1, 0
	v_bcnt_u32_b32 v1, v2, v1
	s_waitcnt lgkmcnt(0)
	v_add_u32_e32 v1, v22, v1
	ds_write_b32 v27, v1 offset:32
.LBB14_105:
	s_or_b64 exec, exec, s[0:1]
	v_xor_b32_e32 v23, -1, v23
	v_lshrrev_b32_sdwa v1, s48, v23 dst_sel:DWORD dst_unused:UNUSED_PAD src0_sel:DWORD src1_sel:BYTE_0
	v_and_b32_e32 v3, s12, v1
	v_and_b32_e32 v2, 1, v3
	v_add_co_u32_e32 v28, vcc, -1, v2
	v_addc_co_u32_e64 v29, s[0:1], 0, -1, vcc
	v_cmp_ne_u32_e32 vcc, 0, v2
	v_mad_u32_u24 v1, v3, 36, v18
	v_xor_b32_e32 v2, vcc_hi, v29
	; wave barrier
	ds_read_b32 v26, v1 offset:32
	v_mov_b32_e32 v1, 0
	v_and_b32_e32 v29, exec_hi, v2
	v_lshlrev_b32_e32 v2, 30, v3
	v_xor_b32_e32 v28, vcc_lo, v28
	v_cmp_gt_i64_e32 vcc, 0, v[1:2]
	v_not_b32_e32 v2, v2
	v_ashrrev_i32_e32 v2, 31, v2
	v_and_b32_e32 v28, exec_lo, v28
	v_xor_b32_e32 v30, vcc_hi, v2
	v_xor_b32_e32 v2, vcc_lo, v2
	v_and_b32_e32 v28, v28, v2
	v_lshlrev_b32_e32 v2, 29, v3
	v_cmp_gt_i64_e32 vcc, 0, v[1:2]
	v_not_b32_e32 v2, v2
	v_ashrrev_i32_e32 v2, 31, v2
	v_and_b32_e32 v29, v29, v30
	v_xor_b32_e32 v30, vcc_hi, v2
	v_xor_b32_e32 v2, vcc_lo, v2
	v_and_b32_e32 v28, v28, v2
	v_lshlrev_b32_e32 v2, 28, v3
	v_cmp_gt_i64_e32 vcc, 0, v[1:2]
	v_not_b32_e32 v2, v2
	v_ashrrev_i32_e32 v2, 31, v2
	v_and_b32_e32 v29, v29, v30
	;; [unrolled: 8-line block ×5, first 2 shown]
	v_xor_b32_e32 v30, vcc_hi, v2
	v_xor_b32_e32 v2, vcc_lo, v2
	v_and_b32_e32 v28, v28, v2
	v_lshlrev_b32_e32 v2, 24, v3
	v_cmp_gt_i64_e32 vcc, 0, v[1:2]
	v_not_b32_e32 v2, v2
	v_ashrrev_i32_e32 v2, 31, v2
	v_mul_u32_u24_e32 v4, 36, v3
	v_xor_b32_e32 v3, vcc_hi, v2
	v_xor_b32_e32 v2, vcc_lo, v2
	v_and_b32_e32 v29, v29, v30
	v_and_b32_e32 v2, v28, v2
	;; [unrolled: 1-line block ×3, first 2 shown]
	v_mbcnt_lo_u32_b32 v28, v2, 0
	v_mbcnt_hi_u32_b32 v28, v3, v28
	v_cmp_ne_u64_e32 vcc, 0, v[2:3]
	v_cmp_eq_u32_e64 s[0:1], 0, v28
	s_and_b64 s[2:3], vcc, s[0:1]
	v_add_u32_e32 v31, v18, v4
	; wave barrier
	s_and_saveexec_b64 s[0:1], s[2:3]
	s_cbranch_execz .LBB14_107
; %bb.106:
	v_bcnt_u32_b32 v2, v2, 0
	v_bcnt_u32_b32 v2, v3, v2
	s_waitcnt lgkmcnt(0)
	v_add_u32_e32 v2, v26, v2
	ds_write_b32 v31, v2 offset:32
.LBB14_107:
	s_or_b64 exec, exec, s[0:1]
	v_xor_b32_e32 v29, -1, v17
	v_lshrrev_b32_sdwa v2, s48, v29 dst_sel:DWORD dst_unused:UNUSED_PAD src0_sel:DWORD src1_sel:BYTE_0
	v_and_b32_e32 v3, s12, v2
	v_mad_u32_u24 v2, v3, 36, v18
	; wave barrier
	ds_read_b32 v30, v2 offset:32
	v_and_b32_e32 v2, 1, v3
	v_add_co_u32_e32 v17, vcc, -1, v2
	v_addc_co_u32_e64 v32, s[0:1], 0, -1, vcc
	v_cmp_ne_u32_e32 vcc, 0, v2
	v_xor_b32_e32 v2, vcc_hi, v32
	v_and_b32_e32 v32, exec_hi, v2
	v_lshlrev_b32_e32 v2, 30, v3
	v_xor_b32_e32 v17, vcc_lo, v17
	v_cmp_gt_i64_e32 vcc, 0, v[1:2]
	v_not_b32_e32 v2, v2
	v_ashrrev_i32_e32 v2, 31, v2
	v_and_b32_e32 v17, exec_lo, v17
	v_xor_b32_e32 v33, vcc_hi, v2
	v_xor_b32_e32 v2, vcc_lo, v2
	v_and_b32_e32 v17, v17, v2
	v_lshlrev_b32_e32 v2, 29, v3
	v_cmp_gt_i64_e32 vcc, 0, v[1:2]
	v_not_b32_e32 v2, v2
	v_ashrrev_i32_e32 v2, 31, v2
	v_and_b32_e32 v32, v32, v33
	v_xor_b32_e32 v33, vcc_hi, v2
	v_xor_b32_e32 v2, vcc_lo, v2
	v_and_b32_e32 v17, v17, v2
	v_lshlrev_b32_e32 v2, 28, v3
	v_cmp_gt_i64_e32 vcc, 0, v[1:2]
	v_not_b32_e32 v2, v2
	v_ashrrev_i32_e32 v2, 31, v2
	v_and_b32_e32 v32, v32, v33
	;; [unrolled: 8-line block ×5, first 2 shown]
	v_xor_b32_e32 v33, vcc_hi, v2
	v_xor_b32_e32 v2, vcc_lo, v2
	v_and_b32_e32 v17, v17, v2
	v_lshlrev_b32_e32 v2, 24, v3
	v_cmp_gt_i64_e32 vcc, 0, v[1:2]
	v_not_b32_e32 v1, v2
	v_ashrrev_i32_e32 v1, 31, v1
	v_xor_b32_e32 v2, vcc_hi, v1
	v_xor_b32_e32 v1, vcc_lo, v1
	v_and_b32_e32 v32, v32, v33
	v_and_b32_e32 v1, v17, v1
	v_mul_u32_u24_e32 v4, 36, v3
	v_and_b32_e32 v2, v32, v2
	v_mbcnt_lo_u32_b32 v3, v1, 0
	v_mbcnt_hi_u32_b32 v32, v2, v3
	v_cmp_ne_u64_e32 vcc, 0, v[1:2]
	v_cmp_eq_u32_e64 s[0:1], 0, v32
	s_and_b64 s[2:3], vcc, s[0:1]
	v_add_u32_e32 v17, v18, v4
	; wave barrier
	s_and_saveexec_b64 s[0:1], s[2:3]
	s_cbranch_execz .LBB14_109
; %bb.108:
	v_bcnt_u32_b32 v1, v1, 0
	v_bcnt_u32_b32 v1, v2, v1
	s_waitcnt lgkmcnt(0)
	v_add_u32_e32 v1, v30, v1
	ds_write_b32 v17, v1 offset:32
.LBB14_109:
	s_or_b64 exec, exec, s[0:1]
	; wave barrier
	s_waitcnt lgkmcnt(0)
	s_barrier
	ds_read2_b32 v[3:4], v6 offset0:8 offset1:9
	ds_read2_b32 v[1:2], v6 offset0:10 offset1:11
	ds_read_b32 v18, v6 offset:48
	v_min_u32_e32 v7, 0x1c0, v7
	v_or_b32_e32 v7, 63, v7
	s_waitcnt lgkmcnt(1)
	v_add3_u32 v33, v4, v3, v1
	s_waitcnt lgkmcnt(0)
	v_add3_u32 v18, v33, v2, v18
	v_and_b32_e32 v33, 15, v10
	v_cmp_ne_u32_e32 vcc, 0, v33
	v_mov_b32_dpp v34, v18 row_shr:1 row_mask:0xf bank_mask:0xf
	v_cndmask_b32_e32 v34, 0, v34, vcc
	v_add_u32_e32 v18, v34, v18
	v_cmp_lt_u32_e32 vcc, 1, v33
	s_nop 0
	v_mov_b32_dpp v34, v18 row_shr:2 row_mask:0xf bank_mask:0xf
	v_cndmask_b32_e32 v34, 0, v34, vcc
	v_add_u32_e32 v18, v18, v34
	v_cmp_lt_u32_e32 vcc, 3, v33
	s_nop 0
	;; [unrolled: 5-line block ×3, first 2 shown]
	v_mov_b32_dpp v34, v18 row_shr:8 row_mask:0xf bank_mask:0xf
	v_cndmask_b32_e32 v33, 0, v34, vcc
	v_add_u32_e32 v18, v18, v33
	v_bfe_i32 v34, v10, 4, 1
	v_cmp_lt_u32_e32 vcc, 31, v10
	v_mov_b32_dpp v33, v18 row_bcast:15 row_mask:0xf bank_mask:0xf
	v_and_b32_e32 v33, v34, v33
	v_add_u32_e32 v18, v18, v33
	s_nop 1
	v_mov_b32_dpp v33, v18 row_bcast:31 row_mask:0xf bank_mask:0xf
	v_cndmask_b32_e32 v33, 0, v33, vcc
	v_add_u32_e32 v18, v18, v33
	v_lshrrev_b32_e32 v33, 6, v0
	v_cmp_eq_u32_e32 vcc, v0, v7
	s_and_saveexec_b64 s[0:1], vcc
; %bb.110:
	v_lshlrev_b32_e32 v7, 2, v33
	ds_write_b32 v7, v18
; %bb.111:
	s_or_b64 exec, exec, s[0:1]
	v_cmp_gt_u32_e32 vcc, 8, v0
	s_waitcnt lgkmcnt(0)
	s_barrier
	s_and_saveexec_b64 s[0:1], vcc
	s_cbranch_execz .LBB14_113
; %bb.112:
	v_lshlrev_b32_e32 v7, 2, v0
	ds_read_b32 v34, v7
	v_and_b32_e32 v35, 7, v10
	v_cmp_ne_u32_e32 vcc, 0, v35
	s_waitcnt lgkmcnt(0)
	v_mov_b32_dpp v36, v34 row_shr:1 row_mask:0xf bank_mask:0xf
	v_cndmask_b32_e32 v36, 0, v36, vcc
	v_add_u32_e32 v34, v36, v34
	v_cmp_lt_u32_e32 vcc, 1, v35
	s_nop 0
	v_mov_b32_dpp v36, v34 row_shr:2 row_mask:0xf bank_mask:0xf
	v_cndmask_b32_e32 v36, 0, v36, vcc
	v_add_u32_e32 v34, v34, v36
	v_cmp_lt_u32_e32 vcc, 3, v35
	s_nop 0
	v_mov_b32_dpp v36, v34 row_shr:4 row_mask:0xf bank_mask:0xf
	v_cndmask_b32_e32 v35, 0, v36, vcc
	v_add_u32_e32 v34, v34, v35
	ds_write_b32 v7, v34
.LBB14_113:
	s_or_b64 exec, exec, s[0:1]
	v_cmp_lt_u32_e32 vcc, 63, v0
	v_mov_b32_e32 v7, 0
	s_waitcnt lgkmcnt(0)
	s_barrier
	s_and_saveexec_b64 s[0:1], vcc
; %bb.114:
	v_lshl_add_u32 v7, v33, 2, -4
	ds_read_b32 v7, v7
; %bb.115:
	s_or_b64 exec, exec, s[0:1]
	v_add_u32_e32 v33, -1, v10
	v_and_b32_e32 v34, 64, v10
	v_cmp_lt_i32_e32 vcc, v33, v34
	v_cndmask_b32_e32 v33, v33, v10, vcc
	s_waitcnt lgkmcnt(0)
	v_add_u32_e32 v18, v7, v18
	v_lshlrev_b32_e32 v33, 2, v33
	ds_bpermute_b32 v18, v33, v18
	v_cmp_eq_u32_e32 vcc, 0, v10
	s_movk_i32 s0, 0xff
	s_movk_i32 s2, 0x100
	s_waitcnt lgkmcnt(0)
	v_cndmask_b32_e32 v7, v18, v7, vcc
	v_cmp_ne_u32_e32 vcc, 0, v0
	v_cndmask_b32_e32 v7, 0, v7, vcc
	v_add_u32_e32 v3, v7, v3
	v_add_u32_e32 v4, v3, v4
	;; [unrolled: 1-line block ×4, first 2 shown]
	ds_write2_b32 v6, v7, v3 offset0:8 offset1:9
	ds_write2_b32 v6, v4, v1 offset0:10 offset1:11
	ds_write_b32 v6, v2 offset:48
	s_waitcnt lgkmcnt(0)
	s_barrier
	ds_read_b32 v3, v13 offset:32
	ds_read_b32 v4, v19 offset:32
	ds_read_b32 v6, v24 offset:32
	ds_read_b32 v7, v27 offset:32
	ds_read_b32 v24, v31 offset:32
	ds_read_b32 v27, v17 offset:32
	v_mov_b32_e32 v1, 0
	v_cmp_lt_u32_e32 vcc, s0, v0
	v_mov_b32_e32 v2, 0
	v_cmp_gt_u32_e64 s[0:1], s2, v0
                                        ; implicit-def: $vgpr13
	s_and_saveexec_b64 s[4:5], s[0:1]
	s_cbranch_execz .LBB14_119
; %bb.116:
	v_mul_u32_u24_e32 v1, 36, v0
	ds_read_b32 v1, v1 offset:32
	v_add_u32_e32 v13, 1, v0
	v_cmp_ne_u32_e64 s[2:3], s2, v13
	v_mov_b32_e32 v2, 0xc00
	s_and_saveexec_b64 s[8:9], s[2:3]
; %bb.117:
	v_mul_u32_u24_e32 v2, 36, v13
	ds_read_b32 v2, v2 offset:32
; %bb.118:
	s_or_b64 exec, exec, s[8:9]
	s_waitcnt lgkmcnt(0)
	v_sub_u32_e32 v13, v2, v1
	v_mov_b32_e32 v2, 0
.LBB14_119:
	s_or_b64 exec, exec, s[4:5]
	s_waitcnt lgkmcnt(5)
	v_add_u32_e32 v19, v3, v8
	s_waitcnt lgkmcnt(4)
	v_add3_u32 v18, v14, v12, v4
	s_waitcnt lgkmcnt(3)
	v_add3_u32 v17, v20, v16, v6
	s_waitcnt lgkmcnt(2)
	v_add3_u32 v16, v25, v22, v7
	s_waitcnt lgkmcnt(1)
	v_add3_u32 v14, v28, v26, v24
	s_waitcnt lgkmcnt(0)
	v_add3_u32 v12, v32, v30, v27
	s_barrier
	ds_write_b8 v19, v5 offset:2048
	ds_write_b8 v18, v11 offset:2048
	;; [unrolled: 1-line block ×6, first 2 shown]
	v_mov_b32_e32 v4, 0
	v_lshlrev_b32_e32 v11, 3, v0
	s_waitcnt lgkmcnt(0)
	s_barrier
	s_and_saveexec_b64 s[2:3], s[0:1]
	s_cbranch_execz .LBB14_129
; %bb.120:
	v_lshl_add_u32 v3, s6, 8, v0
	v_lshlrev_b64 v[5:6], 2, v[3:4]
	v_mov_b32_e32 v15, s35
	v_add_co_u32_e64 v5, s[0:1], s34, v5
	v_addc_co_u32_e64 v6, s[0:1], v15, v6, s[0:1]
	v_or_b32_e32 v3, 2.0, v13
	s_mov_b64 s[4:5], 0
	s_brev_b32 s13, -4
	s_mov_b32 s14, s6
	v_mov_b32_e32 v20, 0
	global_store_dword v[5:6], v3, off
                                        ; implicit-def: $sgpr0_sgpr1
	s_branch .LBB14_123
.LBB14_121:                             ;   in Loop: Header=BB14_123 Depth=1
	s_or_b64 exec, exec, s[10:11]
.LBB14_122:                             ;   in Loop: Header=BB14_123 Depth=1
	s_or_b64 exec, exec, s[8:9]
	v_and_b32_e32 v7, 0x3fffffff, v3
	v_add_u32_e32 v20, v7, v20
	v_cmp_gt_i32_e64 s[0:1], -2.0, v3
	s_and_b64 s[8:9], exec, s[0:1]
	s_or_b64 s[4:5], s[8:9], s[4:5]
	s_andn2_b64 exec, exec, s[4:5]
	s_cbranch_execz .LBB14_128
.LBB14_123:                             ; =>This Loop Header: Depth=1
                                        ;     Child Loop BB14_126 Depth 2
	s_or_b64 s[0:1], s[0:1], exec
	s_cmp_eq_u32 s14, 0
	s_cbranch_scc1 .LBB14_127
; %bb.124:                              ;   in Loop: Header=BB14_123 Depth=1
	s_add_i32 s14, s14, -1
	v_lshl_or_b32 v3, s14, 8, v0
	v_lshlrev_b64 v[7:8], 2, v[3:4]
	v_add_co_u32_e64 v7, s[0:1], s34, v7
	v_addc_co_u32_e64 v8, s[0:1], v15, v8, s[0:1]
	global_load_dword v3, v[7:8], off glc
	s_waitcnt vmcnt(0)
	v_cmp_gt_u32_e64 s[0:1], 2.0, v3
	s_and_saveexec_b64 s[8:9], s[0:1]
	s_cbranch_execz .LBB14_122
; %bb.125:                              ;   in Loop: Header=BB14_123 Depth=1
	s_mov_b64 s[10:11], 0
.LBB14_126:                             ;   Parent Loop BB14_123 Depth=1
                                        ; =>  This Inner Loop Header: Depth=2
	global_load_dword v3, v[7:8], off glc
	s_waitcnt vmcnt(0)
	v_cmp_lt_u32_e64 s[0:1], s13, v3
	s_or_b64 s[10:11], s[0:1], s[10:11]
	s_andn2_b64 exec, exec, s[10:11]
	s_cbranch_execnz .LBB14_126
	s_branch .LBB14_121
.LBB14_127:                             ;   in Loop: Header=BB14_123 Depth=1
                                        ; implicit-def: $sgpr14
	s_and_b64 s[8:9], exec, s[0:1]
	s_or_b64 s[4:5], s[8:9], s[4:5]
	s_andn2_b64 exec, exec, s[4:5]
	s_cbranch_execnz .LBB14_123
.LBB14_128:
	s_or_b64 exec, exec, s[4:5]
	v_add_u32_e32 v3, v20, v13
	v_or_b32_e32 v3, 0x80000000, v3
	global_store_dword v[5:6], v3, off
	global_load_dwordx2 v[3:4], v11, s[44:45]
	v_sub_co_u32_e64 v5, s[0:1], v20, v1
	v_subb_co_u32_e64 v6, s[0:1], 0, v2, s[0:1]
	s_waitcnt vmcnt(0)
	v_add_co_u32_e64 v3, s[0:1], v5, v3
	v_addc_co_u32_e64 v4, s[0:1], v6, v4, s[0:1]
	ds_write_b64 v11, v[3:4]
.LBB14_129:
	s_or_b64 exec, exec, s[2:3]
	s_waitcnt lgkmcnt(0)
	s_barrier
	ds_read_u8 v15, v0 offset:4096
	ds_read_u8 v26, v0 offset:3072
	;; [unrolled: 1-line block ×5, first 2 shown]
	s_waitcnt lgkmcnt(4)
	v_lshrrev_b32_sdwa v3, s48, v15 dst_sel:DWORD dst_unused:UNUSED_PAD src0_sel:DWORD src1_sel:BYTE_0
	v_and_b32_e32 v3, s12, v3
	v_lshlrev_b32_e32 v29, 3, v3
	s_waitcnt lgkmcnt(1)
	v_lshrrev_b32_sdwa v3, s48, v28 dst_sel:DWORD dst_unused:UNUSED_PAD src0_sel:DWORD src1_sel:BYTE_0
	v_and_b32_e32 v3, s12, v3
	v_lshlrev_b32_e32 v30, 3, v3
	ds_read_u8 v31, v0 offset:2560
	ds_read_b64 v[3:4], v29
	ds_read_b64 v[5:6], v30
	s_waitcnt lgkmcnt(3)
	v_lshrrev_b32_sdwa v8, s48, v7 dst_sel:DWORD dst_unused:UNUSED_PAD src0_sel:DWORD src1_sel:BYTE_0
	v_xor_b32_e32 v32, -1, v7
	s_waitcnt lgkmcnt(2)
	v_lshrrev_b32_sdwa v7, s48, v31 dst_sel:DWORD dst_unused:UNUSED_PAD src0_sel:DWORD src1_sel:BYTE_0
	v_and_b32_e32 v7, s12, v7
	v_lshlrev_b32_e32 v35, 3, v7
	v_lshrrev_b32_sdwa v7, s48, v26 dst_sel:DWORD dst_unused:UNUSED_PAD src0_sel:DWORD src1_sel:BYTE_0
	v_and_b32_e32 v7, s12, v7
	v_and_b32_e32 v8, s12, v8
	v_lshlrev_b32_e32 v36, 3, v7
	v_lshrrev_b32_sdwa v7, s48, v27 dst_sel:DWORD dst_unused:UNUSED_PAD src0_sel:DWORD src1_sel:BYTE_0
	v_lshlrev_b32_e32 v33, 3, v8
	v_and_b32_e32 v7, s12, v7
	v_lshlrev_b32_e32 v37, 3, v7
	ds_read_b64 v[7:8], v33
	ds_read_b64 v[20:21], v35
	;; [unrolled: 1-line block ×4, first 2 shown]
	v_mov_b32_e32 v34, s39
	s_waitcnt lgkmcnt(3)
	v_add_co_u32_e64 v7, s[0:1], s38, v7
	v_addc_co_u32_e64 v8, s[0:1], v34, v8, s[0:1]
	v_add_co_u32_e64 v7, s[0:1], v7, v0
	v_addc_co_u32_e64 v8, s[0:1], 0, v8, s[0:1]
	global_store_byte v[7:8], v32, off
	v_mov_b32_e32 v7, s39
	s_waitcnt lgkmcnt(2)
	v_add_co_u32_e64 v8, s[0:1], s38, v20
	v_addc_co_u32_e64 v20, s[0:1], v7, v21, s[0:1]
	v_add_co_u32_e64 v7, s[0:1], v8, v0
	v_xor_b32_e32 v31, -1, v31
	v_addc_co_u32_e64 v8, s[0:1], 0, v20, s[0:1]
	global_store_byte v[7:8], v31, off offset:512
	v_mov_b32_e32 v7, s39
	s_waitcnt lgkmcnt(1)
	v_add_co_u32_e64 v8, s[0:1], s38, v22
	v_addc_co_u32_e64 v21, s[0:1], v7, v23, s[0:1]
	v_add_co_u32_e64 v7, s[0:1], v8, v0
	v_xor_b32_e32 v20, -1, v26
	v_addc_co_u32_e64 v8, s[0:1], 0, v21, s[0:1]
	global_store_byte v[7:8], v20, off offset:1024
	;; [unrolled: 8-line block ×3, first 2 shown]
	v_mov_b32_e32 v8, s39
	v_add_co_u32_e64 v3, s[0:1], s38, v3
	v_addc_co_u32_e64 v4, s[0:1], v8, v4, s[0:1]
	v_add_co_u32_e64 v3, s[0:1], v3, v0
	v_xor_b32_e32 v7, -1, v15
	v_addc_co_u32_e64 v4, s[0:1], 0, v4, s[0:1]
	global_store_byte v[3:4], v7, off offset:2048
	v_mov_b32_e32 v3, s39
	v_add_co_u32_e64 v4, s[0:1], s38, v5
	v_addc_co_u32_e64 v5, s[0:1], v3, v6, s[0:1]
	v_add_co_u32_e64 v3, s[0:1], v4, v0
	v_addc_co_u32_e64 v4, s[0:1], 0, v5, s[0:1]
	s_lshl_b64 s[0:1], s[30:31], 3
	v_xor_b32_e32 v7, -1, v28
	s_add_u32 s0, s40, s0
	global_store_byte v[3:4], v7, off offset:2560
	s_addc_u32 s1, s41, s1
	v_lshlrev_b32_e32 v3, 3, v10
	v_mov_b32_e32 v4, s1
	v_add_co_u32_e64 v3, s[0:1], s0, v3
	v_addc_co_u32_e64 v4, s[0:1], 0, v4, s[0:1]
	v_lshlrev_b32_e32 v5, 3, v9
	v_add_co_u32_e64 v3, s[0:1], v3, v5
	v_addc_co_u32_e64 v4, s[0:1], 0, v4, s[0:1]
	global_load_dwordx2 v[5:6], v[3:4], off
	global_load_dwordx2 v[7:8], v[3:4], off offset:512
	global_load_dwordx2 v[9:10], v[3:4], off offset:1024
	;; [unrolled: 1-line block ×5, first 2 shown]
	v_lshlrev_b32_e32 v3, 3, v19
	s_waitcnt vmcnt(0)
	s_barrier
	v_mad_u32_u24 v0, v0, 7, v0
	s_add_i32 s7, s7, -1
	s_cmp_eq_u32 s6, s7
	ds_write_b64 v3, v[5:6] offset:2048
	v_lshlrev_b32_e32 v3, 3, v18
	ds_write_b64 v3, v[7:8] offset:2048
	v_lshlrev_b32_e32 v3, 3, v17
	;; [unrolled: 2-line block ×5, first 2 shown]
	ds_write_b64 v3, v[24:25] offset:2048
	s_waitcnt lgkmcnt(0)
	s_barrier
	ds_read_b64 v[7:8], v33
	ds_read2st64_b64 v[3:6], v0 offset0:4 offset1:12
	ds_read_b64 v[9:10], v35
	ds_read_b64 v[14:15], v36
	;; [unrolled: 1-line block ×3, first 2 shown]
	s_waitcnt lgkmcnt(4)
	v_lshlrev_b64 v[7:8], 3, v[7:8]
	v_mov_b32_e32 v12, s43
	v_add_co_u32_e64 v7, s[0:1], s42, v7
	v_addc_co_u32_e64 v8, s[0:1], v12, v8, s[0:1]
	v_add_co_u32_e64 v7, s[0:1], v7, v11
	v_addc_co_u32_e64 v8, s[0:1], 0, v8, s[0:1]
	s_waitcnt lgkmcnt(3)
	global_store_dwordx2 v[7:8], v[3:4], off
	s_waitcnt lgkmcnt(2)
	v_lshlrev_b64 v[3:4], 3, v[9:10]
	v_mov_b32_e32 v7, s43
	v_add_co_u32_e64 v3, s[0:1], s42, v3
	v_addc_co_u32_e64 v4, s[0:1], v7, v4, s[0:1]
	v_or_b32_e32 v7, 0x1000, v11
	v_add_co_u32_e64 v3, s[0:1], v3, v7
	v_addc_co_u32_e64 v4, s[0:1], 0, v4, s[0:1]
	s_waitcnt lgkmcnt(1)
	v_lshlrev_b64 v[7:8], 3, v[14:15]
	global_store_dwordx2 v[3:4], v[5:6], off
	ds_read2st64_b64 v[3:6], v0 offset0:20 offset1:28
	v_mov_b32_e32 v9, s43
	v_add_co_u32_e64 v7, s[0:1], s42, v7
	v_addc_co_u32_e64 v8, s[0:1], v9, v8, s[0:1]
	v_or_b32_e32 v9, 0x2000, v11
	v_add_co_u32_e64 v7, s[0:1], v7, v9
	v_addc_co_u32_e64 v8, s[0:1], 0, v8, s[0:1]
	s_waitcnt lgkmcnt(0)
	global_store_dwordx2 v[7:8], v[3:4], off
	v_lshlrev_b64 v[3:4], 3, v[16:17]
	v_mov_b32_e32 v7, s43
	v_add_co_u32_e64 v3, s[0:1], s42, v3
	v_addc_co_u32_e64 v4, s[0:1], v7, v4, s[0:1]
	ds_read_b64 v[7:8], v29
	v_or_b32_e32 v9, 0x3000, v11
	v_add_co_u32_e64 v3, s[0:1], v3, v9
	v_addc_co_u32_e64 v4, s[0:1], 0, v4, s[0:1]
	global_store_dwordx2 v[3:4], v[5:6], off
	s_waitcnt lgkmcnt(0)
	v_lshlrev_b64 v[7:8], 3, v[7:8]
	ds_read2st64_b64 v[3:6], v0 offset0:36 offset1:44
	ds_read_b64 v[9:10], v30
	v_mov_b32_e32 v0, s43
	v_add_co_u32_e64 v7, s[0:1], s42, v7
	v_addc_co_u32_e64 v0, s[0:1], v0, v8, s[0:1]
	v_or_b32_e32 v8, 0x4000, v11
	v_add_co_u32_e64 v7, s[0:1], v7, v8
	v_addc_co_u32_e64 v8, s[0:1], 0, v0, s[0:1]
	s_waitcnt lgkmcnt(1)
	global_store_dwordx2 v[7:8], v[3:4], off
	s_waitcnt lgkmcnt(0)
	v_lshlrev_b64 v[3:4], 3, v[9:10]
	v_mov_b32_e32 v0, s43
	v_add_co_u32_e64 v3, s[0:1], s42, v3
	v_addc_co_u32_e64 v0, s[0:1], v0, v4, s[0:1]
	v_or_b32_e32 v4, 0x5000, v11
	v_add_co_u32_e64 v3, s[0:1], v3, v4
	v_addc_co_u32_e64 v4, s[0:1], 0, v0, s[0:1]
	s_cselect_b64 s[0:1], -1, 0
	s_xor_b64 s[2:3], vcc, -1
	s_and_b64 s[0:1], s[2:3], s[0:1]
	global_store_dwordx2 v[3:4], v[5:6], off
	s_and_saveexec_b64 s[2:3], s[0:1]
	s_cbranch_execz .LBB14_131
; %bb.130:
	ds_read_b64 v[3:4], v11
	v_add_co_u32_e32 v0, vcc, v1, v13
	v_addc_co_u32_e32 v1, vcc, 0, v2, vcc
	s_waitcnt lgkmcnt(0)
	v_add_co_u32_e32 v0, vcc, v0, v3
	v_addc_co_u32_e32 v1, vcc, v1, v4, vcc
	global_store_dwordx2 v11, v[0:1], s[46:47]
.LBB14_131:
	s_endpgm
	.section	.rodata,"a",@progbits
	.p2align	6, 0x0
	.amdhsa_kernel _ZN7rocprim17ROCPRIM_304000_NS6detail25onesweep_iteration_kernelINS1_34wrapped_radix_sort_onesweep_configINS0_14default_configEhN2at4cuda3cub6detail10OpaqueTypeILi8EEEEELb1EPKhPhPKSA_PSA_mNS0_19identity_decomposerEEEvT1_T2_T3_T4_jPT5_SO_PNS1_23onesweep_lookback_stateET6_jjj
		.amdhsa_group_segment_fixed_size 26624
		.amdhsa_private_segment_fixed_size 0
		.amdhsa_kernarg_size 336
		.amdhsa_user_sgpr_count 6
		.amdhsa_user_sgpr_private_segment_buffer 1
		.amdhsa_user_sgpr_dispatch_ptr 0
		.amdhsa_user_sgpr_queue_ptr 0
		.amdhsa_user_sgpr_kernarg_segment_ptr 1
		.amdhsa_user_sgpr_dispatch_id 0
		.amdhsa_user_sgpr_flat_scratch_init 0
		.amdhsa_user_sgpr_private_segment_size 0
		.amdhsa_uses_dynamic_stack 0
		.amdhsa_system_sgpr_private_segment_wavefront_offset 0
		.amdhsa_system_sgpr_workgroup_id_x 1
		.amdhsa_system_sgpr_workgroup_id_y 0
		.amdhsa_system_sgpr_workgroup_id_z 0
		.amdhsa_system_sgpr_workgroup_info 0
		.amdhsa_system_vgpr_workitem_id 2
		.amdhsa_next_free_vgpr 49
		.amdhsa_next_free_sgpr 98
		.amdhsa_reserve_vcc 1
		.amdhsa_reserve_flat_scratch 0
		.amdhsa_float_round_mode_32 0
		.amdhsa_float_round_mode_16_64 0
		.amdhsa_float_denorm_mode_32 3
		.amdhsa_float_denorm_mode_16_64 3
		.amdhsa_dx10_clamp 1
		.amdhsa_ieee_mode 1
		.amdhsa_fp16_overflow 0
		.amdhsa_exception_fp_ieee_invalid_op 0
		.amdhsa_exception_fp_denorm_src 0
		.amdhsa_exception_fp_ieee_div_zero 0
		.amdhsa_exception_fp_ieee_overflow 0
		.amdhsa_exception_fp_ieee_underflow 0
		.amdhsa_exception_fp_ieee_inexact 0
		.amdhsa_exception_int_div_zero 0
	.end_amdhsa_kernel
	.section	.text._ZN7rocprim17ROCPRIM_304000_NS6detail25onesweep_iteration_kernelINS1_34wrapped_radix_sort_onesweep_configINS0_14default_configEhN2at4cuda3cub6detail10OpaqueTypeILi8EEEEELb1EPKhPhPKSA_PSA_mNS0_19identity_decomposerEEEvT1_T2_T3_T4_jPT5_SO_PNS1_23onesweep_lookback_stateET6_jjj,"axG",@progbits,_ZN7rocprim17ROCPRIM_304000_NS6detail25onesweep_iteration_kernelINS1_34wrapped_radix_sort_onesweep_configINS0_14default_configEhN2at4cuda3cub6detail10OpaqueTypeILi8EEEEELb1EPKhPhPKSA_PSA_mNS0_19identity_decomposerEEEvT1_T2_T3_T4_jPT5_SO_PNS1_23onesweep_lookback_stateET6_jjj,comdat
.Lfunc_end14:
	.size	_ZN7rocprim17ROCPRIM_304000_NS6detail25onesweep_iteration_kernelINS1_34wrapped_radix_sort_onesweep_configINS0_14default_configEhN2at4cuda3cub6detail10OpaqueTypeILi8EEEEELb1EPKhPhPKSA_PSA_mNS0_19identity_decomposerEEEvT1_T2_T3_T4_jPT5_SO_PNS1_23onesweep_lookback_stateET6_jjj, .Lfunc_end14-_ZN7rocprim17ROCPRIM_304000_NS6detail25onesweep_iteration_kernelINS1_34wrapped_radix_sort_onesweep_configINS0_14default_configEhN2at4cuda3cub6detail10OpaqueTypeILi8EEEEELb1EPKhPhPKSA_PSA_mNS0_19identity_decomposerEEEvT1_T2_T3_T4_jPT5_SO_PNS1_23onesweep_lookback_stateET6_jjj
                                        ; -- End function
	.set _ZN7rocprim17ROCPRIM_304000_NS6detail25onesweep_iteration_kernelINS1_34wrapped_radix_sort_onesweep_configINS0_14default_configEhN2at4cuda3cub6detail10OpaqueTypeILi8EEEEELb1EPKhPhPKSA_PSA_mNS0_19identity_decomposerEEEvT1_T2_T3_T4_jPT5_SO_PNS1_23onesweep_lookback_stateET6_jjj.num_vgpr, 40
	.set _ZN7rocprim17ROCPRIM_304000_NS6detail25onesweep_iteration_kernelINS1_34wrapped_radix_sort_onesweep_configINS0_14default_configEhN2at4cuda3cub6detail10OpaqueTypeILi8EEEEELb1EPKhPhPKSA_PSA_mNS0_19identity_decomposerEEEvT1_T2_T3_T4_jPT5_SO_PNS1_23onesweep_lookback_stateET6_jjj.num_agpr, 0
	.set _ZN7rocprim17ROCPRIM_304000_NS6detail25onesweep_iteration_kernelINS1_34wrapped_radix_sort_onesweep_configINS0_14default_configEhN2at4cuda3cub6detail10OpaqueTypeILi8EEEEELb1EPKhPhPKSA_PSA_mNS0_19identity_decomposerEEEvT1_T2_T3_T4_jPT5_SO_PNS1_23onesweep_lookback_stateET6_jjj.numbered_sgpr, 53
	.set _ZN7rocprim17ROCPRIM_304000_NS6detail25onesweep_iteration_kernelINS1_34wrapped_radix_sort_onesweep_configINS0_14default_configEhN2at4cuda3cub6detail10OpaqueTypeILi8EEEEELb1EPKhPhPKSA_PSA_mNS0_19identity_decomposerEEEvT1_T2_T3_T4_jPT5_SO_PNS1_23onesweep_lookback_stateET6_jjj.num_named_barrier, 0
	.set _ZN7rocprim17ROCPRIM_304000_NS6detail25onesweep_iteration_kernelINS1_34wrapped_radix_sort_onesweep_configINS0_14default_configEhN2at4cuda3cub6detail10OpaqueTypeILi8EEEEELb1EPKhPhPKSA_PSA_mNS0_19identity_decomposerEEEvT1_T2_T3_T4_jPT5_SO_PNS1_23onesweep_lookback_stateET6_jjj.private_seg_size, 0
	.set _ZN7rocprim17ROCPRIM_304000_NS6detail25onesweep_iteration_kernelINS1_34wrapped_radix_sort_onesweep_configINS0_14default_configEhN2at4cuda3cub6detail10OpaqueTypeILi8EEEEELb1EPKhPhPKSA_PSA_mNS0_19identity_decomposerEEEvT1_T2_T3_T4_jPT5_SO_PNS1_23onesweep_lookback_stateET6_jjj.uses_vcc, 1
	.set _ZN7rocprim17ROCPRIM_304000_NS6detail25onesweep_iteration_kernelINS1_34wrapped_radix_sort_onesweep_configINS0_14default_configEhN2at4cuda3cub6detail10OpaqueTypeILi8EEEEELb1EPKhPhPKSA_PSA_mNS0_19identity_decomposerEEEvT1_T2_T3_T4_jPT5_SO_PNS1_23onesweep_lookback_stateET6_jjj.uses_flat_scratch, 0
	.set _ZN7rocprim17ROCPRIM_304000_NS6detail25onesweep_iteration_kernelINS1_34wrapped_radix_sort_onesweep_configINS0_14default_configEhN2at4cuda3cub6detail10OpaqueTypeILi8EEEEELb1EPKhPhPKSA_PSA_mNS0_19identity_decomposerEEEvT1_T2_T3_T4_jPT5_SO_PNS1_23onesweep_lookback_stateET6_jjj.has_dyn_sized_stack, 0
	.set _ZN7rocprim17ROCPRIM_304000_NS6detail25onesweep_iteration_kernelINS1_34wrapped_radix_sort_onesweep_configINS0_14default_configEhN2at4cuda3cub6detail10OpaqueTypeILi8EEEEELb1EPKhPhPKSA_PSA_mNS0_19identity_decomposerEEEvT1_T2_T3_T4_jPT5_SO_PNS1_23onesweep_lookback_stateET6_jjj.has_recursion, 0
	.set _ZN7rocprim17ROCPRIM_304000_NS6detail25onesweep_iteration_kernelINS1_34wrapped_radix_sort_onesweep_configINS0_14default_configEhN2at4cuda3cub6detail10OpaqueTypeILi8EEEEELb1EPKhPhPKSA_PSA_mNS0_19identity_decomposerEEEvT1_T2_T3_T4_jPT5_SO_PNS1_23onesweep_lookback_stateET6_jjj.has_indirect_call, 0
	.section	.AMDGPU.csdata,"",@progbits
; Kernel info:
; codeLenInByte = 10940
; TotalNumSgprs: 57
; NumVgprs: 40
; ScratchSize: 0
; MemoryBound: 0
; FloatMode: 240
; IeeeMode: 1
; LDSByteSize: 26624 bytes/workgroup (compile time only)
; SGPRBlocks: 12
; VGPRBlocks: 12
; NumSGPRsForWavesPerEU: 102
; NumVGPRsForWavesPerEU: 49
; Occupancy: 4
; WaveLimiterHint : 1
; COMPUTE_PGM_RSRC2:SCRATCH_EN: 0
; COMPUTE_PGM_RSRC2:USER_SGPR: 6
; COMPUTE_PGM_RSRC2:TRAP_HANDLER: 0
; COMPUTE_PGM_RSRC2:TGID_X_EN: 1
; COMPUTE_PGM_RSRC2:TGID_Y_EN: 0
; COMPUTE_PGM_RSRC2:TGID_Z_EN: 0
; COMPUTE_PGM_RSRC2:TIDIG_COMP_CNT: 2
	.section	.text._ZN7rocprim17ROCPRIM_304000_NS6detail25onesweep_iteration_kernelINS1_34wrapped_radix_sort_onesweep_configINS0_14default_configEhN2at4cuda3cub6detail10OpaqueTypeILi8EEEEELb1EPhSC_PSA_SD_mNS0_19identity_decomposerEEEvT1_T2_T3_T4_jPT5_SK_PNS1_23onesweep_lookback_stateET6_jjj,"axG",@progbits,_ZN7rocprim17ROCPRIM_304000_NS6detail25onesweep_iteration_kernelINS1_34wrapped_radix_sort_onesweep_configINS0_14default_configEhN2at4cuda3cub6detail10OpaqueTypeILi8EEEEELb1EPhSC_PSA_SD_mNS0_19identity_decomposerEEEvT1_T2_T3_T4_jPT5_SK_PNS1_23onesweep_lookback_stateET6_jjj,comdat
	.protected	_ZN7rocprim17ROCPRIM_304000_NS6detail25onesweep_iteration_kernelINS1_34wrapped_radix_sort_onesweep_configINS0_14default_configEhN2at4cuda3cub6detail10OpaqueTypeILi8EEEEELb1EPhSC_PSA_SD_mNS0_19identity_decomposerEEEvT1_T2_T3_T4_jPT5_SK_PNS1_23onesweep_lookback_stateET6_jjj ; -- Begin function _ZN7rocprim17ROCPRIM_304000_NS6detail25onesweep_iteration_kernelINS1_34wrapped_radix_sort_onesweep_configINS0_14default_configEhN2at4cuda3cub6detail10OpaqueTypeILi8EEEEELb1EPhSC_PSA_SD_mNS0_19identity_decomposerEEEvT1_T2_T3_T4_jPT5_SK_PNS1_23onesweep_lookback_stateET6_jjj
	.globl	_ZN7rocprim17ROCPRIM_304000_NS6detail25onesweep_iteration_kernelINS1_34wrapped_radix_sort_onesweep_configINS0_14default_configEhN2at4cuda3cub6detail10OpaqueTypeILi8EEEEELb1EPhSC_PSA_SD_mNS0_19identity_decomposerEEEvT1_T2_T3_T4_jPT5_SK_PNS1_23onesweep_lookback_stateET6_jjj
	.p2align	8
	.type	_ZN7rocprim17ROCPRIM_304000_NS6detail25onesweep_iteration_kernelINS1_34wrapped_radix_sort_onesweep_configINS0_14default_configEhN2at4cuda3cub6detail10OpaqueTypeILi8EEEEELb1EPhSC_PSA_SD_mNS0_19identity_decomposerEEEvT1_T2_T3_T4_jPT5_SK_PNS1_23onesweep_lookback_stateET6_jjj,@function
_ZN7rocprim17ROCPRIM_304000_NS6detail25onesweep_iteration_kernelINS1_34wrapped_radix_sort_onesweep_configINS0_14default_configEhN2at4cuda3cub6detail10OpaqueTypeILi8EEEEELb1EPhSC_PSA_SD_mNS0_19identity_decomposerEEEvT1_T2_T3_T4_jPT5_SK_PNS1_23onesweep_lookback_stateET6_jjj: ; @_ZN7rocprim17ROCPRIM_304000_NS6detail25onesweep_iteration_kernelINS1_34wrapped_radix_sort_onesweep_configINS0_14default_configEhN2at4cuda3cub6detail10OpaqueTypeILi8EEEEELb1EPhSC_PSA_SD_mNS0_19identity_decomposerEEEvT1_T2_T3_T4_jPT5_SK_PNS1_23onesweep_lookback_stateET6_jjj
; %bb.0:
	s_load_dwordx4 s[48:51], s[4:5], 0x44
	s_load_dwordx8 s[36:43], s[4:5], 0x0
	s_load_dwordx4 s[44:47], s[4:5], 0x28
	s_load_dwordx2 s[34:35], s[4:5], 0x38
	s_mov_b64 s[0:1], -1
	s_waitcnt lgkmcnt(0)
	s_cmp_ge_u32 s6, s50
	s_mul_i32 s30, s6, 0xc00
	v_mbcnt_lo_u32_b32 v19, -1, 0
	s_cbranch_scc0 .LBB15_96
; %bb.1:
	s_load_dword s0, s[4:5], 0x20
	s_mul_i32 s33, s50, 0xfffff400
	v_mbcnt_hi_u32_b32 v12, -1, v19
	v_and_b32_e32 v7, 0x1c0, v0
	v_mul_u32_u24_e32 v11, 6, v7
	s_waitcnt lgkmcnt(0)
	s_add_i32 s33, s33, s0
	s_add_u32 s0, s36, s30
	s_addc_u32 s1, s37, 0
	v_mov_b32_e32 v3, s1
	v_add_co_u32_e32 v4, vcc, s0, v12
	v_addc_co_u32_e32 v5, vcc, 0, v3, vcc
	v_add_co_u32_e32 v3, vcc, v4, v11
	v_addc_co_u32_e32 v4, vcc, 0, v5, vcc
	v_or_b32_e32 v8, v12, v11
	s_mov_b32 s31, 0
	v_mov_b32_e32 v18, 0
	v_cmp_gt_u32_e32 vcc, s33, v8
	v_mov_b32_e32 v5, 0
	v_mov_b32_e32 v20, 0
	v_mov_b32_e32 v14, 0
	v_mov_b32_e32 v6, 0
	s_and_saveexec_b64 s[0:1], vcc
	s_cbranch_execz .LBB15_3
; %bb.2:
	global_load_ubyte v5, v[3:4], off
	v_mov_b32_e32 v20, 0
	v_mov_b32_e32 v14, 0
	;; [unrolled: 1-line block ×3, first 2 shown]
.LBB15_3:
	s_or_b64 exec, exec, s[0:1]
	v_add_u32_e32 v9, 64, v8
	v_cmp_gt_u32_e64 s[0:1], s33, v9
	v_mov_b32_e32 v13, v18
	s_and_saveexec_b64 s[2:3], s[0:1]
	s_cbranch_execz .LBB15_5
; %bb.4:
	global_load_ubyte v13, v[3:4], off offset:64
.LBB15_5:
	s_or_b64 exec, exec, s[2:3]
	v_add_u32_e32 v9, 0x80, v8
	v_cmp_gt_u32_e64 s[2:3], s33, v9
	s_and_saveexec_b64 s[8:9], s[2:3]
	s_cbranch_execz .LBB15_7
; %bb.6:
	global_load_ubyte v18, v[3:4], off offset:128
.LBB15_7:
	s_or_b64 exec, exec, s[8:9]
	v_add_u32_e32 v9, 0xc0, v8
	v_cmp_gt_u32_e64 s[26:27], s33, v9
	;; [unrolled: 8-line block ×4, first 2 shown]
	s_and_saveexec_b64 s[12:13], s[10:11]
	s_cbranch_execz .LBB15_13
; %bb.12:
	global_load_ubyte v6, v[3:4], off offset:320
.LBB15_13:
	s_or_b64 exec, exec, s[12:13]
	s_load_dword s12, s[4:5], 0x5c
	s_load_dword s7, s[4:5], 0x50
	s_add_u32 s13, s4, 0x50
	s_addc_u32 s14, s5, 0
	v_mov_b32_e32 v3, 0
	s_waitcnt lgkmcnt(0)
	s_lshr_b32 s15, s12, 16
	s_cmp_lt_u32 s6, s7
	s_cselect_b32 s12, 12, 18
	s_add_u32 s12, s13, s12
	s_addc_u32 s13, s14, 0
	global_load_ushort v10, v3, s[12:13]
	s_waitcnt vmcnt(1)
	v_xor_b32_e32 v8, -1, v5
	s_lshl_b32 s12, -1, s49
	v_lshrrev_b32_sdwa v4, s48, v8 dst_sel:DWORD dst_unused:UNUSED_PAD src0_sel:DWORD src1_sel:BYTE_0
	s_not_b32 s52, s12
	v_and_b32_e32 v15, s52, v4
	v_and_b32_e32 v16, 1, v15
	v_add_co_u32_e64 v21, s[12:13], -1, v16
	v_lshlrev_b32_e32 v4, 30, v15
	v_addc_co_u32_e64 v22, s[12:13], 0, -1, s[12:13]
	v_mad_u32_u24 v5, v2, s15, v1
	v_cmp_ne_u32_e64 s[12:13], 0, v16
	v_cmp_gt_i64_e64 s[14:15], 0, v[3:4]
	v_not_b32_e32 v16, v4
	v_lshlrev_b32_e32 v4, 29, v15
	v_xor_b32_e32 v22, s13, v22
	v_xor_b32_e32 v21, s12, v21
	v_ashrrev_i32_e32 v16, 31, v16
	v_cmp_gt_i64_e64 s[12:13], 0, v[3:4]
	v_not_b32_e32 v23, v4
	v_lshlrev_b32_e32 v4, 28, v15
	v_and_b32_e32 v22, exec_hi, v22
	v_and_b32_e32 v21, exec_lo, v21
	v_xor_b32_e32 v24, s15, v16
	v_xor_b32_e32 v16, s14, v16
	v_ashrrev_i32_e32 v23, 31, v23
	v_cmp_gt_i64_e64 s[14:15], 0, v[3:4]
	v_not_b32_e32 v25, v4
	v_lshlrev_b32_e32 v4, 27, v15
	v_and_b32_e32 v22, v22, v24
	v_and_b32_e32 v16, v21, v16
	v_xor_b32_e32 v21, s13, v23
	v_xor_b32_e32 v23, s12, v23
	v_ashrrev_i32_e32 v24, 31, v25
	v_cmp_gt_i64_e64 s[12:13], 0, v[3:4]
	v_not_b32_e32 v25, v4
	v_lshlrev_b32_e32 v4, 26, v15
	v_and_b32_e32 v21, v22, v21
	v_and_b32_e32 v16, v16, v23
	v_xor_b32_e32 v22, s15, v24
	v_xor_b32_e32 v23, s14, v24
	v_ashrrev_i32_e32 v24, 31, v25
	v_cmp_gt_i64_e64 s[14:15], 0, v[3:4]
	v_not_b32_e32 v25, v4
	v_lshlrev_b32_e32 v4, 25, v15
	v_and_b32_e32 v21, v21, v22
	v_and_b32_e32 v16, v16, v23
	v_xor_b32_e32 v22, s13, v24
	v_xor_b32_e32 v23, s12, v24
	v_ashrrev_i32_e32 v24, 31, v25
	v_cmp_gt_i64_e64 s[12:13], 0, v[3:4]
	v_not_b32_e32 v25, v4
	v_mul_u32_u24_e32 v17, 36, v15
	v_lshlrev_b32_e32 v4, 24, v15
	v_and_b32_e32 v15, v21, v22
	v_and_b32_e32 v16, v16, v23
	v_xor_b32_e32 v21, s15, v24
	v_xor_b32_e32 v22, s14, v24
	v_ashrrev_i32_e32 v23, 31, v25
	v_and_b32_e32 v15, v15, v21
	v_and_b32_e32 v16, v16, v22
	v_xor_b32_e32 v21, s13, v23
	v_xor_b32_e32 v22, s12, v23
	v_and_b32_e32 v21, v15, v21
	v_and_b32_e32 v22, v16, v22
	v_cmp_gt_i64_e64 s[14:15], 0, v[3:4]
	v_not_b32_e32 v4, v4
	v_ashrrev_i32_e32 v4, 31, v4
	v_xor_b32_e32 v23, s15, v4
	v_xor_b32_e32 v4, s14, v4
	v_and_b32_e32 v4, v22, v4
	v_mul_u32_u24_e32 v9, 20, v0
	ds_write2_b32 v9, v3, v3 offset0:8 offset1:9
	ds_write2_b32 v9, v3, v3 offset0:10 offset1:11
	ds_write_b32 v9, v3 offset:48
	s_waitcnt vmcnt(0) lgkmcnt(0)
	s_barrier
	; wave barrier
	v_mad_u64_u32 v[15:16], s[12:13], v5, v10, v[0:1]
	v_and_b32_e32 v5, v21, v23
	v_cmp_ne_u64_e64 s[12:13], 0, v[4:5]
	v_lshrrev_b32_e32 v10, 4, v15
	v_and_b32_e32 v23, 0xffffffc, v10
	v_mbcnt_lo_u32_b32 v10, v4, 0
	v_mbcnt_hi_u32_b32 v10, v5, v10
	v_cmp_eq_u32_e64 s[14:15], 0, v10
	s_and_b64 s[14:15], s[12:13], s[14:15]
	v_add_u32_e32 v16, v23, v17
	s_and_saveexec_b64 s[12:13], s[14:15]
; %bb.14:
	v_bcnt_u32_b32 v4, v4, 0
	v_bcnt_u32_b32 v4, v5, v4
	ds_write_b32 v16, v4 offset:32
; %bb.15:
	s_or_b64 exec, exec, s[12:13]
	v_xor_b32_e32 v13, -1, v13
	v_lshrrev_b32_sdwa v4, s48, v13 dst_sel:DWORD dst_unused:UNUSED_PAD src0_sel:DWORD src1_sel:BYTE_0
	v_and_b32_e32 v5, s52, v4
	v_mad_u32_u24 v4, v5, 36, v23
	; wave barrier
	ds_read_b32 v15, v4 offset:32
	v_and_b32_e32 v4, 1, v5
	v_add_co_u32_e64 v17, s[12:13], -1, v4
	v_addc_co_u32_e64 v22, s[12:13], 0, -1, s[12:13]
	v_cmp_ne_u32_e64 s[12:13], 0, v4
	v_xor_b32_e32 v4, s13, v22
	v_and_b32_e32 v22, exec_hi, v4
	v_lshlrev_b32_e32 v4, 30, v5
	v_xor_b32_e32 v17, s12, v17
	v_cmp_gt_i64_e64 s[12:13], 0, v[3:4]
	v_not_b32_e32 v4, v4
	v_ashrrev_i32_e32 v4, 31, v4
	v_and_b32_e32 v17, exec_lo, v17
	v_xor_b32_e32 v24, s13, v4
	v_xor_b32_e32 v4, s12, v4
	v_and_b32_e32 v17, v17, v4
	v_lshlrev_b32_e32 v4, 29, v5
	v_cmp_gt_i64_e64 s[12:13], 0, v[3:4]
	v_not_b32_e32 v4, v4
	v_ashrrev_i32_e32 v4, 31, v4
	v_and_b32_e32 v22, v22, v24
	v_xor_b32_e32 v24, s13, v4
	v_xor_b32_e32 v4, s12, v4
	v_and_b32_e32 v17, v17, v4
	v_lshlrev_b32_e32 v4, 28, v5
	v_cmp_gt_i64_e64 s[12:13], 0, v[3:4]
	v_not_b32_e32 v4, v4
	v_ashrrev_i32_e32 v4, 31, v4
	v_and_b32_e32 v22, v22, v24
	;; [unrolled: 8-line block ×5, first 2 shown]
	v_xor_b32_e32 v24, s13, v4
	v_xor_b32_e32 v4, s12, v4
	v_and_b32_e32 v17, v17, v4
	v_lshlrev_b32_e32 v4, 24, v5
	v_cmp_gt_i64_e64 s[12:13], 0, v[3:4]
	v_not_b32_e32 v3, v4
	v_ashrrev_i32_e32 v3, 31, v3
	v_xor_b32_e32 v4, s13, v3
	v_xor_b32_e32 v3, s12, v3
	v_and_b32_e32 v22, v22, v24
	v_and_b32_e32 v3, v17, v3
	v_mul_u32_u24_e32 v21, 36, v5
	v_and_b32_e32 v4, v22, v4
	v_mbcnt_lo_u32_b32 v5, v3, 0
	v_mbcnt_hi_u32_b32 v17, v4, v5
	v_cmp_ne_u64_e64 s[12:13], 0, v[3:4]
	v_cmp_eq_u32_e64 s[14:15], 0, v17
	s_and_b64 s[14:15], s[12:13], s[14:15]
	v_add_u32_e32 v22, v23, v21
	; wave barrier
	s_and_saveexec_b64 s[12:13], s[14:15]
	s_cbranch_execz .LBB15_17
; %bb.16:
	v_bcnt_u32_b32 v3, v3, 0
	v_bcnt_u32_b32 v3, v4, v3
	s_waitcnt lgkmcnt(0)
	v_add_u32_e32 v3, v15, v3
	ds_write_b32 v22, v3 offset:32
.LBB15_17:
	s_or_b64 exec, exec, s[12:13]
	v_xor_b32_e32 v18, -1, v18
	v_lshrrev_b32_sdwa v3, s48, v18 dst_sel:DWORD dst_unused:UNUSED_PAD src0_sel:DWORD src1_sel:BYTE_0
	v_and_b32_e32 v5, s52, v3
	v_and_b32_e32 v4, 1, v5
	v_add_co_u32_e64 v24, s[12:13], -1, v4
	v_addc_co_u32_e64 v26, s[12:13], 0, -1, s[12:13]
	v_cmp_ne_u32_e64 s[12:13], 0, v4
	v_mad_u32_u24 v3, v5, 36, v23
	v_xor_b32_e32 v4, s13, v26
	; wave barrier
	ds_read_b32 v21, v3 offset:32
	v_mov_b32_e32 v3, 0
	v_and_b32_e32 v26, exec_hi, v4
	v_lshlrev_b32_e32 v4, 30, v5
	v_xor_b32_e32 v24, s12, v24
	v_cmp_gt_i64_e64 s[12:13], 0, v[3:4]
	v_not_b32_e32 v4, v4
	v_ashrrev_i32_e32 v4, 31, v4
	v_and_b32_e32 v24, exec_lo, v24
	v_xor_b32_e32 v27, s13, v4
	v_xor_b32_e32 v4, s12, v4
	v_and_b32_e32 v24, v24, v4
	v_lshlrev_b32_e32 v4, 29, v5
	v_cmp_gt_i64_e64 s[12:13], 0, v[3:4]
	v_not_b32_e32 v4, v4
	v_ashrrev_i32_e32 v4, 31, v4
	v_and_b32_e32 v26, v26, v27
	v_xor_b32_e32 v27, s13, v4
	v_xor_b32_e32 v4, s12, v4
	v_and_b32_e32 v24, v24, v4
	v_lshlrev_b32_e32 v4, 28, v5
	v_cmp_gt_i64_e64 s[12:13], 0, v[3:4]
	v_not_b32_e32 v4, v4
	v_ashrrev_i32_e32 v4, 31, v4
	v_and_b32_e32 v26, v26, v27
	;; [unrolled: 8-line block ×5, first 2 shown]
	v_xor_b32_e32 v27, s13, v4
	v_xor_b32_e32 v4, s12, v4
	v_and_b32_e32 v24, v24, v4
	v_lshlrev_b32_e32 v4, 24, v5
	v_cmp_gt_i64_e64 s[12:13], 0, v[3:4]
	v_not_b32_e32 v4, v4
	v_ashrrev_i32_e32 v4, 31, v4
	v_mul_u32_u24_e32 v25, 36, v5
	v_xor_b32_e32 v5, s13, v4
	v_xor_b32_e32 v4, s12, v4
	v_and_b32_e32 v26, v26, v27
	v_and_b32_e32 v4, v24, v4
	;; [unrolled: 1-line block ×3, first 2 shown]
	v_mbcnt_lo_u32_b32 v24, v4, 0
	v_mbcnt_hi_u32_b32 v24, v5, v24
	v_cmp_ne_u64_e64 s[12:13], 0, v[4:5]
	v_cmp_eq_u32_e64 s[14:15], 0, v24
	s_and_b64 s[14:15], s[12:13], s[14:15]
	v_add_u32_e32 v27, v23, v25
	; wave barrier
	s_and_saveexec_b64 s[12:13], s[14:15]
	s_cbranch_execz .LBB15_19
; %bb.18:
	v_bcnt_u32_b32 v4, v4, 0
	v_bcnt_u32_b32 v4, v5, v4
	s_waitcnt lgkmcnt(0)
	v_add_u32_e32 v4, v21, v4
	ds_write_b32 v27, v4 offset:32
.LBB15_19:
	s_or_b64 exec, exec, s[12:13]
	v_xor_b32_e32 v25, -1, v20
	v_lshrrev_b32_sdwa v4, s48, v25 dst_sel:DWORD dst_unused:UNUSED_PAD src0_sel:DWORD src1_sel:BYTE_0
	v_and_b32_e32 v5, s52, v4
	v_mad_u32_u24 v4, v5, 36, v23
	; wave barrier
	ds_read_b32 v26, v4 offset:32
	v_and_b32_e32 v4, 1, v5
	v_add_co_u32_e64 v28, s[12:13], -1, v4
	v_addc_co_u32_e64 v29, s[12:13], 0, -1, s[12:13]
	v_cmp_ne_u32_e64 s[12:13], 0, v4
	v_xor_b32_e32 v4, s13, v29
	v_and_b32_e32 v29, exec_hi, v4
	v_lshlrev_b32_e32 v4, 30, v5
	v_xor_b32_e32 v28, s12, v28
	v_cmp_gt_i64_e64 s[12:13], 0, v[3:4]
	v_not_b32_e32 v4, v4
	v_ashrrev_i32_e32 v4, 31, v4
	v_and_b32_e32 v28, exec_lo, v28
	v_xor_b32_e32 v30, s13, v4
	v_xor_b32_e32 v4, s12, v4
	v_and_b32_e32 v28, v28, v4
	v_lshlrev_b32_e32 v4, 29, v5
	v_cmp_gt_i64_e64 s[12:13], 0, v[3:4]
	v_not_b32_e32 v4, v4
	v_ashrrev_i32_e32 v4, 31, v4
	v_and_b32_e32 v29, v29, v30
	v_xor_b32_e32 v30, s13, v4
	v_xor_b32_e32 v4, s12, v4
	v_and_b32_e32 v28, v28, v4
	v_lshlrev_b32_e32 v4, 28, v5
	v_cmp_gt_i64_e64 s[12:13], 0, v[3:4]
	v_not_b32_e32 v4, v4
	v_ashrrev_i32_e32 v4, 31, v4
	v_and_b32_e32 v29, v29, v30
	;; [unrolled: 8-line block ×5, first 2 shown]
	v_xor_b32_e32 v30, s13, v4
	v_xor_b32_e32 v4, s12, v4
	v_and_b32_e32 v28, v28, v4
	v_lshlrev_b32_e32 v4, 24, v5
	v_cmp_gt_i64_e64 s[12:13], 0, v[3:4]
	v_not_b32_e32 v3, v4
	v_ashrrev_i32_e32 v3, 31, v3
	v_xor_b32_e32 v4, s13, v3
	v_xor_b32_e32 v3, s12, v3
	v_and_b32_e32 v29, v29, v30
	v_and_b32_e32 v3, v28, v3
	v_mul_u32_u24_e32 v20, 36, v5
	v_and_b32_e32 v4, v29, v4
	v_mbcnt_lo_u32_b32 v5, v3, 0
	v_mbcnt_hi_u32_b32 v30, v4, v5
	v_cmp_ne_u64_e64 s[12:13], 0, v[3:4]
	v_cmp_eq_u32_e64 s[14:15], 0, v30
	s_and_b64 s[14:15], s[12:13], s[14:15]
	v_add_u32_e32 v20, v23, v20
	; wave barrier
	s_and_saveexec_b64 s[12:13], s[14:15]
	s_cbranch_execz .LBB15_21
; %bb.20:
	v_bcnt_u32_b32 v3, v3, 0
	v_bcnt_u32_b32 v3, v4, v3
	s_waitcnt lgkmcnt(0)
	v_add_u32_e32 v3, v26, v3
	ds_write_b32 v20, v3 offset:32
.LBB15_21:
	s_or_b64 exec, exec, s[12:13]
	v_xor_b32_e32 v14, -1, v14
	v_lshrrev_b32_sdwa v3, s48, v14 dst_sel:DWORD dst_unused:UNUSED_PAD src0_sel:DWORD src1_sel:BYTE_0
	v_and_b32_e32 v5, s52, v3
	v_and_b32_e32 v4, 1, v5
	v_add_co_u32_e64 v29, s[12:13], -1, v4
	v_addc_co_u32_e64 v32, s[12:13], 0, -1, s[12:13]
	v_cmp_ne_u32_e64 s[12:13], 0, v4
	v_mad_u32_u24 v3, v5, 36, v23
	v_xor_b32_e32 v4, s13, v32
	; wave barrier
	ds_read_b32 v31, v3 offset:32
	v_mov_b32_e32 v3, 0
	v_and_b32_e32 v32, exec_hi, v4
	v_lshlrev_b32_e32 v4, 30, v5
	v_xor_b32_e32 v29, s12, v29
	v_cmp_gt_i64_e64 s[12:13], 0, v[3:4]
	v_not_b32_e32 v4, v4
	v_ashrrev_i32_e32 v4, 31, v4
	v_and_b32_e32 v29, exec_lo, v29
	v_xor_b32_e32 v33, s13, v4
	v_xor_b32_e32 v4, s12, v4
	v_and_b32_e32 v29, v29, v4
	v_lshlrev_b32_e32 v4, 29, v5
	v_cmp_gt_i64_e64 s[12:13], 0, v[3:4]
	v_not_b32_e32 v4, v4
	v_ashrrev_i32_e32 v4, 31, v4
	v_and_b32_e32 v32, v32, v33
	v_xor_b32_e32 v33, s13, v4
	v_xor_b32_e32 v4, s12, v4
	v_and_b32_e32 v29, v29, v4
	v_lshlrev_b32_e32 v4, 28, v5
	v_cmp_gt_i64_e64 s[12:13], 0, v[3:4]
	v_not_b32_e32 v4, v4
	v_ashrrev_i32_e32 v4, 31, v4
	v_and_b32_e32 v32, v32, v33
	;; [unrolled: 8-line block ×5, first 2 shown]
	v_xor_b32_e32 v33, s13, v4
	v_xor_b32_e32 v4, s12, v4
	v_and_b32_e32 v29, v29, v4
	v_lshlrev_b32_e32 v4, 24, v5
	v_cmp_gt_i64_e64 s[12:13], 0, v[3:4]
	v_not_b32_e32 v4, v4
	v_ashrrev_i32_e32 v4, 31, v4
	v_mul_u32_u24_e32 v28, 36, v5
	v_xor_b32_e32 v5, s13, v4
	v_xor_b32_e32 v4, s12, v4
	v_and_b32_e32 v32, v32, v33
	v_and_b32_e32 v4, v29, v4
	;; [unrolled: 1-line block ×3, first 2 shown]
	v_mbcnt_lo_u32_b32 v29, v4, 0
	v_mbcnt_hi_u32_b32 v32, v5, v29
	v_cmp_ne_u64_e64 s[12:13], 0, v[4:5]
	v_cmp_eq_u32_e64 s[14:15], 0, v32
	s_and_b64 s[14:15], s[12:13], s[14:15]
	v_add_u32_e32 v28, v23, v28
	; wave barrier
	s_and_saveexec_b64 s[12:13], s[14:15]
	s_cbranch_execz .LBB15_23
; %bb.22:
	v_bcnt_u32_b32 v4, v4, 0
	v_bcnt_u32_b32 v4, v5, v4
	s_waitcnt lgkmcnt(0)
	v_add_u32_e32 v4, v31, v4
	ds_write_b32 v28, v4 offset:32
.LBB15_23:
	s_or_b64 exec, exec, s[12:13]
	v_xor_b32_e32 v33, -1, v6
	v_lshrrev_b32_sdwa v4, s48, v33 dst_sel:DWORD dst_unused:UNUSED_PAD src0_sel:DWORD src1_sel:BYTE_0
	v_and_b32_e32 v5, s52, v4
	v_mad_u32_u24 v4, v5, 36, v23
	; wave barrier
	ds_read_b32 v34, v4 offset:32
	v_and_b32_e32 v4, 1, v5
	v_add_co_u32_e64 v29, s[12:13], -1, v4
	v_addc_co_u32_e64 v35, s[12:13], 0, -1, s[12:13]
	v_cmp_ne_u32_e64 s[12:13], 0, v4
	v_xor_b32_e32 v4, s13, v35
	v_and_b32_e32 v35, exec_hi, v4
	v_lshlrev_b32_e32 v4, 30, v5
	v_xor_b32_e32 v29, s12, v29
	v_cmp_gt_i64_e64 s[12:13], 0, v[3:4]
	v_not_b32_e32 v4, v4
	v_ashrrev_i32_e32 v4, 31, v4
	v_and_b32_e32 v29, exec_lo, v29
	v_xor_b32_e32 v36, s13, v4
	v_xor_b32_e32 v4, s12, v4
	v_and_b32_e32 v29, v29, v4
	v_lshlrev_b32_e32 v4, 29, v5
	v_cmp_gt_i64_e64 s[12:13], 0, v[3:4]
	v_not_b32_e32 v4, v4
	v_ashrrev_i32_e32 v4, 31, v4
	v_and_b32_e32 v35, v35, v36
	v_xor_b32_e32 v36, s13, v4
	v_xor_b32_e32 v4, s12, v4
	v_and_b32_e32 v29, v29, v4
	v_lshlrev_b32_e32 v4, 28, v5
	v_cmp_gt_i64_e64 s[12:13], 0, v[3:4]
	v_not_b32_e32 v4, v4
	v_ashrrev_i32_e32 v4, 31, v4
	v_and_b32_e32 v35, v35, v36
	;; [unrolled: 8-line block ×5, first 2 shown]
	v_xor_b32_e32 v36, s13, v4
	v_xor_b32_e32 v4, s12, v4
	v_and_b32_e32 v29, v29, v4
	v_lshlrev_b32_e32 v4, 24, v5
	v_cmp_gt_i64_e64 s[12:13], 0, v[3:4]
	v_not_b32_e32 v3, v4
	v_ashrrev_i32_e32 v3, 31, v3
	v_xor_b32_e32 v4, s13, v3
	v_xor_b32_e32 v3, s12, v3
	v_and_b32_e32 v35, v35, v36
	v_and_b32_e32 v3, v29, v3
	v_mul_u32_u24_e32 v6, 36, v5
	v_and_b32_e32 v4, v35, v4
	v_mbcnt_lo_u32_b32 v5, v3, 0
	v_mbcnt_hi_u32_b32 v35, v4, v5
	v_cmp_ne_u64_e64 s[12:13], 0, v[3:4]
	v_cmp_eq_u32_e64 s[14:15], 0, v35
	s_and_b64 s[14:15], s[12:13], s[14:15]
	v_add_u32_e32 v23, v23, v6
	; wave barrier
	s_and_saveexec_b64 s[12:13], s[14:15]
	s_cbranch_execz .LBB15_25
; %bb.24:
	v_bcnt_u32_b32 v3, v3, 0
	v_bcnt_u32_b32 v3, v4, v3
	s_waitcnt lgkmcnt(0)
	v_add_u32_e32 v3, v34, v3
	ds_write_b32 v23, v3 offset:32
.LBB15_25:
	s_or_b64 exec, exec, s[12:13]
	; wave barrier
	s_waitcnt lgkmcnt(0)
	s_barrier
	ds_read2_b32 v[5:6], v9 offset0:8 offset1:9
	ds_read2_b32 v[3:4], v9 offset0:10 offset1:11
	ds_read_b32 v29, v9 offset:48
	v_min_u32_e32 v7, 0x1c0, v7
	v_or_b32_e32 v7, 63, v7
	s_waitcnt lgkmcnt(1)
	v_add3_u32 v36, v6, v5, v3
	s_waitcnt lgkmcnt(0)
	v_add3_u32 v29, v36, v4, v29
	v_and_b32_e32 v36, 15, v12
	v_cmp_ne_u32_e64 s[12:13], 0, v36
	v_mov_b32_dpp v37, v29 row_shr:1 row_mask:0xf bank_mask:0xf
	v_cndmask_b32_e64 v37, 0, v37, s[12:13]
	v_add_u32_e32 v29, v37, v29
	v_cmp_lt_u32_e64 s[12:13], 1, v36
	s_nop 0
	v_mov_b32_dpp v37, v29 row_shr:2 row_mask:0xf bank_mask:0xf
	v_cndmask_b32_e64 v37, 0, v37, s[12:13]
	v_add_u32_e32 v29, v29, v37
	v_cmp_lt_u32_e64 s[12:13], 3, v36
	s_nop 0
	;; [unrolled: 5-line block ×3, first 2 shown]
	v_mov_b32_dpp v37, v29 row_shr:8 row_mask:0xf bank_mask:0xf
	v_cndmask_b32_e64 v36, 0, v37, s[12:13]
	v_add_u32_e32 v29, v29, v36
	v_bfe_i32 v37, v12, 4, 1
	v_cmp_lt_u32_e64 s[12:13], 31, v12
	v_mov_b32_dpp v36, v29 row_bcast:15 row_mask:0xf bank_mask:0xf
	v_and_b32_e32 v36, v37, v36
	v_add_u32_e32 v29, v29, v36
	s_nop 1
	v_mov_b32_dpp v36, v29 row_bcast:31 row_mask:0xf bank_mask:0xf
	v_cndmask_b32_e64 v36, 0, v36, s[12:13]
	v_add_u32_e32 v29, v29, v36
	v_lshrrev_b32_e32 v36, 6, v0
	v_cmp_eq_u32_e64 s[12:13], v0, v7
	s_and_saveexec_b64 s[14:15], s[12:13]
; %bb.26:
	v_lshlrev_b32_e32 v7, 2, v36
	ds_write_b32 v7, v29
; %bb.27:
	s_or_b64 exec, exec, s[14:15]
	v_cmp_gt_u32_e64 s[12:13], 8, v0
	s_waitcnt lgkmcnt(0)
	s_barrier
	s_and_saveexec_b64 s[14:15], s[12:13]
	s_cbranch_execz .LBB15_29
; %bb.28:
	v_lshlrev_b32_e32 v7, 2, v0
	ds_read_b32 v37, v7
	v_and_b32_e32 v38, 7, v12
	v_cmp_ne_u32_e64 s[12:13], 0, v38
	s_waitcnt lgkmcnt(0)
	v_mov_b32_dpp v39, v37 row_shr:1 row_mask:0xf bank_mask:0xf
	v_cndmask_b32_e64 v39, 0, v39, s[12:13]
	v_add_u32_e32 v37, v39, v37
	v_cmp_lt_u32_e64 s[12:13], 1, v38
	s_nop 0
	v_mov_b32_dpp v39, v37 row_shr:2 row_mask:0xf bank_mask:0xf
	v_cndmask_b32_e64 v39, 0, v39, s[12:13]
	v_add_u32_e32 v37, v37, v39
	v_cmp_lt_u32_e64 s[12:13], 3, v38
	s_nop 0
	v_mov_b32_dpp v39, v37 row_shr:4 row_mask:0xf bank_mask:0xf
	v_cndmask_b32_e64 v38, 0, v39, s[12:13]
	v_add_u32_e32 v37, v37, v38
	ds_write_b32 v7, v37
.LBB15_29:
	s_or_b64 exec, exec, s[14:15]
	v_cmp_lt_u32_e64 s[12:13], 63, v0
	v_mov_b32_e32 v7, 0
	s_waitcnt lgkmcnt(0)
	s_barrier
	s_and_saveexec_b64 s[14:15], s[12:13]
; %bb.30:
	v_lshl_add_u32 v7, v36, 2, -4
	ds_read_b32 v7, v7
; %bb.31:
	s_or_b64 exec, exec, s[14:15]
	v_add_u32_e32 v36, -1, v12
	v_and_b32_e32 v37, 64, v12
	v_cmp_lt_i32_e64 s[12:13], v36, v37
	v_cndmask_b32_e64 v36, v36, v12, s[12:13]
	s_waitcnt lgkmcnt(0)
	v_add_u32_e32 v29, v7, v29
	v_lshlrev_b32_e32 v36, 2, v36
	ds_bpermute_b32 v29, v36, v29
	v_cmp_eq_u32_e64 s[12:13], 0, v12
	s_movk_i32 s16, 0x100
	v_cmp_gt_u32_e64 s[14:15], s16, v0
	s_waitcnt lgkmcnt(0)
	v_cndmask_b32_e64 v7, v29, v7, s[12:13]
	v_cmp_ne_u32_e64 s[12:13], 0, v0
	v_cndmask_b32_e64 v7, 0, v7, s[12:13]
	v_add_u32_e32 v5, v7, v5
	v_add_u32_e32 v6, v5, v6
	;; [unrolled: 1-line block ×4, first 2 shown]
	ds_write2_b32 v9, v7, v5 offset0:8 offset1:9
	ds_write2_b32 v9, v6, v3 offset0:10 offset1:11
	ds_write_b32 v9, v4 offset:48
	s_waitcnt lgkmcnt(0)
	s_barrier
	ds_read_b32 v5, v16 offset:32
	ds_read_b32 v6, v22 offset:32
	;; [unrolled: 1-line block ×6, first 2 shown]
	s_movk_i32 s12, 0xff
	v_mov_b32_e32 v3, 0
	v_cmp_lt_u32_e64 s[12:13], s12, v0
	v_mov_b32_e32 v4, 0
                                        ; implicit-def: $vgpr20
	s_and_saveexec_b64 s[18:19], s[14:15]
	s_cbranch_execz .LBB15_35
; %bb.32:
	v_mul_u32_u24_e32 v3, 36, v0
	ds_read_b32 v3, v3 offset:32
	v_add_u32_e32 v20, 1, v0
	v_cmp_ne_u32_e64 s[16:17], s16, v20
	v_mov_b32_e32 v4, 0xc00
	s_and_saveexec_b64 s[20:21], s[16:17]
; %bb.33:
	v_mul_u32_u24_e32 v4, 36, v20
	ds_read_b32 v4, v4 offset:32
; %bb.34:
	s_or_b64 exec, exec, s[20:21]
	s_waitcnt lgkmcnt(0)
	v_sub_u32_e32 v20, v4, v3
	v_mov_b32_e32 v4, 0
.LBB15_35:
	s_or_b64 exec, exec, s[18:19]
	s_waitcnt lgkmcnt(5)
	v_add_u32_e32 v29, v5, v10
	s_waitcnt lgkmcnt(4)
	v_add3_u32 v28, v17, v15, v6
	s_waitcnt lgkmcnt(3)
	v_add3_u32 v27, v24, v21, v7
	;; [unrolled: 2-line block ×5, first 2 shown]
	v_mov_b32_e32 v6, 0
	v_lshlrev_b32_e32 v21, 3, v0
	s_barrier
	ds_write_b8 v29, v8 offset:2048
	ds_write_b8 v28, v13 offset:2048
	;; [unrolled: 1-line block ×6, first 2 shown]
	s_waitcnt lgkmcnt(0)
	s_barrier
	s_and_saveexec_b64 s[16:17], s[14:15]
	s_cbranch_execz .LBB15_45
; %bb.36:
	v_lshl_add_u32 v5, s6, 8, v0
	v_lshlrev_b64 v[7:8], 2, v[5:6]
	v_mov_b32_e32 v13, s35
	v_add_co_u32_e64 v7, s[14:15], s34, v7
	v_addc_co_u32_e64 v8, s[14:15], v13, v8, s[14:15]
	v_or_b32_e32 v5, 2.0, v20
	s_mov_b64 s[18:19], 0
	s_brev_b32 s24, -4
	s_mov_b32 s25, s6
	v_mov_b32_e32 v14, 0
	global_store_dword v[7:8], v5, off
                                        ; implicit-def: $sgpr14_sgpr15
	s_branch .LBB15_39
.LBB15_37:                              ;   in Loop: Header=BB15_39 Depth=1
	s_or_b64 exec, exec, s[22:23]
.LBB15_38:                              ;   in Loop: Header=BB15_39 Depth=1
	s_or_b64 exec, exec, s[20:21]
	v_and_b32_e32 v9, 0x3fffffff, v5
	v_add_u32_e32 v14, v9, v14
	v_cmp_gt_i32_e64 s[14:15], -2.0, v5
	s_and_b64 s[20:21], exec, s[14:15]
	s_or_b64 s[18:19], s[20:21], s[18:19]
	s_andn2_b64 exec, exec, s[18:19]
	s_cbranch_execz .LBB15_44
.LBB15_39:                              ; =>This Loop Header: Depth=1
                                        ;     Child Loop BB15_42 Depth 2
	s_or_b64 s[14:15], s[14:15], exec
	s_cmp_eq_u32 s25, 0
	s_cbranch_scc1 .LBB15_43
; %bb.40:                               ;   in Loop: Header=BB15_39 Depth=1
	s_add_i32 s25, s25, -1
	v_lshl_or_b32 v5, s25, 8, v0
	v_lshlrev_b64 v[9:10], 2, v[5:6]
	v_add_co_u32_e64 v9, s[14:15], s34, v9
	v_addc_co_u32_e64 v10, s[14:15], v13, v10, s[14:15]
	global_load_dword v5, v[9:10], off glc
	s_waitcnt vmcnt(0)
	v_cmp_gt_u32_e64 s[14:15], 2.0, v5
	s_and_saveexec_b64 s[20:21], s[14:15]
	s_cbranch_execz .LBB15_38
; %bb.41:                               ;   in Loop: Header=BB15_39 Depth=1
	s_mov_b64 s[22:23], 0
.LBB15_42:                              ;   Parent Loop BB15_39 Depth=1
                                        ; =>  This Inner Loop Header: Depth=2
	global_load_dword v5, v[9:10], off glc
	s_waitcnt vmcnt(0)
	v_cmp_lt_u32_e64 s[14:15], s24, v5
	s_or_b64 s[22:23], s[14:15], s[22:23]
	s_andn2_b64 exec, exec, s[22:23]
	s_cbranch_execnz .LBB15_42
	s_branch .LBB15_37
.LBB15_43:                              ;   in Loop: Header=BB15_39 Depth=1
                                        ; implicit-def: $sgpr25
	s_and_b64 s[20:21], exec, s[14:15]
	s_or_b64 s[18:19], s[20:21], s[18:19]
	s_andn2_b64 exec, exec, s[18:19]
	s_cbranch_execnz .LBB15_39
.LBB15_44:
	s_or_b64 exec, exec, s[18:19]
	v_add_u32_e32 v5, v14, v20
	v_or_b32_e32 v5, 0x80000000, v5
	global_store_dword v[7:8], v5, off
	global_load_dwordx2 v[5:6], v21, s[44:45]
	v_sub_co_u32_e64 v7, s[14:15], v14, v3
	v_subb_co_u32_e64 v8, s[14:15], 0, v4, s[14:15]
	s_waitcnt vmcnt(0)
	v_add_co_u32_e64 v5, s[14:15], v7, v5
	v_addc_co_u32_e64 v6, s[14:15], v8, v6, s[14:15]
	ds_write_b64 v21, v[5:6]
.LBB15_45:
	s_or_b64 exec, exec, s[16:17]
	v_cmp_gt_u32_e64 s[14:15], s33, v0
	s_waitcnt lgkmcnt(0)
	s_barrier
	s_and_saveexec_b64 s[18:19], s[14:15]
	s_cbranch_execz .LBB15_47
; %bb.46:
	ds_read_u8 v7, v0 offset:2048
	v_mov_b32_e32 v8, s39
	s_waitcnt lgkmcnt(0)
	v_lshrrev_b32_sdwa v5, s48, v7 dst_sel:DWORD dst_unused:UNUSED_PAD src0_sel:DWORD src1_sel:BYTE_0
	v_and_b32_e32 v5, s52, v5
	v_lshlrev_b32_e32 v5, 3, v5
	ds_read_b64 v[5:6], v5
	v_xor_b32_e32 v7, -1, v7
	s_waitcnt lgkmcnt(0)
	v_add_co_u32_e64 v5, s[16:17], s38, v5
	v_addc_co_u32_e64 v6, s[16:17], v8, v6, s[16:17]
	v_add_co_u32_e64 v5, s[16:17], v5, v0
	v_addc_co_u32_e64 v6, s[16:17], 0, v6, s[16:17]
	global_store_byte v[5:6], v7, off
.LBB15_47:
	s_or_b64 exec, exec, s[18:19]
	v_or_b32_e32 v25, 0x200, v0
	v_cmp_gt_u32_e64 s[16:17], s33, v25
	s_and_saveexec_b64 s[20:21], s[16:17]
	s_cbranch_execz .LBB15_49
; %bb.48:
	ds_read_u8 v7, v0 offset:2560
	v_mov_b32_e32 v8, s39
	s_waitcnt lgkmcnt(0)
	v_lshrrev_b32_sdwa v5, s48, v7 dst_sel:DWORD dst_unused:UNUSED_PAD src0_sel:DWORD src1_sel:BYTE_0
	v_and_b32_e32 v5, s52, v5
	v_lshlrev_b32_e32 v5, 3, v5
	ds_read_b64 v[5:6], v5
	v_xor_b32_e32 v7, -1, v7
	s_waitcnt lgkmcnt(0)
	v_add_co_u32_e64 v5, s[18:19], s38, v5
	v_addc_co_u32_e64 v6, s[18:19], v8, v6, s[18:19]
	v_add_co_u32_e64 v5, s[18:19], v5, v0
	v_addc_co_u32_e64 v6, s[18:19], 0, v6, s[18:19]
	global_store_byte v[5:6], v7, off offset:512
.LBB15_49:
	s_or_b64 exec, exec, s[20:21]
	v_or_b32_e32 v26, 0x400, v0
	v_cmp_gt_u32_e64 s[18:19], s33, v26
	s_and_saveexec_b64 s[22:23], s[18:19]
	s_cbranch_execz .LBB15_51
; %bb.50:
	ds_read_u8 v7, v0 offset:3072
	v_mov_b32_e32 v8, s39
	s_waitcnt lgkmcnt(0)
	v_lshrrev_b32_sdwa v5, s48, v7 dst_sel:DWORD dst_unused:UNUSED_PAD src0_sel:DWORD src1_sel:BYTE_0
	v_and_b32_e32 v5, s52, v5
	v_lshlrev_b32_e32 v5, 3, v5
	ds_read_b64 v[5:6], v5
	v_xor_b32_e32 v7, -1, v7
	s_waitcnt lgkmcnt(0)
	v_add_co_u32_e64 v5, s[20:21], s38, v5
	v_addc_co_u32_e64 v6, s[20:21], v8, v6, s[20:21]
	v_add_co_u32_e64 v5, s[20:21], v5, v0
	v_addc_co_u32_e64 v6, s[20:21], 0, v6, s[20:21]
	global_store_byte v[5:6], v7, off offset:1024
.LBB15_51:
	;; [unrolled: 21-line block ×5, first 2 shown]
	s_or_b64 exec, exec, s[50:51]
	s_lshl_b64 s[28:29], s[30:31], 3
	s_add_u32 s28, s40, s28
	s_addc_u32 s29, s41, s29
	v_lshlrev_b32_e32 v5, 3, v12
	v_mov_b32_e32 v6, s29
	v_add_co_u32_e64 v5, s[28:29], s28, v5
	v_addc_co_u32_e64 v6, s[28:29], 0, v6, s[28:29]
	v_lshlrev_b32_e32 v7, 3, v11
	v_add_co_u32_e64 v17, s[28:29], v5, v7
	v_addc_co_u32_e64 v18, s[28:29], 0, v6, s[28:29]
                                        ; implicit-def: $vgpr5_vgpr6
	s_and_saveexec_b64 s[28:29], vcc
	s_xor_b64 s[28:29], exec, s[28:29]
	s_cbranch_execz .LBB15_63
; %bb.58:
	global_load_dwordx2 v[5:6], v[17:18], off
	s_or_b64 exec, exec, s[28:29]
                                        ; implicit-def: $vgpr7_vgpr8
	s_and_saveexec_b64 s[28:29], s[0:1]
	s_cbranch_execnz .LBB15_64
.LBB15_59:
	s_or_b64 exec, exec, s[28:29]
                                        ; implicit-def: $vgpr9_vgpr10
	s_and_saveexec_b64 s[0:1], s[2:3]
	s_cbranch_execz .LBB15_65
.LBB15_60:
	global_load_dwordx2 v[9:10], v[17:18], off offset:1024
	s_or_b64 exec, exec, s[0:1]
                                        ; implicit-def: $vgpr11_vgpr12
	s_and_saveexec_b64 s[0:1], s[26:27]
	s_cbranch_execnz .LBB15_66
.LBB15_61:
	s_or_b64 exec, exec, s[0:1]
                                        ; implicit-def: $vgpr13_vgpr14
	s_and_saveexec_b64 s[0:1], s[8:9]
	s_cbranch_execz .LBB15_67
.LBB15_62:
	global_load_dwordx2 v[13:14], v[17:18], off offset:2048
	s_or_b64 exec, exec, s[0:1]
                                        ; implicit-def: $vgpr15_vgpr16
	s_and_saveexec_b64 s[0:1], s[10:11]
	s_cbranch_execnz .LBB15_68
	s_branch .LBB15_69
.LBB15_63:
	s_or_b64 exec, exec, s[28:29]
                                        ; implicit-def: $vgpr7_vgpr8
	s_and_saveexec_b64 s[28:29], s[0:1]
	s_cbranch_execz .LBB15_59
.LBB15_64:
	global_load_dwordx2 v[7:8], v[17:18], off offset:512
	s_or_b64 exec, exec, s[28:29]
                                        ; implicit-def: $vgpr9_vgpr10
	s_and_saveexec_b64 s[0:1], s[2:3]
	s_cbranch_execnz .LBB15_60
.LBB15_65:
	s_or_b64 exec, exec, s[0:1]
                                        ; implicit-def: $vgpr11_vgpr12
	s_and_saveexec_b64 s[0:1], s[26:27]
	s_cbranch_execz .LBB15_61
.LBB15_66:
	global_load_dwordx2 v[11:12], v[17:18], off offset:1536
	s_or_b64 exec, exec, s[0:1]
                                        ; implicit-def: $vgpr13_vgpr14
	s_and_saveexec_b64 s[0:1], s[8:9]
	s_cbranch_execnz .LBB15_62
.LBB15_67:
	s_or_b64 exec, exec, s[0:1]
                                        ; implicit-def: $vgpr15_vgpr16
	s_and_saveexec_b64 s[0:1], s[10:11]
	s_cbranch_execz .LBB15_69
.LBB15_68:
	global_load_dwordx2 v[15:16], v[17:18], off offset:2560
.LBB15_69:
	s_or_b64 exec, exec, s[0:1]
	v_mov_b32_e32 v34, 0
	v_mov_b32_e32 v36, 0
	s_and_saveexec_b64 s[0:1], s[14:15]
	s_cbranch_execz .LBB15_71
; %bb.70:
	ds_read_u8 v17, v0 offset:2048
	s_waitcnt lgkmcnt(0)
	v_lshrrev_b32_e32 v17, s48, v17
	v_and_b32_e32 v36, s52, v17
.LBB15_71:
	s_or_b64 exec, exec, s[0:1]
	s_and_saveexec_b64 s[0:1], s[16:17]
	s_cbranch_execz .LBB15_73
; %bb.72:
	ds_read_u8 v17, v0 offset:2560
	s_waitcnt lgkmcnt(0)
	v_lshrrev_b32_e32 v17, s48, v17
	v_and_b32_e32 v34, s52, v17
.LBB15_73:
	s_or_b64 exec, exec, s[0:1]
	v_mov_b32_e32 v18, 0
	v_mov_b32_e32 v35, 0
	s_and_saveexec_b64 s[0:1], s[18:19]
	s_cbranch_execz .LBB15_75
; %bb.74:
	ds_read_u8 v17, v0 offset:3072
	s_waitcnt lgkmcnt(0)
	v_lshrrev_b32_e32 v17, s48, v17
	v_and_b32_e32 v35, s52, v17
.LBB15_75:
	s_or_b64 exec, exec, s[0:1]
	s_and_saveexec_b64 s[0:1], s[20:21]
	s_cbranch_execz .LBB15_77
; %bb.76:
	ds_read_u8 v17, v0 offset:3584
	s_waitcnt lgkmcnt(0)
	v_lshrrev_b32_e32 v17, s48, v17
	v_and_b32_e32 v18, s52, v17
.LBB15_77:
	;; [unrolled: 20-line block ×3, first 2 shown]
	s_or_b64 exec, exec, s[0:1]
	v_lshlrev_b32_e32 v29, 3, v29
	s_waitcnt vmcnt(0)
	s_barrier
	ds_write_b64 v29, v[5:6] offset:2048
	v_lshlrev_b32_e32 v5, 3, v28
	ds_write_b64 v5, v[7:8] offset:2048
	v_lshlrev_b32_e32 v5, 3, v27
	;; [unrolled: 2-line block ×5, first 2 shown]
	ds_write_b64 v5, v[15:16] offset:2048
	s_waitcnt lgkmcnt(0)
	s_barrier
	s_and_saveexec_b64 s[0:1], s[14:15]
	s_cbranch_execz .LBB15_87
; %bb.82:
	v_lshlrev_b32_e32 v5, 3, v36
	ds_read_b64 v[5:6], v5
	ds_read_b64 v[7:8], v21 offset:2048
	v_mov_b32_e32 v9, s43
	s_waitcnt lgkmcnt(1)
	v_lshlrev_b64 v[5:6], 3, v[5:6]
	v_add_co_u32_e32 v5, vcc, s42, v5
	v_addc_co_u32_e32 v6, vcc, v9, v6, vcc
	v_add_co_u32_e32 v5, vcc, v5, v21
	v_addc_co_u32_e32 v6, vcc, 0, v6, vcc
	s_waitcnt lgkmcnt(0)
	global_store_dwordx2 v[5:6], v[7:8], off
	s_or_b64 exec, exec, s[0:1]
	s_and_saveexec_b64 s[0:1], s[16:17]
	s_cbranch_execnz .LBB15_88
.LBB15_83:
	s_or_b64 exec, exec, s[0:1]
	s_and_saveexec_b64 s[0:1], s[18:19]
	s_cbranch_execz .LBB15_89
.LBB15_84:
	v_lshlrev_b32_e32 v5, 3, v35
	ds_read_b64 v[5:6], v5
	ds_read_b64 v[7:8], v21 offset:10240
	v_mov_b32_e32 v9, s43
	s_waitcnt lgkmcnt(1)
	v_lshlrev_b64 v[5:6], 3, v[5:6]
	v_add_co_u32_e32 v5, vcc, s42, v5
	v_addc_co_u32_e32 v6, vcc, v9, v6, vcc
	v_lshlrev_b32_e32 v9, 3, v26
	v_add_co_u32_e32 v5, vcc, v5, v9
	v_addc_co_u32_e32 v6, vcc, 0, v6, vcc
	s_waitcnt lgkmcnt(0)
	global_store_dwordx2 v[5:6], v[7:8], off
	s_or_b64 exec, exec, s[0:1]
	s_and_saveexec_b64 s[0:1], s[20:21]
	s_cbranch_execnz .LBB15_90
.LBB15_85:
	s_or_b64 exec, exec, s[0:1]
	s_and_saveexec_b64 s[0:1], s[22:23]
	s_cbranch_execz .LBB15_91
.LBB15_86:
	v_lshlrev_b32_e32 v5, 3, v33
	ds_read_b64 v[5:6], v5
	ds_read_b64 v[7:8], v21 offset:18432
	v_mov_b32_e32 v9, s43
	s_waitcnt lgkmcnt(1)
	v_lshlrev_b64 v[5:6], 3, v[5:6]
	v_add_co_u32_e32 v5, vcc, s42, v5
	v_addc_co_u32_e32 v6, vcc, v9, v6, vcc
	v_lshlrev_b32_e32 v9, 3, v31
	v_add_co_u32_e32 v5, vcc, v5, v9
	v_addc_co_u32_e32 v6, vcc, 0, v6, vcc
	s_waitcnt lgkmcnt(0)
	global_store_dwordx2 v[5:6], v[7:8], off
	s_or_b64 exec, exec, s[0:1]
	s_and_saveexec_b64 s[0:1], s[24:25]
	s_cbranch_execnz .LBB15_92
	s_branch .LBB15_93
.LBB15_87:
	s_or_b64 exec, exec, s[0:1]
	s_and_saveexec_b64 s[0:1], s[16:17]
	s_cbranch_execz .LBB15_83
.LBB15_88:
	v_lshlrev_b32_e32 v5, 3, v34
	ds_read_b64 v[5:6], v5
	ds_read_b64 v[7:8], v21 offset:6144
	v_mov_b32_e32 v9, s43
	s_waitcnt lgkmcnt(1)
	v_lshlrev_b64 v[5:6], 3, v[5:6]
	v_add_co_u32_e32 v5, vcc, s42, v5
	v_addc_co_u32_e32 v6, vcc, v9, v6, vcc
	v_lshlrev_b32_e32 v9, 3, v25
	v_add_co_u32_e32 v5, vcc, v5, v9
	v_addc_co_u32_e32 v6, vcc, 0, v6, vcc
	s_waitcnt lgkmcnt(0)
	global_store_dwordx2 v[5:6], v[7:8], off
	s_or_b64 exec, exec, s[0:1]
	s_and_saveexec_b64 s[0:1], s[18:19]
	s_cbranch_execnz .LBB15_84
.LBB15_89:
	s_or_b64 exec, exec, s[0:1]
	s_and_saveexec_b64 s[0:1], s[20:21]
	s_cbranch_execz .LBB15_85
.LBB15_90:
	v_lshlrev_b32_e32 v5, 3, v18
	ds_read_b64 v[5:6], v5
	ds_read_b64 v[7:8], v21 offset:14336
	v_mov_b32_e32 v9, s43
	s_waitcnt lgkmcnt(1)
	v_lshlrev_b64 v[5:6], 3, v[5:6]
	v_add_co_u32_e32 v5, vcc, s42, v5
	v_addc_co_u32_e32 v6, vcc, v9, v6, vcc
	v_lshlrev_b32_e32 v9, 3, v30
	v_add_co_u32_e32 v5, vcc, v5, v9
	v_addc_co_u32_e32 v6, vcc, 0, v6, vcc
	s_waitcnt lgkmcnt(0)
	global_store_dwordx2 v[5:6], v[7:8], off
	s_or_b64 exec, exec, s[0:1]
	s_and_saveexec_b64 s[0:1], s[22:23]
	s_cbranch_execnz .LBB15_86
.LBB15_91:
	s_or_b64 exec, exec, s[0:1]
	s_and_saveexec_b64 s[0:1], s[24:25]
	s_cbranch_execz .LBB15_93
.LBB15_92:
	v_lshlrev_b32_e32 v5, 3, v17
	ds_read_b64 v[5:6], v5
	ds_read_b64 v[7:8], v21 offset:22528
	v_mov_b32_e32 v9, s43
	s_waitcnt lgkmcnt(1)
	v_lshlrev_b64 v[5:6], 3, v[5:6]
	v_add_co_u32_e32 v5, vcc, s42, v5
	v_addc_co_u32_e32 v6, vcc, v9, v6, vcc
	v_lshlrev_b32_e32 v9, 3, v32
	v_add_co_u32_e32 v5, vcc, v5, v9
	v_addc_co_u32_e32 v6, vcc, 0, v6, vcc
	s_waitcnt lgkmcnt(0)
	global_store_dwordx2 v[5:6], v[7:8], off
.LBB15_93:
	s_or_b64 exec, exec, s[0:1]
	s_add_i32 s7, s7, -1
	s_cmp_eq_u32 s6, s7
	s_cselect_b64 s[0:1], -1, 0
	s_xor_b64 s[2:3], s[12:13], -1
	s_and_b64 s[2:3], s[2:3], s[0:1]
	s_and_saveexec_b64 s[0:1], s[2:3]
	s_cbranch_execz .LBB15_95
; %bb.94:
	ds_read_b64 v[5:6], v21
	v_add_co_u32_e32 v3, vcc, v3, v20
	v_addc_co_u32_e32 v4, vcc, 0, v4, vcc
	s_waitcnt lgkmcnt(0)
	v_add_co_u32_e32 v3, vcc, v3, v5
	v_addc_co_u32_e32 v4, vcc, v4, v6, vcc
	global_store_dwordx2 v21, v[3:4], s[46:47]
.LBB15_95:
	s_or_b64 exec, exec, s[0:1]
	s_mov_b64 s[0:1], 0
.LBB15_96:
	s_and_b64 vcc, exec, s[0:1]
	s_cbranch_vccz .LBB15_131
; %bb.97:
	s_add_u32 s0, s36, s30
	s_addc_u32 s1, s37, 0
	v_mbcnt_hi_u32_b32 v10, -1, v19
	v_and_b32_e32 v7, 0x1c0, v0
	v_mov_b32_e32 v3, s1
	v_add_co_u32_e32 v4, vcc, s0, v10
	v_mul_u32_u24_e32 v9, 6, v7
	v_addc_co_u32_e32 v3, vcc, 0, v3, vcc
	v_add_co_u32_e32 v4, vcc, v4, v9
	v_addc_co_u32_e32 v5, vcc, 0, v3, vcc
	global_load_ubyte v8, v[4:5], off
	s_load_dword s0, s[4:5], 0x5c
	s_load_dword s7, s[4:5], 0x50
	s_add_u32 s1, s4, 0x50
	s_addc_u32 s2, s5, 0
	v_mov_b32_e32 v3, 0
	s_waitcnt lgkmcnt(0)
	s_lshr_b32 s3, s0, 16
	s_cmp_lt_u32 s6, s7
	s_cselect_b32 s0, 12, 18
	s_add_u32 s0, s1, s0
	s_addc_u32 s1, s2, 0
	global_load_ushort v12, v3, s[0:1]
	v_mul_u32_u24_e32 v6, 20, v0
	ds_write2_b32 v6, v3, v3 offset0:8 offset1:9
	ds_write2_b32 v6, v3, v3 offset0:10 offset1:11
	ds_write_b32 v6, v3 offset:48
	global_load_ubyte v11, v[4:5], off offset:64
	global_load_ubyte v15, v[4:5], off offset:128
	;; [unrolled: 1-line block ×5, first 2 shown]
	s_lshl_b32 s0, -1, s49
	v_mad_u32_u24 v1, v2, s3, v1
	s_not_b32 s12, s0
	s_mov_b32 s31, 0
	s_waitcnt vmcnt(0) lgkmcnt(0)
	s_barrier
	; wave barrier
	v_xor_b32_e32 v5, 0xff, v8
	v_lshrrev_b32_e32 v2, s48, v5
	v_and_b32_e32 v8, s12, v2
	v_and_b32_e32 v2, 1, v8
	v_add_co_u32_e32 v14, vcc, -1, v2
	v_lshlrev_b32_e32 v4, 30, v8
	v_addc_co_u32_e64 v16, s[0:1], 0, -1, vcc
	v_cmp_ne_u32_e32 vcc, 0, v2
	v_cmp_gt_i64_e64 s[0:1], 0, v[3:4]
	v_not_b32_e32 v18, v4
	v_lshlrev_b32_e32 v4, 29, v8
	v_mad_u64_u32 v[1:2], s[2:3], v1, v12, v[0:1]
	v_xor_b32_e32 v2, vcc_hi, v16
	v_xor_b32_e32 v12, vcc_lo, v14
	v_ashrrev_i32_e32 v14, 31, v18
	v_cmp_gt_i64_e32 vcc, 0, v[3:4]
	v_not_b32_e32 v16, v4
	v_lshlrev_b32_e32 v4, 28, v8
	v_and_b32_e32 v2, exec_hi, v2
	v_and_b32_e32 v12, exec_lo, v12
	v_xor_b32_e32 v18, s1, v14
	v_xor_b32_e32 v14, s0, v14
	v_ashrrev_i32_e32 v16, 31, v16
	v_cmp_gt_i64_e64 s[0:1], 0, v[3:4]
	v_not_b32_e32 v19, v4
	v_lshlrev_b32_e32 v4, 27, v8
	v_and_b32_e32 v2, v2, v18
	v_and_b32_e32 v12, v12, v14
	v_xor_b32_e32 v14, vcc_hi, v16
	v_xor_b32_e32 v16, vcc_lo, v16
	v_ashrrev_i32_e32 v18, 31, v19
	v_cmp_gt_i64_e32 vcc, 0, v[3:4]
	v_not_b32_e32 v19, v4
	v_lshlrev_b32_e32 v4, 26, v8
	v_and_b32_e32 v2, v2, v14
	v_and_b32_e32 v12, v12, v16
	v_xor_b32_e32 v14, s1, v18
	v_xor_b32_e32 v16, s0, v18
	v_ashrrev_i32_e32 v18, 31, v19
	v_cmp_gt_i64_e64 s[0:1], 0, v[3:4]
	v_not_b32_e32 v4, v4
	v_lshrrev_b32_e32 v1, 4, v1
	v_and_b32_e32 v2, v2, v14
	v_and_b32_e32 v12, v12, v16
	v_xor_b32_e32 v14, vcc_hi, v18
	v_xor_b32_e32 v16, vcc_lo, v18
	v_ashrrev_i32_e32 v4, 31, v4
	v_and_b32_e32 v18, 0xffffffc, v1
	v_and_b32_e32 v1, v2, v14
	;; [unrolled: 1-line block ×3, first 2 shown]
	v_xor_b32_e32 v12, s1, v4
	v_xor_b32_e32 v4, s0, v4
	v_and_b32_e32 v2, v2, v4
	v_lshlrev_b32_e32 v4, 25, v8
	v_cmp_gt_i64_e32 vcc, 0, v[3:4]
	v_not_b32_e32 v4, v4
	v_ashrrev_i32_e32 v4, 31, v4
	v_and_b32_e32 v1, v1, v12
	v_xor_b32_e32 v12, vcc_hi, v4
	v_xor_b32_e32 v4, vcc_lo, v4
	v_and_b32_e32 v1, v1, v12
	v_and_b32_e32 v12, v2, v4
	v_lshlrev_b32_e32 v4, 24, v8
	v_cmp_gt_i64_e32 vcc, 0, v[3:4]
	v_not_b32_e32 v2, v4
	v_ashrrev_i32_e32 v2, 31, v2
	v_mul_u32_u24_e32 v13, 36, v8
	v_xor_b32_e32 v4, vcc_hi, v2
	v_xor_b32_e32 v8, vcc_lo, v2
	v_and_b32_e32 v2, v1, v4
	v_and_b32_e32 v1, v12, v8
	v_mbcnt_lo_u32_b32 v4, v1, 0
	v_mbcnt_hi_u32_b32 v8, v2, v4
	v_cmp_ne_u64_e32 vcc, 0, v[1:2]
	v_cmp_eq_u32_e64 s[0:1], 0, v8
	s_and_b64 s[2:3], vcc, s[0:1]
	v_add_u32_e32 v13, v18, v13
	s_and_saveexec_b64 s[0:1], s[2:3]
; %bb.98:
	v_bcnt_u32_b32 v1, v1, 0
	v_bcnt_u32_b32 v1, v2, v1
	ds_write_b32 v13, v1 offset:32
; %bb.99:
	s_or_b64 exec, exec, s[0:1]
	v_xor_b32_e32 v11, -1, v11
	v_lshrrev_b32_sdwa v1, s48, v11 dst_sel:DWORD dst_unused:UNUSED_PAD src0_sel:DWORD src1_sel:BYTE_0
	v_and_b32_e32 v1, s12, v1
	v_mad_u32_u24 v2, v1, 36, v18
	; wave barrier
	ds_read_b32 v12, v2 offset:32
	v_and_b32_e32 v2, 1, v1
	v_add_co_u32_e32 v4, vcc, -1, v2
	v_addc_co_u32_e64 v14, s[0:1], 0, -1, vcc
	v_cmp_ne_u32_e32 vcc, 0, v2
	v_xor_b32_e32 v4, vcc_lo, v4
	v_xor_b32_e32 v2, vcc_hi, v14
	v_and_b32_e32 v14, exec_lo, v4
	v_lshlrev_b32_e32 v4, 30, v1
	v_cmp_gt_i64_e32 vcc, 0, v[3:4]
	v_not_b32_e32 v4, v4
	v_ashrrev_i32_e32 v4, 31, v4
	v_xor_b32_e32 v19, vcc_hi, v4
	v_xor_b32_e32 v4, vcc_lo, v4
	v_and_b32_e32 v14, v14, v4
	v_lshlrev_b32_e32 v4, 29, v1
	v_cmp_gt_i64_e32 vcc, 0, v[3:4]
	v_not_b32_e32 v4, v4
	v_and_b32_e32 v2, exec_hi, v2
	v_ashrrev_i32_e32 v4, 31, v4
	v_and_b32_e32 v2, v2, v19
	v_xor_b32_e32 v19, vcc_hi, v4
	v_xor_b32_e32 v4, vcc_lo, v4
	v_and_b32_e32 v14, v14, v4
	v_lshlrev_b32_e32 v4, 28, v1
	v_cmp_gt_i64_e32 vcc, 0, v[3:4]
	v_not_b32_e32 v4, v4
	v_ashrrev_i32_e32 v4, 31, v4
	v_and_b32_e32 v2, v2, v19
	v_xor_b32_e32 v19, vcc_hi, v4
	v_xor_b32_e32 v4, vcc_lo, v4
	v_and_b32_e32 v14, v14, v4
	v_lshlrev_b32_e32 v4, 27, v1
	v_cmp_gt_i64_e32 vcc, 0, v[3:4]
	v_not_b32_e32 v4, v4
	;; [unrolled: 8-line block ×4, first 2 shown]
	v_ashrrev_i32_e32 v4, 31, v4
	v_and_b32_e32 v2, v2, v19
	v_xor_b32_e32 v19, vcc_hi, v4
	v_xor_b32_e32 v4, vcc_lo, v4
	v_and_b32_e32 v14, v14, v4
	v_lshlrev_b32_e32 v4, 24, v1
	v_mul_u32_u24_e32 v16, 36, v1
	v_cmp_gt_i64_e32 vcc, 0, v[3:4]
	v_not_b32_e32 v1, v4
	v_ashrrev_i32_e32 v1, 31, v1
	v_xor_b32_e32 v3, vcc_hi, v1
	v_xor_b32_e32 v1, vcc_lo, v1
	v_and_b32_e32 v2, v2, v19
	v_and_b32_e32 v1, v14, v1
	v_and_b32_e32 v2, v2, v3
	v_mbcnt_lo_u32_b32 v3, v1, 0
	v_mbcnt_hi_u32_b32 v14, v2, v3
	v_cmp_ne_u64_e32 vcc, 0, v[1:2]
	v_cmp_eq_u32_e64 s[0:1], 0, v14
	s_and_b64 s[2:3], vcc, s[0:1]
	v_add_u32_e32 v19, v18, v16
	; wave barrier
	s_and_saveexec_b64 s[0:1], s[2:3]
	s_cbranch_execz .LBB15_101
; %bb.100:
	v_bcnt_u32_b32 v1, v1, 0
	v_bcnt_u32_b32 v1, v2, v1
	s_waitcnt lgkmcnt(0)
	v_add_u32_e32 v1, v12, v1
	ds_write_b32 v19, v1 offset:32
.LBB15_101:
	s_or_b64 exec, exec, s[0:1]
	v_xor_b32_e32 v15, -1, v15
	v_lshrrev_b32_sdwa v1, s48, v15 dst_sel:DWORD dst_unused:UNUSED_PAD src0_sel:DWORD src1_sel:BYTE_0
	v_and_b32_e32 v3, s12, v1
	v_and_b32_e32 v2, 1, v3
	v_add_co_u32_e32 v20, vcc, -1, v2
	v_addc_co_u32_e64 v22, s[0:1], 0, -1, vcc
	v_cmp_ne_u32_e32 vcc, 0, v2
	v_mad_u32_u24 v1, v3, 36, v18
	v_xor_b32_e32 v2, vcc_hi, v22
	; wave barrier
	ds_read_b32 v16, v1 offset:32
	v_mov_b32_e32 v1, 0
	v_and_b32_e32 v22, exec_hi, v2
	v_lshlrev_b32_e32 v2, 30, v3
	v_xor_b32_e32 v20, vcc_lo, v20
	v_cmp_gt_i64_e32 vcc, 0, v[1:2]
	v_not_b32_e32 v2, v2
	v_ashrrev_i32_e32 v2, 31, v2
	v_and_b32_e32 v20, exec_lo, v20
	v_xor_b32_e32 v24, vcc_hi, v2
	v_xor_b32_e32 v2, vcc_lo, v2
	v_and_b32_e32 v20, v20, v2
	v_lshlrev_b32_e32 v2, 29, v3
	v_cmp_gt_i64_e32 vcc, 0, v[1:2]
	v_not_b32_e32 v2, v2
	v_ashrrev_i32_e32 v2, 31, v2
	v_and_b32_e32 v22, v22, v24
	v_xor_b32_e32 v24, vcc_hi, v2
	v_xor_b32_e32 v2, vcc_lo, v2
	v_and_b32_e32 v20, v20, v2
	v_lshlrev_b32_e32 v2, 28, v3
	v_cmp_gt_i64_e32 vcc, 0, v[1:2]
	v_not_b32_e32 v2, v2
	v_ashrrev_i32_e32 v2, 31, v2
	v_and_b32_e32 v22, v22, v24
	;; [unrolled: 8-line block ×5, first 2 shown]
	v_xor_b32_e32 v24, vcc_hi, v2
	v_xor_b32_e32 v2, vcc_lo, v2
	v_and_b32_e32 v20, v20, v2
	v_lshlrev_b32_e32 v2, 24, v3
	v_cmp_gt_i64_e32 vcc, 0, v[1:2]
	v_not_b32_e32 v2, v2
	v_ashrrev_i32_e32 v2, 31, v2
	v_mul_u32_u24_e32 v4, 36, v3
	v_xor_b32_e32 v3, vcc_hi, v2
	v_xor_b32_e32 v2, vcc_lo, v2
	v_and_b32_e32 v22, v22, v24
	v_and_b32_e32 v2, v20, v2
	v_and_b32_e32 v3, v22, v3
	v_mbcnt_lo_u32_b32 v20, v2, 0
	v_mbcnt_hi_u32_b32 v20, v3, v20
	v_cmp_ne_u64_e32 vcc, 0, v[2:3]
	v_cmp_eq_u32_e64 s[0:1], 0, v20
	s_and_b64 s[2:3], vcc, s[0:1]
	v_add_u32_e32 v24, v18, v4
	; wave barrier
	s_and_saveexec_b64 s[0:1], s[2:3]
	s_cbranch_execz .LBB15_103
; %bb.102:
	v_bcnt_u32_b32 v2, v2, 0
	v_bcnt_u32_b32 v2, v3, v2
	s_waitcnt lgkmcnt(0)
	v_add_u32_e32 v2, v16, v2
	ds_write_b32 v24, v2 offset:32
.LBB15_103:
	s_or_b64 exec, exec, s[0:1]
	v_xor_b32_e32 v21, -1, v21
	v_lshrrev_b32_sdwa v2, s48, v21 dst_sel:DWORD dst_unused:UNUSED_PAD src0_sel:DWORD src1_sel:BYTE_0
	v_and_b32_e32 v3, s12, v2
	v_mad_u32_u24 v2, v3, 36, v18
	; wave barrier
	ds_read_b32 v22, v2 offset:32
	v_and_b32_e32 v2, 1, v3
	v_add_co_u32_e32 v25, vcc, -1, v2
	v_addc_co_u32_e64 v26, s[0:1], 0, -1, vcc
	v_cmp_ne_u32_e32 vcc, 0, v2
	v_xor_b32_e32 v2, vcc_hi, v26
	v_and_b32_e32 v26, exec_hi, v2
	v_lshlrev_b32_e32 v2, 30, v3
	v_xor_b32_e32 v25, vcc_lo, v25
	v_cmp_gt_i64_e32 vcc, 0, v[1:2]
	v_not_b32_e32 v2, v2
	v_ashrrev_i32_e32 v2, 31, v2
	v_and_b32_e32 v25, exec_lo, v25
	v_xor_b32_e32 v27, vcc_hi, v2
	v_xor_b32_e32 v2, vcc_lo, v2
	v_and_b32_e32 v25, v25, v2
	v_lshlrev_b32_e32 v2, 29, v3
	v_cmp_gt_i64_e32 vcc, 0, v[1:2]
	v_not_b32_e32 v2, v2
	v_ashrrev_i32_e32 v2, 31, v2
	v_and_b32_e32 v26, v26, v27
	v_xor_b32_e32 v27, vcc_hi, v2
	v_xor_b32_e32 v2, vcc_lo, v2
	v_and_b32_e32 v25, v25, v2
	v_lshlrev_b32_e32 v2, 28, v3
	v_cmp_gt_i64_e32 vcc, 0, v[1:2]
	v_not_b32_e32 v2, v2
	v_ashrrev_i32_e32 v2, 31, v2
	v_and_b32_e32 v26, v26, v27
	;; [unrolled: 8-line block ×5, first 2 shown]
	v_xor_b32_e32 v27, vcc_hi, v2
	v_xor_b32_e32 v2, vcc_lo, v2
	v_and_b32_e32 v25, v25, v2
	v_lshlrev_b32_e32 v2, 24, v3
	v_cmp_gt_i64_e32 vcc, 0, v[1:2]
	v_not_b32_e32 v1, v2
	v_ashrrev_i32_e32 v1, 31, v1
	v_xor_b32_e32 v2, vcc_hi, v1
	v_xor_b32_e32 v1, vcc_lo, v1
	v_and_b32_e32 v26, v26, v27
	v_and_b32_e32 v1, v25, v1
	v_mul_u32_u24_e32 v4, 36, v3
	v_and_b32_e32 v2, v26, v2
	v_mbcnt_lo_u32_b32 v3, v1, 0
	v_mbcnt_hi_u32_b32 v25, v2, v3
	v_cmp_ne_u64_e32 vcc, 0, v[1:2]
	v_cmp_eq_u32_e64 s[0:1], 0, v25
	s_and_b64 s[2:3], vcc, s[0:1]
	v_add_u32_e32 v27, v18, v4
	; wave barrier
	s_and_saveexec_b64 s[0:1], s[2:3]
	s_cbranch_execz .LBB15_105
; %bb.104:
	v_bcnt_u32_b32 v1, v1, 0
	v_bcnt_u32_b32 v1, v2, v1
	s_waitcnt lgkmcnt(0)
	v_add_u32_e32 v1, v22, v1
	ds_write_b32 v27, v1 offset:32
.LBB15_105:
	s_or_b64 exec, exec, s[0:1]
	v_xor_b32_e32 v23, -1, v23
	v_lshrrev_b32_sdwa v1, s48, v23 dst_sel:DWORD dst_unused:UNUSED_PAD src0_sel:DWORD src1_sel:BYTE_0
	v_and_b32_e32 v3, s12, v1
	v_and_b32_e32 v2, 1, v3
	v_add_co_u32_e32 v28, vcc, -1, v2
	v_addc_co_u32_e64 v29, s[0:1], 0, -1, vcc
	v_cmp_ne_u32_e32 vcc, 0, v2
	v_mad_u32_u24 v1, v3, 36, v18
	v_xor_b32_e32 v2, vcc_hi, v29
	; wave barrier
	ds_read_b32 v26, v1 offset:32
	v_mov_b32_e32 v1, 0
	v_and_b32_e32 v29, exec_hi, v2
	v_lshlrev_b32_e32 v2, 30, v3
	v_xor_b32_e32 v28, vcc_lo, v28
	v_cmp_gt_i64_e32 vcc, 0, v[1:2]
	v_not_b32_e32 v2, v2
	v_ashrrev_i32_e32 v2, 31, v2
	v_and_b32_e32 v28, exec_lo, v28
	v_xor_b32_e32 v30, vcc_hi, v2
	v_xor_b32_e32 v2, vcc_lo, v2
	v_and_b32_e32 v28, v28, v2
	v_lshlrev_b32_e32 v2, 29, v3
	v_cmp_gt_i64_e32 vcc, 0, v[1:2]
	v_not_b32_e32 v2, v2
	v_ashrrev_i32_e32 v2, 31, v2
	v_and_b32_e32 v29, v29, v30
	v_xor_b32_e32 v30, vcc_hi, v2
	v_xor_b32_e32 v2, vcc_lo, v2
	v_and_b32_e32 v28, v28, v2
	v_lshlrev_b32_e32 v2, 28, v3
	v_cmp_gt_i64_e32 vcc, 0, v[1:2]
	v_not_b32_e32 v2, v2
	v_ashrrev_i32_e32 v2, 31, v2
	v_and_b32_e32 v29, v29, v30
	;; [unrolled: 8-line block ×5, first 2 shown]
	v_xor_b32_e32 v30, vcc_hi, v2
	v_xor_b32_e32 v2, vcc_lo, v2
	v_and_b32_e32 v28, v28, v2
	v_lshlrev_b32_e32 v2, 24, v3
	v_cmp_gt_i64_e32 vcc, 0, v[1:2]
	v_not_b32_e32 v2, v2
	v_ashrrev_i32_e32 v2, 31, v2
	v_mul_u32_u24_e32 v4, 36, v3
	v_xor_b32_e32 v3, vcc_hi, v2
	v_xor_b32_e32 v2, vcc_lo, v2
	v_and_b32_e32 v29, v29, v30
	v_and_b32_e32 v2, v28, v2
	;; [unrolled: 1-line block ×3, first 2 shown]
	v_mbcnt_lo_u32_b32 v28, v2, 0
	v_mbcnt_hi_u32_b32 v28, v3, v28
	v_cmp_ne_u64_e32 vcc, 0, v[2:3]
	v_cmp_eq_u32_e64 s[0:1], 0, v28
	s_and_b64 s[2:3], vcc, s[0:1]
	v_add_u32_e32 v31, v18, v4
	; wave barrier
	s_and_saveexec_b64 s[0:1], s[2:3]
	s_cbranch_execz .LBB15_107
; %bb.106:
	v_bcnt_u32_b32 v2, v2, 0
	v_bcnt_u32_b32 v2, v3, v2
	s_waitcnt lgkmcnt(0)
	v_add_u32_e32 v2, v26, v2
	ds_write_b32 v31, v2 offset:32
.LBB15_107:
	s_or_b64 exec, exec, s[0:1]
	v_xor_b32_e32 v29, -1, v17
	v_lshrrev_b32_sdwa v2, s48, v29 dst_sel:DWORD dst_unused:UNUSED_PAD src0_sel:DWORD src1_sel:BYTE_0
	v_and_b32_e32 v3, s12, v2
	v_mad_u32_u24 v2, v3, 36, v18
	; wave barrier
	ds_read_b32 v30, v2 offset:32
	v_and_b32_e32 v2, 1, v3
	v_add_co_u32_e32 v17, vcc, -1, v2
	v_addc_co_u32_e64 v32, s[0:1], 0, -1, vcc
	v_cmp_ne_u32_e32 vcc, 0, v2
	v_xor_b32_e32 v2, vcc_hi, v32
	v_and_b32_e32 v32, exec_hi, v2
	v_lshlrev_b32_e32 v2, 30, v3
	v_xor_b32_e32 v17, vcc_lo, v17
	v_cmp_gt_i64_e32 vcc, 0, v[1:2]
	v_not_b32_e32 v2, v2
	v_ashrrev_i32_e32 v2, 31, v2
	v_and_b32_e32 v17, exec_lo, v17
	v_xor_b32_e32 v33, vcc_hi, v2
	v_xor_b32_e32 v2, vcc_lo, v2
	v_and_b32_e32 v17, v17, v2
	v_lshlrev_b32_e32 v2, 29, v3
	v_cmp_gt_i64_e32 vcc, 0, v[1:2]
	v_not_b32_e32 v2, v2
	v_ashrrev_i32_e32 v2, 31, v2
	v_and_b32_e32 v32, v32, v33
	v_xor_b32_e32 v33, vcc_hi, v2
	v_xor_b32_e32 v2, vcc_lo, v2
	v_and_b32_e32 v17, v17, v2
	v_lshlrev_b32_e32 v2, 28, v3
	v_cmp_gt_i64_e32 vcc, 0, v[1:2]
	v_not_b32_e32 v2, v2
	v_ashrrev_i32_e32 v2, 31, v2
	v_and_b32_e32 v32, v32, v33
	;; [unrolled: 8-line block ×5, first 2 shown]
	v_xor_b32_e32 v33, vcc_hi, v2
	v_xor_b32_e32 v2, vcc_lo, v2
	v_and_b32_e32 v17, v17, v2
	v_lshlrev_b32_e32 v2, 24, v3
	v_cmp_gt_i64_e32 vcc, 0, v[1:2]
	v_not_b32_e32 v1, v2
	v_ashrrev_i32_e32 v1, 31, v1
	v_xor_b32_e32 v2, vcc_hi, v1
	v_xor_b32_e32 v1, vcc_lo, v1
	v_and_b32_e32 v32, v32, v33
	v_and_b32_e32 v1, v17, v1
	v_mul_u32_u24_e32 v4, 36, v3
	v_and_b32_e32 v2, v32, v2
	v_mbcnt_lo_u32_b32 v3, v1, 0
	v_mbcnt_hi_u32_b32 v32, v2, v3
	v_cmp_ne_u64_e32 vcc, 0, v[1:2]
	v_cmp_eq_u32_e64 s[0:1], 0, v32
	s_and_b64 s[2:3], vcc, s[0:1]
	v_add_u32_e32 v17, v18, v4
	; wave barrier
	s_and_saveexec_b64 s[0:1], s[2:3]
	s_cbranch_execz .LBB15_109
; %bb.108:
	v_bcnt_u32_b32 v1, v1, 0
	v_bcnt_u32_b32 v1, v2, v1
	s_waitcnt lgkmcnt(0)
	v_add_u32_e32 v1, v30, v1
	ds_write_b32 v17, v1 offset:32
.LBB15_109:
	s_or_b64 exec, exec, s[0:1]
	; wave barrier
	s_waitcnt lgkmcnt(0)
	s_barrier
	ds_read2_b32 v[3:4], v6 offset0:8 offset1:9
	ds_read2_b32 v[1:2], v6 offset0:10 offset1:11
	ds_read_b32 v18, v6 offset:48
	v_min_u32_e32 v7, 0x1c0, v7
	v_or_b32_e32 v7, 63, v7
	s_waitcnt lgkmcnt(1)
	v_add3_u32 v33, v4, v3, v1
	s_waitcnt lgkmcnt(0)
	v_add3_u32 v18, v33, v2, v18
	v_and_b32_e32 v33, 15, v10
	v_cmp_ne_u32_e32 vcc, 0, v33
	v_mov_b32_dpp v34, v18 row_shr:1 row_mask:0xf bank_mask:0xf
	v_cndmask_b32_e32 v34, 0, v34, vcc
	v_add_u32_e32 v18, v34, v18
	v_cmp_lt_u32_e32 vcc, 1, v33
	s_nop 0
	v_mov_b32_dpp v34, v18 row_shr:2 row_mask:0xf bank_mask:0xf
	v_cndmask_b32_e32 v34, 0, v34, vcc
	v_add_u32_e32 v18, v18, v34
	v_cmp_lt_u32_e32 vcc, 3, v33
	s_nop 0
	;; [unrolled: 5-line block ×3, first 2 shown]
	v_mov_b32_dpp v34, v18 row_shr:8 row_mask:0xf bank_mask:0xf
	v_cndmask_b32_e32 v33, 0, v34, vcc
	v_add_u32_e32 v18, v18, v33
	v_bfe_i32 v34, v10, 4, 1
	v_cmp_lt_u32_e32 vcc, 31, v10
	v_mov_b32_dpp v33, v18 row_bcast:15 row_mask:0xf bank_mask:0xf
	v_and_b32_e32 v33, v34, v33
	v_add_u32_e32 v18, v18, v33
	s_nop 1
	v_mov_b32_dpp v33, v18 row_bcast:31 row_mask:0xf bank_mask:0xf
	v_cndmask_b32_e32 v33, 0, v33, vcc
	v_add_u32_e32 v18, v18, v33
	v_lshrrev_b32_e32 v33, 6, v0
	v_cmp_eq_u32_e32 vcc, v0, v7
	s_and_saveexec_b64 s[0:1], vcc
; %bb.110:
	v_lshlrev_b32_e32 v7, 2, v33
	ds_write_b32 v7, v18
; %bb.111:
	s_or_b64 exec, exec, s[0:1]
	v_cmp_gt_u32_e32 vcc, 8, v0
	s_waitcnt lgkmcnt(0)
	s_barrier
	s_and_saveexec_b64 s[0:1], vcc
	s_cbranch_execz .LBB15_113
; %bb.112:
	v_lshlrev_b32_e32 v7, 2, v0
	ds_read_b32 v34, v7
	v_and_b32_e32 v35, 7, v10
	v_cmp_ne_u32_e32 vcc, 0, v35
	s_waitcnt lgkmcnt(0)
	v_mov_b32_dpp v36, v34 row_shr:1 row_mask:0xf bank_mask:0xf
	v_cndmask_b32_e32 v36, 0, v36, vcc
	v_add_u32_e32 v34, v36, v34
	v_cmp_lt_u32_e32 vcc, 1, v35
	s_nop 0
	v_mov_b32_dpp v36, v34 row_shr:2 row_mask:0xf bank_mask:0xf
	v_cndmask_b32_e32 v36, 0, v36, vcc
	v_add_u32_e32 v34, v34, v36
	v_cmp_lt_u32_e32 vcc, 3, v35
	s_nop 0
	v_mov_b32_dpp v36, v34 row_shr:4 row_mask:0xf bank_mask:0xf
	v_cndmask_b32_e32 v35, 0, v36, vcc
	v_add_u32_e32 v34, v34, v35
	ds_write_b32 v7, v34
.LBB15_113:
	s_or_b64 exec, exec, s[0:1]
	v_cmp_lt_u32_e32 vcc, 63, v0
	v_mov_b32_e32 v7, 0
	s_waitcnt lgkmcnt(0)
	s_barrier
	s_and_saveexec_b64 s[0:1], vcc
; %bb.114:
	v_lshl_add_u32 v7, v33, 2, -4
	ds_read_b32 v7, v7
; %bb.115:
	s_or_b64 exec, exec, s[0:1]
	v_add_u32_e32 v33, -1, v10
	v_and_b32_e32 v34, 64, v10
	v_cmp_lt_i32_e32 vcc, v33, v34
	v_cndmask_b32_e32 v33, v33, v10, vcc
	s_waitcnt lgkmcnt(0)
	v_add_u32_e32 v18, v7, v18
	v_lshlrev_b32_e32 v33, 2, v33
	ds_bpermute_b32 v18, v33, v18
	v_cmp_eq_u32_e32 vcc, 0, v10
	s_movk_i32 s0, 0xff
	s_movk_i32 s2, 0x100
	s_waitcnt lgkmcnt(0)
	v_cndmask_b32_e32 v7, v18, v7, vcc
	v_cmp_ne_u32_e32 vcc, 0, v0
	v_cndmask_b32_e32 v7, 0, v7, vcc
	v_add_u32_e32 v3, v7, v3
	v_add_u32_e32 v4, v3, v4
	;; [unrolled: 1-line block ×4, first 2 shown]
	ds_write2_b32 v6, v7, v3 offset0:8 offset1:9
	ds_write2_b32 v6, v4, v1 offset0:10 offset1:11
	ds_write_b32 v6, v2 offset:48
	s_waitcnt lgkmcnt(0)
	s_barrier
	ds_read_b32 v3, v13 offset:32
	ds_read_b32 v4, v19 offset:32
	;; [unrolled: 1-line block ×6, first 2 shown]
	v_mov_b32_e32 v1, 0
	v_cmp_lt_u32_e32 vcc, s0, v0
	v_mov_b32_e32 v2, 0
	v_cmp_gt_u32_e64 s[0:1], s2, v0
                                        ; implicit-def: $vgpr13
	s_and_saveexec_b64 s[4:5], s[0:1]
	s_cbranch_execz .LBB15_119
; %bb.116:
	v_mul_u32_u24_e32 v1, 36, v0
	ds_read_b32 v1, v1 offset:32
	v_add_u32_e32 v13, 1, v0
	v_cmp_ne_u32_e64 s[2:3], s2, v13
	v_mov_b32_e32 v2, 0xc00
	s_and_saveexec_b64 s[8:9], s[2:3]
; %bb.117:
	v_mul_u32_u24_e32 v2, 36, v13
	ds_read_b32 v2, v2 offset:32
; %bb.118:
	s_or_b64 exec, exec, s[8:9]
	s_waitcnt lgkmcnt(0)
	v_sub_u32_e32 v13, v2, v1
	v_mov_b32_e32 v2, 0
.LBB15_119:
	s_or_b64 exec, exec, s[4:5]
	s_waitcnt lgkmcnt(5)
	v_add_u32_e32 v19, v3, v8
	s_waitcnt lgkmcnt(4)
	v_add3_u32 v18, v14, v12, v4
	s_waitcnt lgkmcnt(3)
	v_add3_u32 v17, v20, v16, v6
	;; [unrolled: 2-line block ×5, first 2 shown]
	s_barrier
	ds_write_b8 v19, v5 offset:2048
	ds_write_b8 v18, v11 offset:2048
	;; [unrolled: 1-line block ×6, first 2 shown]
	v_mov_b32_e32 v4, 0
	v_lshlrev_b32_e32 v11, 3, v0
	s_waitcnt lgkmcnt(0)
	s_barrier
	s_and_saveexec_b64 s[2:3], s[0:1]
	s_cbranch_execz .LBB15_129
; %bb.120:
	v_lshl_add_u32 v3, s6, 8, v0
	v_lshlrev_b64 v[5:6], 2, v[3:4]
	v_mov_b32_e32 v15, s35
	v_add_co_u32_e64 v5, s[0:1], s34, v5
	v_addc_co_u32_e64 v6, s[0:1], v15, v6, s[0:1]
	v_or_b32_e32 v3, 2.0, v13
	s_mov_b64 s[4:5], 0
	s_brev_b32 s13, -4
	s_mov_b32 s14, s6
	v_mov_b32_e32 v20, 0
	global_store_dword v[5:6], v3, off
                                        ; implicit-def: $sgpr0_sgpr1
	s_branch .LBB15_123
.LBB15_121:                             ;   in Loop: Header=BB15_123 Depth=1
	s_or_b64 exec, exec, s[10:11]
.LBB15_122:                             ;   in Loop: Header=BB15_123 Depth=1
	s_or_b64 exec, exec, s[8:9]
	v_and_b32_e32 v7, 0x3fffffff, v3
	v_add_u32_e32 v20, v7, v20
	v_cmp_gt_i32_e64 s[0:1], -2.0, v3
	s_and_b64 s[8:9], exec, s[0:1]
	s_or_b64 s[4:5], s[8:9], s[4:5]
	s_andn2_b64 exec, exec, s[4:5]
	s_cbranch_execz .LBB15_128
.LBB15_123:                             ; =>This Loop Header: Depth=1
                                        ;     Child Loop BB15_126 Depth 2
	s_or_b64 s[0:1], s[0:1], exec
	s_cmp_eq_u32 s14, 0
	s_cbranch_scc1 .LBB15_127
; %bb.124:                              ;   in Loop: Header=BB15_123 Depth=1
	s_add_i32 s14, s14, -1
	v_lshl_or_b32 v3, s14, 8, v0
	v_lshlrev_b64 v[7:8], 2, v[3:4]
	v_add_co_u32_e64 v7, s[0:1], s34, v7
	v_addc_co_u32_e64 v8, s[0:1], v15, v8, s[0:1]
	global_load_dword v3, v[7:8], off glc
	s_waitcnt vmcnt(0)
	v_cmp_gt_u32_e64 s[0:1], 2.0, v3
	s_and_saveexec_b64 s[8:9], s[0:1]
	s_cbranch_execz .LBB15_122
; %bb.125:                              ;   in Loop: Header=BB15_123 Depth=1
	s_mov_b64 s[10:11], 0
.LBB15_126:                             ;   Parent Loop BB15_123 Depth=1
                                        ; =>  This Inner Loop Header: Depth=2
	global_load_dword v3, v[7:8], off glc
	s_waitcnt vmcnt(0)
	v_cmp_lt_u32_e64 s[0:1], s13, v3
	s_or_b64 s[10:11], s[0:1], s[10:11]
	s_andn2_b64 exec, exec, s[10:11]
	s_cbranch_execnz .LBB15_126
	s_branch .LBB15_121
.LBB15_127:                             ;   in Loop: Header=BB15_123 Depth=1
                                        ; implicit-def: $sgpr14
	s_and_b64 s[8:9], exec, s[0:1]
	s_or_b64 s[4:5], s[8:9], s[4:5]
	s_andn2_b64 exec, exec, s[4:5]
	s_cbranch_execnz .LBB15_123
.LBB15_128:
	s_or_b64 exec, exec, s[4:5]
	v_add_u32_e32 v3, v20, v13
	v_or_b32_e32 v3, 0x80000000, v3
	global_store_dword v[5:6], v3, off
	global_load_dwordx2 v[3:4], v11, s[44:45]
	v_sub_co_u32_e64 v5, s[0:1], v20, v1
	v_subb_co_u32_e64 v6, s[0:1], 0, v2, s[0:1]
	s_waitcnt vmcnt(0)
	v_add_co_u32_e64 v3, s[0:1], v5, v3
	v_addc_co_u32_e64 v4, s[0:1], v6, v4, s[0:1]
	ds_write_b64 v11, v[3:4]
.LBB15_129:
	s_or_b64 exec, exec, s[2:3]
	s_waitcnt lgkmcnt(0)
	s_barrier
	ds_read_u8 v15, v0 offset:4096
	ds_read_u8 v26, v0 offset:3072
	;; [unrolled: 1-line block ×5, first 2 shown]
	s_waitcnt lgkmcnt(4)
	v_lshrrev_b32_sdwa v3, s48, v15 dst_sel:DWORD dst_unused:UNUSED_PAD src0_sel:DWORD src1_sel:BYTE_0
	v_and_b32_e32 v3, s12, v3
	v_lshlrev_b32_e32 v29, 3, v3
	s_waitcnt lgkmcnt(1)
	v_lshrrev_b32_sdwa v3, s48, v28 dst_sel:DWORD dst_unused:UNUSED_PAD src0_sel:DWORD src1_sel:BYTE_0
	v_and_b32_e32 v3, s12, v3
	v_lshlrev_b32_e32 v30, 3, v3
	ds_read_u8 v31, v0 offset:2560
	ds_read_b64 v[3:4], v29
	ds_read_b64 v[5:6], v30
	s_waitcnt lgkmcnt(3)
	v_lshrrev_b32_sdwa v8, s48, v7 dst_sel:DWORD dst_unused:UNUSED_PAD src0_sel:DWORD src1_sel:BYTE_0
	v_xor_b32_e32 v32, -1, v7
	s_waitcnt lgkmcnt(2)
	v_lshrrev_b32_sdwa v7, s48, v31 dst_sel:DWORD dst_unused:UNUSED_PAD src0_sel:DWORD src1_sel:BYTE_0
	v_and_b32_e32 v7, s12, v7
	v_lshlrev_b32_e32 v35, 3, v7
	v_lshrrev_b32_sdwa v7, s48, v26 dst_sel:DWORD dst_unused:UNUSED_PAD src0_sel:DWORD src1_sel:BYTE_0
	v_and_b32_e32 v7, s12, v7
	v_and_b32_e32 v8, s12, v8
	v_lshlrev_b32_e32 v36, 3, v7
	v_lshrrev_b32_sdwa v7, s48, v27 dst_sel:DWORD dst_unused:UNUSED_PAD src0_sel:DWORD src1_sel:BYTE_0
	v_lshlrev_b32_e32 v33, 3, v8
	v_and_b32_e32 v7, s12, v7
	v_lshlrev_b32_e32 v37, 3, v7
	ds_read_b64 v[7:8], v33
	ds_read_b64 v[20:21], v35
	;; [unrolled: 1-line block ×4, first 2 shown]
	v_mov_b32_e32 v34, s39
	s_waitcnt lgkmcnt(3)
	v_add_co_u32_e64 v7, s[0:1], s38, v7
	v_addc_co_u32_e64 v8, s[0:1], v34, v8, s[0:1]
	v_add_co_u32_e64 v7, s[0:1], v7, v0
	v_addc_co_u32_e64 v8, s[0:1], 0, v8, s[0:1]
	global_store_byte v[7:8], v32, off
	v_mov_b32_e32 v7, s39
	s_waitcnt lgkmcnt(2)
	v_add_co_u32_e64 v8, s[0:1], s38, v20
	v_addc_co_u32_e64 v20, s[0:1], v7, v21, s[0:1]
	v_add_co_u32_e64 v7, s[0:1], v8, v0
	v_xor_b32_e32 v31, -1, v31
	v_addc_co_u32_e64 v8, s[0:1], 0, v20, s[0:1]
	global_store_byte v[7:8], v31, off offset:512
	v_mov_b32_e32 v7, s39
	s_waitcnt lgkmcnt(1)
	v_add_co_u32_e64 v8, s[0:1], s38, v22
	v_addc_co_u32_e64 v21, s[0:1], v7, v23, s[0:1]
	v_add_co_u32_e64 v7, s[0:1], v8, v0
	v_xor_b32_e32 v20, -1, v26
	v_addc_co_u32_e64 v8, s[0:1], 0, v21, s[0:1]
	global_store_byte v[7:8], v20, off offset:1024
	;; [unrolled: 8-line block ×3, first 2 shown]
	v_mov_b32_e32 v8, s39
	v_add_co_u32_e64 v3, s[0:1], s38, v3
	v_addc_co_u32_e64 v4, s[0:1], v8, v4, s[0:1]
	v_add_co_u32_e64 v3, s[0:1], v3, v0
	v_xor_b32_e32 v7, -1, v15
	v_addc_co_u32_e64 v4, s[0:1], 0, v4, s[0:1]
	global_store_byte v[3:4], v7, off offset:2048
	v_mov_b32_e32 v3, s39
	v_add_co_u32_e64 v4, s[0:1], s38, v5
	v_addc_co_u32_e64 v5, s[0:1], v3, v6, s[0:1]
	v_add_co_u32_e64 v3, s[0:1], v4, v0
	v_addc_co_u32_e64 v4, s[0:1], 0, v5, s[0:1]
	s_lshl_b64 s[0:1], s[30:31], 3
	v_xor_b32_e32 v7, -1, v28
	s_add_u32 s0, s40, s0
	global_store_byte v[3:4], v7, off offset:2560
	s_addc_u32 s1, s41, s1
	v_lshlrev_b32_e32 v3, 3, v10
	v_mov_b32_e32 v4, s1
	v_add_co_u32_e64 v3, s[0:1], s0, v3
	v_addc_co_u32_e64 v4, s[0:1], 0, v4, s[0:1]
	v_lshlrev_b32_e32 v5, 3, v9
	v_add_co_u32_e64 v3, s[0:1], v3, v5
	v_addc_co_u32_e64 v4, s[0:1], 0, v4, s[0:1]
	global_load_dwordx2 v[5:6], v[3:4], off
	global_load_dwordx2 v[7:8], v[3:4], off offset:512
	global_load_dwordx2 v[9:10], v[3:4], off offset:1024
	;; [unrolled: 1-line block ×5, first 2 shown]
	v_lshlrev_b32_e32 v3, 3, v19
	s_waitcnt vmcnt(0)
	s_barrier
	v_mad_u32_u24 v0, v0, 7, v0
	s_add_i32 s7, s7, -1
	s_cmp_eq_u32 s6, s7
	ds_write_b64 v3, v[5:6] offset:2048
	v_lshlrev_b32_e32 v3, 3, v18
	ds_write_b64 v3, v[7:8] offset:2048
	v_lshlrev_b32_e32 v3, 3, v17
	;; [unrolled: 2-line block ×5, first 2 shown]
	ds_write_b64 v3, v[24:25] offset:2048
	s_waitcnt lgkmcnt(0)
	s_barrier
	ds_read_b64 v[7:8], v33
	ds_read2st64_b64 v[3:6], v0 offset0:4 offset1:12
	ds_read_b64 v[9:10], v35
	ds_read_b64 v[14:15], v36
	;; [unrolled: 1-line block ×3, first 2 shown]
	s_waitcnt lgkmcnt(4)
	v_lshlrev_b64 v[7:8], 3, v[7:8]
	v_mov_b32_e32 v12, s43
	v_add_co_u32_e64 v7, s[0:1], s42, v7
	v_addc_co_u32_e64 v8, s[0:1], v12, v8, s[0:1]
	v_add_co_u32_e64 v7, s[0:1], v7, v11
	v_addc_co_u32_e64 v8, s[0:1], 0, v8, s[0:1]
	s_waitcnt lgkmcnt(3)
	global_store_dwordx2 v[7:8], v[3:4], off
	s_waitcnt lgkmcnt(2)
	v_lshlrev_b64 v[3:4], 3, v[9:10]
	v_mov_b32_e32 v7, s43
	v_add_co_u32_e64 v3, s[0:1], s42, v3
	v_addc_co_u32_e64 v4, s[0:1], v7, v4, s[0:1]
	v_or_b32_e32 v7, 0x1000, v11
	v_add_co_u32_e64 v3, s[0:1], v3, v7
	v_addc_co_u32_e64 v4, s[0:1], 0, v4, s[0:1]
	s_waitcnt lgkmcnt(1)
	v_lshlrev_b64 v[7:8], 3, v[14:15]
	global_store_dwordx2 v[3:4], v[5:6], off
	ds_read2st64_b64 v[3:6], v0 offset0:20 offset1:28
	v_mov_b32_e32 v9, s43
	v_add_co_u32_e64 v7, s[0:1], s42, v7
	v_addc_co_u32_e64 v8, s[0:1], v9, v8, s[0:1]
	v_or_b32_e32 v9, 0x2000, v11
	v_add_co_u32_e64 v7, s[0:1], v7, v9
	v_addc_co_u32_e64 v8, s[0:1], 0, v8, s[0:1]
	s_waitcnt lgkmcnt(0)
	global_store_dwordx2 v[7:8], v[3:4], off
	v_lshlrev_b64 v[3:4], 3, v[16:17]
	v_mov_b32_e32 v7, s43
	v_add_co_u32_e64 v3, s[0:1], s42, v3
	v_addc_co_u32_e64 v4, s[0:1], v7, v4, s[0:1]
	ds_read_b64 v[7:8], v29
	v_or_b32_e32 v9, 0x3000, v11
	v_add_co_u32_e64 v3, s[0:1], v3, v9
	v_addc_co_u32_e64 v4, s[0:1], 0, v4, s[0:1]
	global_store_dwordx2 v[3:4], v[5:6], off
	s_waitcnt lgkmcnt(0)
	v_lshlrev_b64 v[7:8], 3, v[7:8]
	ds_read2st64_b64 v[3:6], v0 offset0:36 offset1:44
	ds_read_b64 v[9:10], v30
	v_mov_b32_e32 v0, s43
	v_add_co_u32_e64 v7, s[0:1], s42, v7
	v_addc_co_u32_e64 v0, s[0:1], v0, v8, s[0:1]
	v_or_b32_e32 v8, 0x4000, v11
	v_add_co_u32_e64 v7, s[0:1], v7, v8
	v_addc_co_u32_e64 v8, s[0:1], 0, v0, s[0:1]
	s_waitcnt lgkmcnt(1)
	global_store_dwordx2 v[7:8], v[3:4], off
	s_waitcnt lgkmcnt(0)
	v_lshlrev_b64 v[3:4], 3, v[9:10]
	v_mov_b32_e32 v0, s43
	v_add_co_u32_e64 v3, s[0:1], s42, v3
	v_addc_co_u32_e64 v0, s[0:1], v0, v4, s[0:1]
	v_or_b32_e32 v4, 0x5000, v11
	v_add_co_u32_e64 v3, s[0:1], v3, v4
	v_addc_co_u32_e64 v4, s[0:1], 0, v0, s[0:1]
	s_cselect_b64 s[0:1], -1, 0
	s_xor_b64 s[2:3], vcc, -1
	s_and_b64 s[0:1], s[2:3], s[0:1]
	global_store_dwordx2 v[3:4], v[5:6], off
	s_and_saveexec_b64 s[2:3], s[0:1]
	s_cbranch_execz .LBB15_131
; %bb.130:
	ds_read_b64 v[3:4], v11
	v_add_co_u32_e32 v0, vcc, v1, v13
	v_addc_co_u32_e32 v1, vcc, 0, v2, vcc
	s_waitcnt lgkmcnt(0)
	v_add_co_u32_e32 v0, vcc, v0, v3
	v_addc_co_u32_e32 v1, vcc, v1, v4, vcc
	global_store_dwordx2 v11, v[0:1], s[46:47]
.LBB15_131:
	s_endpgm
	.section	.rodata,"a",@progbits
	.p2align	6, 0x0
	.amdhsa_kernel _ZN7rocprim17ROCPRIM_304000_NS6detail25onesweep_iteration_kernelINS1_34wrapped_radix_sort_onesweep_configINS0_14default_configEhN2at4cuda3cub6detail10OpaqueTypeILi8EEEEELb1EPhSC_PSA_SD_mNS0_19identity_decomposerEEEvT1_T2_T3_T4_jPT5_SK_PNS1_23onesweep_lookback_stateET6_jjj
		.amdhsa_group_segment_fixed_size 26624
		.amdhsa_private_segment_fixed_size 0
		.amdhsa_kernarg_size 336
		.amdhsa_user_sgpr_count 6
		.amdhsa_user_sgpr_private_segment_buffer 1
		.amdhsa_user_sgpr_dispatch_ptr 0
		.amdhsa_user_sgpr_queue_ptr 0
		.amdhsa_user_sgpr_kernarg_segment_ptr 1
		.amdhsa_user_sgpr_dispatch_id 0
		.amdhsa_user_sgpr_flat_scratch_init 0
		.amdhsa_user_sgpr_private_segment_size 0
		.amdhsa_uses_dynamic_stack 0
		.amdhsa_system_sgpr_private_segment_wavefront_offset 0
		.amdhsa_system_sgpr_workgroup_id_x 1
		.amdhsa_system_sgpr_workgroup_id_y 0
		.amdhsa_system_sgpr_workgroup_id_z 0
		.amdhsa_system_sgpr_workgroup_info 0
		.amdhsa_system_vgpr_workitem_id 2
		.amdhsa_next_free_vgpr 49
		.amdhsa_next_free_sgpr 98
		.amdhsa_reserve_vcc 1
		.amdhsa_reserve_flat_scratch 0
		.amdhsa_float_round_mode_32 0
		.amdhsa_float_round_mode_16_64 0
		.amdhsa_float_denorm_mode_32 3
		.amdhsa_float_denorm_mode_16_64 3
		.amdhsa_dx10_clamp 1
		.amdhsa_ieee_mode 1
		.amdhsa_fp16_overflow 0
		.amdhsa_exception_fp_ieee_invalid_op 0
		.amdhsa_exception_fp_denorm_src 0
		.amdhsa_exception_fp_ieee_div_zero 0
		.amdhsa_exception_fp_ieee_overflow 0
		.amdhsa_exception_fp_ieee_underflow 0
		.amdhsa_exception_fp_ieee_inexact 0
		.amdhsa_exception_int_div_zero 0
	.end_amdhsa_kernel
	.section	.text._ZN7rocprim17ROCPRIM_304000_NS6detail25onesweep_iteration_kernelINS1_34wrapped_radix_sort_onesweep_configINS0_14default_configEhN2at4cuda3cub6detail10OpaqueTypeILi8EEEEELb1EPhSC_PSA_SD_mNS0_19identity_decomposerEEEvT1_T2_T3_T4_jPT5_SK_PNS1_23onesweep_lookback_stateET6_jjj,"axG",@progbits,_ZN7rocprim17ROCPRIM_304000_NS6detail25onesweep_iteration_kernelINS1_34wrapped_radix_sort_onesweep_configINS0_14default_configEhN2at4cuda3cub6detail10OpaqueTypeILi8EEEEELb1EPhSC_PSA_SD_mNS0_19identity_decomposerEEEvT1_T2_T3_T4_jPT5_SK_PNS1_23onesweep_lookback_stateET6_jjj,comdat
.Lfunc_end15:
	.size	_ZN7rocprim17ROCPRIM_304000_NS6detail25onesweep_iteration_kernelINS1_34wrapped_radix_sort_onesweep_configINS0_14default_configEhN2at4cuda3cub6detail10OpaqueTypeILi8EEEEELb1EPhSC_PSA_SD_mNS0_19identity_decomposerEEEvT1_T2_T3_T4_jPT5_SK_PNS1_23onesweep_lookback_stateET6_jjj, .Lfunc_end15-_ZN7rocprim17ROCPRIM_304000_NS6detail25onesweep_iteration_kernelINS1_34wrapped_radix_sort_onesweep_configINS0_14default_configEhN2at4cuda3cub6detail10OpaqueTypeILi8EEEEELb1EPhSC_PSA_SD_mNS0_19identity_decomposerEEEvT1_T2_T3_T4_jPT5_SK_PNS1_23onesweep_lookback_stateET6_jjj
                                        ; -- End function
	.set _ZN7rocprim17ROCPRIM_304000_NS6detail25onesweep_iteration_kernelINS1_34wrapped_radix_sort_onesweep_configINS0_14default_configEhN2at4cuda3cub6detail10OpaqueTypeILi8EEEEELb1EPhSC_PSA_SD_mNS0_19identity_decomposerEEEvT1_T2_T3_T4_jPT5_SK_PNS1_23onesweep_lookback_stateET6_jjj.num_vgpr, 40
	.set _ZN7rocprim17ROCPRIM_304000_NS6detail25onesweep_iteration_kernelINS1_34wrapped_radix_sort_onesweep_configINS0_14default_configEhN2at4cuda3cub6detail10OpaqueTypeILi8EEEEELb1EPhSC_PSA_SD_mNS0_19identity_decomposerEEEvT1_T2_T3_T4_jPT5_SK_PNS1_23onesweep_lookback_stateET6_jjj.num_agpr, 0
	.set _ZN7rocprim17ROCPRIM_304000_NS6detail25onesweep_iteration_kernelINS1_34wrapped_radix_sort_onesweep_configINS0_14default_configEhN2at4cuda3cub6detail10OpaqueTypeILi8EEEEELb1EPhSC_PSA_SD_mNS0_19identity_decomposerEEEvT1_T2_T3_T4_jPT5_SK_PNS1_23onesweep_lookback_stateET6_jjj.numbered_sgpr, 53
	.set _ZN7rocprim17ROCPRIM_304000_NS6detail25onesweep_iteration_kernelINS1_34wrapped_radix_sort_onesweep_configINS0_14default_configEhN2at4cuda3cub6detail10OpaqueTypeILi8EEEEELb1EPhSC_PSA_SD_mNS0_19identity_decomposerEEEvT1_T2_T3_T4_jPT5_SK_PNS1_23onesweep_lookback_stateET6_jjj.num_named_barrier, 0
	.set _ZN7rocprim17ROCPRIM_304000_NS6detail25onesweep_iteration_kernelINS1_34wrapped_radix_sort_onesweep_configINS0_14default_configEhN2at4cuda3cub6detail10OpaqueTypeILi8EEEEELb1EPhSC_PSA_SD_mNS0_19identity_decomposerEEEvT1_T2_T3_T4_jPT5_SK_PNS1_23onesweep_lookback_stateET6_jjj.private_seg_size, 0
	.set _ZN7rocprim17ROCPRIM_304000_NS6detail25onesweep_iteration_kernelINS1_34wrapped_radix_sort_onesweep_configINS0_14default_configEhN2at4cuda3cub6detail10OpaqueTypeILi8EEEEELb1EPhSC_PSA_SD_mNS0_19identity_decomposerEEEvT1_T2_T3_T4_jPT5_SK_PNS1_23onesweep_lookback_stateET6_jjj.uses_vcc, 1
	.set _ZN7rocprim17ROCPRIM_304000_NS6detail25onesweep_iteration_kernelINS1_34wrapped_radix_sort_onesweep_configINS0_14default_configEhN2at4cuda3cub6detail10OpaqueTypeILi8EEEEELb1EPhSC_PSA_SD_mNS0_19identity_decomposerEEEvT1_T2_T3_T4_jPT5_SK_PNS1_23onesweep_lookback_stateET6_jjj.uses_flat_scratch, 0
	.set _ZN7rocprim17ROCPRIM_304000_NS6detail25onesweep_iteration_kernelINS1_34wrapped_radix_sort_onesweep_configINS0_14default_configEhN2at4cuda3cub6detail10OpaqueTypeILi8EEEEELb1EPhSC_PSA_SD_mNS0_19identity_decomposerEEEvT1_T2_T3_T4_jPT5_SK_PNS1_23onesweep_lookback_stateET6_jjj.has_dyn_sized_stack, 0
	.set _ZN7rocprim17ROCPRIM_304000_NS6detail25onesweep_iteration_kernelINS1_34wrapped_radix_sort_onesweep_configINS0_14default_configEhN2at4cuda3cub6detail10OpaqueTypeILi8EEEEELb1EPhSC_PSA_SD_mNS0_19identity_decomposerEEEvT1_T2_T3_T4_jPT5_SK_PNS1_23onesweep_lookback_stateET6_jjj.has_recursion, 0
	.set _ZN7rocprim17ROCPRIM_304000_NS6detail25onesweep_iteration_kernelINS1_34wrapped_radix_sort_onesweep_configINS0_14default_configEhN2at4cuda3cub6detail10OpaqueTypeILi8EEEEELb1EPhSC_PSA_SD_mNS0_19identity_decomposerEEEvT1_T2_T3_T4_jPT5_SK_PNS1_23onesweep_lookback_stateET6_jjj.has_indirect_call, 0
	.section	.AMDGPU.csdata,"",@progbits
; Kernel info:
; codeLenInByte = 10940
; TotalNumSgprs: 57
; NumVgprs: 40
; ScratchSize: 0
; MemoryBound: 0
; FloatMode: 240
; IeeeMode: 1
; LDSByteSize: 26624 bytes/workgroup (compile time only)
; SGPRBlocks: 12
; VGPRBlocks: 12
; NumSGPRsForWavesPerEU: 102
; NumVGPRsForWavesPerEU: 49
; Occupancy: 4
; WaveLimiterHint : 1
; COMPUTE_PGM_RSRC2:SCRATCH_EN: 0
; COMPUTE_PGM_RSRC2:USER_SGPR: 6
; COMPUTE_PGM_RSRC2:TRAP_HANDLER: 0
; COMPUTE_PGM_RSRC2:TGID_X_EN: 1
; COMPUTE_PGM_RSRC2:TGID_Y_EN: 0
; COMPUTE_PGM_RSRC2:TGID_Z_EN: 0
; COMPUTE_PGM_RSRC2:TIDIG_COMP_CNT: 2
	.section	.text._ZN7rocprim17ROCPRIM_304000_NS6detail28radix_sort_block_sort_kernelINS1_36wrapped_radix_sort_block_sort_configINS0_13kernel_configILj256ELj4ELj4294967295EEEhN2at4cuda3cub6detail10OpaqueTypeILi8EEEEELb0EPKhPhPKSB_PSB_NS0_19identity_decomposerEEEvT1_T2_T3_T4_jT5_jj,"axG",@progbits,_ZN7rocprim17ROCPRIM_304000_NS6detail28radix_sort_block_sort_kernelINS1_36wrapped_radix_sort_block_sort_configINS0_13kernel_configILj256ELj4ELj4294967295EEEhN2at4cuda3cub6detail10OpaqueTypeILi8EEEEELb0EPKhPhPKSB_PSB_NS0_19identity_decomposerEEEvT1_T2_T3_T4_jT5_jj,comdat
	.protected	_ZN7rocprim17ROCPRIM_304000_NS6detail28radix_sort_block_sort_kernelINS1_36wrapped_radix_sort_block_sort_configINS0_13kernel_configILj256ELj4ELj4294967295EEEhN2at4cuda3cub6detail10OpaqueTypeILi8EEEEELb0EPKhPhPKSB_PSB_NS0_19identity_decomposerEEEvT1_T2_T3_T4_jT5_jj ; -- Begin function _ZN7rocprim17ROCPRIM_304000_NS6detail28radix_sort_block_sort_kernelINS1_36wrapped_radix_sort_block_sort_configINS0_13kernel_configILj256ELj4ELj4294967295EEEhN2at4cuda3cub6detail10OpaqueTypeILi8EEEEELb0EPKhPhPKSB_PSB_NS0_19identity_decomposerEEEvT1_T2_T3_T4_jT5_jj
	.globl	_ZN7rocprim17ROCPRIM_304000_NS6detail28radix_sort_block_sort_kernelINS1_36wrapped_radix_sort_block_sort_configINS0_13kernel_configILj256ELj4ELj4294967295EEEhN2at4cuda3cub6detail10OpaqueTypeILi8EEEEELb0EPKhPhPKSB_PSB_NS0_19identity_decomposerEEEvT1_T2_T3_T4_jT5_jj
	.p2align	8
	.type	_ZN7rocprim17ROCPRIM_304000_NS6detail28radix_sort_block_sort_kernelINS1_36wrapped_radix_sort_block_sort_configINS0_13kernel_configILj256ELj4ELj4294967295EEEhN2at4cuda3cub6detail10OpaqueTypeILi8EEEEELb0EPKhPhPKSB_PSB_NS0_19identity_decomposerEEEvT1_T2_T3_T4_jT5_jj,@function
_ZN7rocprim17ROCPRIM_304000_NS6detail28radix_sort_block_sort_kernelINS1_36wrapped_radix_sort_block_sort_configINS0_13kernel_configILj256ELj4ELj4294967295EEEhN2at4cuda3cub6detail10OpaqueTypeILi8EEEEELb0EPKhPhPKSB_PSB_NS0_19identity_decomposerEEEvT1_T2_T3_T4_jT5_jj: ; @_ZN7rocprim17ROCPRIM_304000_NS6detail28radix_sort_block_sort_kernelINS1_36wrapped_radix_sort_block_sort_configINS0_13kernel_configILj256ELj4ELj4294967295EEEhN2at4cuda3cub6detail10OpaqueTypeILi8EEEEELb0EPKhPhPKSB_PSB_NS0_19identity_decomposerEEEvT1_T2_T3_T4_jT5_jj
; %bb.0:
	s_load_dword s2, s[4:5], 0x20
	s_load_dwordx8 s[36:43], s[4:5], 0x0
	s_lshl_b32 s28, s6, 10
	v_mbcnt_lo_u32_b32 v3, -1, 0
	v_mbcnt_hi_u32_b32 v7, -1, v3
	s_waitcnt lgkmcnt(0)
	s_lshr_b32 s0, s2, 10
	s_cmp_lg_u32 s6, s0
	s_cselect_b64 s[30:31], -1, 0
	s_add_u32 s1, s36, s28
	s_addc_u32 s3, s37, 0
	v_lshlrev_b32_e32 v8, 2, v0
	v_mov_b32_e32 v3, s3
	v_add_co_u32_e32 v4, vcc, s1, v7
	v_and_b32_e32 v12, 0x300, v8
	v_addc_co_u32_e32 v3, vcc, 0, v3, vcc
	v_add_co_u32_e32 v5, vcc, v4, v12
	s_mov_b32 s29, 0
	s_cmp_eq_u32 s6, s0
	v_addc_co_u32_e32 v6, vcc, 0, v3, vcc
	v_lshlrev_b32_e32 v11, 3, v7
	v_lshlrev_b32_e32 v10, 3, v12
	v_add_u32_e32 v9, v7, v12
	s_cbranch_scc1 .LBB16_2
; %bb.1:
	s_lshl_b64 s[0:1], s[28:29], 3
	s_add_u32 s0, s40, s0
	s_addc_u32 s1, s41, s1
	v_mov_b32_e32 v3, s1
	v_add_co_u32_e32 v4, vcc, s0, v11
	v_addc_co_u32_e32 v3, vcc, 0, v3, vcc
	v_add_co_u32_e32 v13, vcc, v4, v10
	v_addc_co_u32_e32 v14, vcc, 0, v3, vcc
	global_load_ubyte v25, v[5:6], off offset:192
	global_load_ubyte v28, v[5:6], off offset:128
	;; [unrolled: 1-line block ×3, first 2 shown]
	global_load_ubyte v26, v[5:6], off
	global_load_dwordx2 v[3:4], v[13:14], off
	global_load_dwordx2 v[18:19], v[13:14], off offset:512
	global_load_dwordx2 v[20:21], v[13:14], off offset:1024
	;; [unrolled: 1-line block ×3, first 2 shown]
	v_add_u32_e32 v32, v7, v12
	v_add_u32_e32 v29, 64, v32
	;; [unrolled: 1-line block ×4, first 2 shown]
	s_sub_i32 s33, s2, s28
	s_cbranch_execz .LBB16_3
	s_branch .LBB16_17
.LBB16_2:
                                        ; implicit-def: $vgpr26
                                        ; implicit-def: $vgpr27
                                        ; implicit-def: $vgpr28
                                        ; implicit-def: $vgpr25
                                        ; implicit-def: $vgpr3_vgpr4
                                        ; implicit-def: $vgpr18_vgpr19
                                        ; implicit-def: $vgpr20_vgpr21
                                        ; implicit-def: $vgpr22_vgpr23
                                        ; implicit-def: $vgpr32
                                        ; implicit-def: $vgpr29
                                        ; implicit-def: $vgpr30
                                        ; implicit-def: $vgpr31
	s_sub_i32 s33, s2, s28
.LBB16_3:
	v_cmp_gt_u32_e32 vcc, s33, v9
	s_waitcnt vmcnt(7)
	v_mov_b32_e32 v25, 0xff
	s_waitcnt vmcnt(4)
	v_mov_b32_e32 v26, 0xff
	v_mov_b32_e32 v27, 0xff
	;; [unrolled: 1-line block ×3, first 2 shown]
	s_and_saveexec_b64 s[0:1], vcc
	s_cbranch_execz .LBB16_5
; %bb.4:
	global_load_ubyte v26, v[5:6], off
	v_mov_b32_e32 v25, 0xff
	v_mov_b32_e32 v27, 0xff
	;; [unrolled: 1-line block ×3, first 2 shown]
.LBB16_5:
	s_or_b64 exec, exec, s[0:1]
	v_add_u32_e32 v29, 64, v9
	v_cmp_gt_u32_e64 s[0:1], s33, v29
	s_and_saveexec_b64 s[2:3], s[0:1]
	s_cbranch_execz .LBB16_7
; %bb.6:
	global_load_ubyte v27, v[5:6], off offset:64
.LBB16_7:
	s_or_b64 exec, exec, s[2:3]
	v_add_u32_e32 v30, 0x80, v9
	v_cmp_gt_u32_e64 s[2:3], s33, v30
	s_and_saveexec_b64 s[6:7], s[2:3]
	s_cbranch_execz .LBB16_9
; %bb.8:
	global_load_ubyte v28, v[5:6], off offset:128
.LBB16_9:
	;; [unrolled: 8-line block ×3, first 2 shown]
	s_or_b64 exec, exec, s[8:9]
	s_lshl_b64 s[8:9], s[28:29], 3
	s_add_u32 s8, s40, s8
	s_addc_u32 s9, s41, s9
	s_waitcnt vmcnt(3)
	v_mov_b32_e32 v3, s9
	v_add_co_u32_e64 v4, s[8:9], s8, v11
	v_addc_co_u32_e64 v3, s[8:9], 0, v3, s[8:9]
	v_add_co_u32_e64 v5, s[8:9], v4, v10
	v_addc_co_u32_e64 v6, s[8:9], 0, v3, s[8:9]
                                        ; implicit-def: $vgpr3_vgpr4
	s_and_saveexec_b64 s[8:9], vcc
	s_cbranch_execnz .LBB16_54
; %bb.12:
	s_or_b64 exec, exec, s[8:9]
                                        ; implicit-def: $vgpr18_vgpr19
	s_and_saveexec_b64 s[8:9], s[0:1]
	s_cbranch_execnz .LBB16_55
.LBB16_13:
	s_or_b64 exec, exec, s[8:9]
                                        ; implicit-def: $vgpr20_vgpr21
	s_and_saveexec_b64 s[0:1], s[2:3]
	s_cbranch_execnz .LBB16_56
.LBB16_14:
	s_or_b64 exec, exec, s[0:1]
                                        ; implicit-def: $vgpr22_vgpr23
	s_and_saveexec_b64 s[0:1], s[6:7]
	s_cbranch_execz .LBB16_16
.LBB16_15:
	global_load_dwordx2 v[22:23], v[5:6], off offset:1536
.LBB16_16:
	s_or_b64 exec, exec, s[0:1]
	v_mov_b32_e32 v32, v9
.LBB16_17:
	s_load_dword s0, s[4:5], 0x3c
	s_load_dwordx2 s[34:35], s[4:5], 0x28
	v_cmp_lt_u32_e64 s[10:11], 31, v7
	v_mul_lo_u32 v5, v29, 7
	v_mul_lo_u32 v6, v30, 7
	s_waitcnt lgkmcnt(0)
	s_lshr_b32 s1, s0, 16
	s_and_b32 s0, s0, 0xffff
	v_mad_u32_u24 v1, v2, s1, v1
	v_mad_u64_u32 v[1:2], s[0:1], v1, s0, v[0:1]
	v_and_b32_e32 v2, 15, v7
	v_cmp_eq_u32_e64 s[0:1], 0, v2
	v_lshrrev_b32_e32 v1, 4, v1
	v_and_b32_e32 v34, 0xffffffc, v1
	v_and_b32_e32 v1, 16, v7
	v_cmp_eq_u32_e64 s[8:9], 0, v1
	v_or_b32_e32 v1, 63, v0
	v_cmp_lt_u32_e64 s[2:3], 1, v2
	v_cmp_lt_u32_e64 s[4:5], 3, v2
	;; [unrolled: 1-line block ×3, first 2 shown]
	v_cmp_eq_u32_e64 s[12:13], v0, v1
	v_subrev_co_u32_e64 v1, s[18:19], 1, v7
	v_and_b32_e32 v2, 64, v7
	v_cmp_lt_i32_e32 vcc, v1, v2
	v_and_b32_e32 v2, 3, v7
	v_cndmask_b32_e32 v1, v1, v7, vcc
	v_cmp_eq_u32_e64 s[22:23], 0, v2
	v_cmp_lt_u32_e64 s[24:25], 1, v2
	v_mul_lo_u32 v2, v32, 7
	v_mul_lo_u32 v7, v31, 7
	s_mov_b32 s26, 0
	v_lshlrev_b32_e32 v35, 2, v1
	v_lshrrev_b32_e32 v1, 4, v0
	s_mov_b32 s40, s26
	v_lshlrev_b32_e32 v33, 2, v8
	v_and_b32_e32 v36, 12, v1
	v_mul_i32_i24_e32 v1, -12, v0
	s_mov_b32 s27, s26
	s_mov_b32 s41, s26
	v_mov_b32_e32 v13, s26
	v_mov_b32_e32 v15, s40
	s_add_i32 s36, s35, s34
	v_cmp_gt_u32_e64 s[14:15], 4, v0
	v_cmp_lt_u32_e64 s[16:17], 63, v0
	v_cmp_eq_u32_e64 s[20:21], 0, v0
	v_add_u32_e32 v37, -4, v36
	v_mov_b32_e32 v14, s27
	v_mov_b32_e32 v16, s41
	;; [unrolled: 1-line block ×3, first 2 shown]
	v_add_u32_e32 v38, v33, v1
	v_add_u32_e32 v39, v32, v2
	;; [unrolled: 1-line block ×5, first 2 shown]
	s_branch .LBB16_19
.LBB16_18:                              ;   in Loop: Header=BB16_19 Depth=1
	s_andn2_b64 vcc, exec, s[26:27]
	s_cbranch_vccz .LBB16_35
.LBB16_19:                              ; =>This Inner Loop Header: Depth=1
	s_min_u32 s26, s35, 8
	s_lshl_b32 s26, -1, s26
	s_not_b32 s37, s26
	s_waitcnt vmcnt(0)
	v_lshrrev_b32_sdwa v1, s34, v26 dst_sel:DWORD dst_unused:UNUSED_PAD src0_sel:DWORD src1_sel:BYTE_0
	v_and_b32_e32 v1, s37, v1
	v_mov_b32_e32 v12, v4
	v_and_b32_e32 v2, 1, v1
	v_mov_b32_e32 v11, v3
	v_mov_b32_e32 v9, v18
	v_add_co_u32_e32 v4, vcc, -1, v2
	v_mov_b32_e32 v10, v19
	v_addc_co_u32_e64 v18, s[26:27], 0, -1, vcc
	v_cmp_ne_u32_e32 vcc, 0, v2
	v_xor_b32_e32 v2, vcc_hi, v18
	v_lshlrev_b32_e32 v18, 30, v1
	v_xor_b32_e32 v4, vcc_lo, v4
	v_cmp_gt_i64_e32 vcc, 0, v[17:18]
	v_not_b32_e32 v18, v18
	v_ashrrev_i32_e32 v18, 31, v18
	v_and_b32_e32 v4, exec_lo, v4
	v_xor_b32_e32 v19, vcc_hi, v18
	v_xor_b32_e32 v18, vcc_lo, v18
	v_and_b32_e32 v4, v4, v18
	v_lshlrev_b32_e32 v18, 29, v1
	v_cmp_gt_i64_e32 vcc, 0, v[17:18]
	v_not_b32_e32 v18, v18
	v_and_b32_e32 v2, exec_hi, v2
	v_ashrrev_i32_e32 v18, 31, v18
	v_and_b32_e32 v2, v2, v19
	v_xor_b32_e32 v19, vcc_hi, v18
	v_xor_b32_e32 v18, vcc_lo, v18
	v_and_b32_e32 v4, v4, v18
	v_lshlrev_b32_e32 v18, 28, v1
	v_cmp_gt_i64_e32 vcc, 0, v[17:18]
	v_not_b32_e32 v18, v18
	v_ashrrev_i32_e32 v18, 31, v18
	v_and_b32_e32 v2, v2, v19
	v_xor_b32_e32 v19, vcc_hi, v18
	v_xor_b32_e32 v18, vcc_lo, v18
	v_and_b32_e32 v4, v4, v18
	v_lshlrev_b32_e32 v18, 27, v1
	v_cmp_gt_i64_e32 vcc, 0, v[17:18]
	v_not_b32_e32 v18, v18
	;; [unrolled: 8-line block ×4, first 2 shown]
	v_ashrrev_i32_e32 v18, 31, v18
	v_and_b32_e32 v2, v2, v19
	v_xor_b32_e32 v19, vcc_hi, v18
	v_xor_b32_e32 v18, vcc_lo, v18
	v_and_b32_e32 v4, v4, v18
	v_lshlrev_b32_e32 v18, 24, v1
	v_lshlrev_b32_e32 v3, 4, v1
	v_cmp_gt_i64_e32 vcc, 0, v[17:18]
	v_not_b32_e32 v1, v18
	v_ashrrev_i32_e32 v1, 31, v1
	v_xor_b32_e32 v18, vcc_hi, v1
	v_xor_b32_e32 v1, vcc_lo, v1
	v_and_b32_e32 v2, v2, v19
	v_and_b32_e32 v1, v4, v1
	;; [unrolled: 1-line block ×3, first 2 shown]
	v_mbcnt_lo_u32_b32 v4, v1, 0
	v_mbcnt_hi_u32_b32 v19, v2, v4
	v_cmp_ne_u64_e32 vcc, 0, v[1:2]
	v_mov_b32_e32 v7, v20
	v_mov_b32_e32 v5, v22
	v_cmp_eq_u32_e64 s[26:27], 0, v19
	v_mov_b32_e32 v8, v21
	v_mov_b32_e32 v6, v23
	s_and_b64 s[40:41], vcc, s[26:27]
	v_add_u32_e32 v20, v34, v3
	ds_write2_b64 v33, v[13:14], v[15:16] offset0:2 offset1:3
	s_waitcnt lgkmcnt(0)
	s_barrier
	; wave barrier
	s_and_saveexec_b64 s[26:27], s[40:41]
; %bb.20:                               ;   in Loop: Header=BB16_19 Depth=1
	v_bcnt_u32_b32 v1, v1, 0
	v_bcnt_u32_b32 v1, v2, v1
	ds_write_b32 v20, v1 offset:16
; %bb.21:                               ;   in Loop: Header=BB16_19 Depth=1
	s_or_b64 exec, exec, s[26:27]
	v_lshrrev_b32_sdwa v1, s34, v27 dst_sel:DWORD dst_unused:UNUSED_PAD src0_sel:DWORD src1_sel:BYTE_0
	v_and_b32_e32 v1, s37, v1
	v_lshlrev_b32_e32 v2, 4, v1
	v_add_u32_e32 v22, v34, v2
	v_and_b32_e32 v2, 1, v1
	v_add_co_u32_e32 v3, vcc, -1, v2
	v_addc_co_u32_e64 v4, s[26:27], 0, -1, vcc
	v_cmp_ne_u32_e32 vcc, 0, v2
	v_lshlrev_b32_e32 v18, 30, v1
	v_xor_b32_e32 v2, vcc_hi, v4
	v_xor_b32_e32 v3, vcc_lo, v3
	v_cmp_gt_i64_e32 vcc, 0, v[17:18]
	v_not_b32_e32 v4, v18
	v_ashrrev_i32_e32 v4, 31, v4
	v_and_b32_e32 v2, exec_hi, v2
	v_xor_b32_e32 v18, vcc_hi, v4
	v_and_b32_e32 v3, exec_lo, v3
	v_xor_b32_e32 v4, vcc_lo, v4
	v_and_b32_e32 v2, v2, v18
	v_lshlrev_b32_e32 v18, 29, v1
	v_and_b32_e32 v3, v3, v4
	v_cmp_gt_i64_e32 vcc, 0, v[17:18]
	v_not_b32_e32 v4, v18
	v_ashrrev_i32_e32 v4, 31, v4
	v_xor_b32_e32 v18, vcc_hi, v4
	v_xor_b32_e32 v4, vcc_lo, v4
	v_and_b32_e32 v2, v2, v18
	v_lshlrev_b32_e32 v18, 28, v1
	v_and_b32_e32 v3, v3, v4
	v_cmp_gt_i64_e32 vcc, 0, v[17:18]
	v_not_b32_e32 v4, v18
	v_ashrrev_i32_e32 v4, 31, v4
	v_xor_b32_e32 v18, vcc_hi, v4
	;; [unrolled: 8-line block ×5, first 2 shown]
	v_and_b32_e32 v2, v2, v18
	v_lshlrev_b32_e32 v18, 24, v1
	v_xor_b32_e32 v4, vcc_lo, v4
	v_cmp_gt_i64_e32 vcc, 0, v[17:18]
	v_not_b32_e32 v1, v18
	v_ashrrev_i32_e32 v1, 31, v1
	v_and_b32_e32 v3, v3, v4
	v_xor_b32_e32 v4, vcc_hi, v1
	v_xor_b32_e32 v1, vcc_lo, v1
	; wave barrier
	ds_read_b32 v21, v22 offset:16
	v_and_b32_e32 v1, v3, v1
	v_and_b32_e32 v2, v2, v4
	v_mbcnt_lo_u32_b32 v3, v1, 0
	v_mbcnt_hi_u32_b32 v23, v2, v3
	v_cmp_ne_u64_e32 vcc, 0, v[1:2]
	v_cmp_eq_u32_e64 s[26:27], 0, v23
	s_and_b64 s[40:41], vcc, s[26:27]
	; wave barrier
	s_and_saveexec_b64 s[26:27], s[40:41]
	s_cbranch_execz .LBB16_23
; %bb.22:                               ;   in Loop: Header=BB16_19 Depth=1
	v_bcnt_u32_b32 v1, v1, 0
	v_bcnt_u32_b32 v1, v2, v1
	s_waitcnt lgkmcnt(0)
	v_add_u32_e32 v1, v21, v1
	ds_write_b32 v22, v1 offset:16
.LBB16_23:                              ;   in Loop: Header=BB16_19 Depth=1
	s_or_b64 exec, exec, s[26:27]
	v_lshrrev_b32_sdwa v1, s34, v28 dst_sel:DWORD dst_unused:UNUSED_PAD src0_sel:DWORD src1_sel:BYTE_0
	v_and_b32_e32 v1, s37, v1
	v_lshlrev_b32_e32 v2, 4, v1
	v_add_u32_e32 v24, v34, v2
	v_and_b32_e32 v2, 1, v1
	v_add_co_u32_e32 v3, vcc, -1, v2
	v_addc_co_u32_e64 v4, s[26:27], 0, -1, vcc
	v_cmp_ne_u32_e32 vcc, 0, v2
	v_lshlrev_b32_e32 v18, 30, v1
	v_xor_b32_e32 v2, vcc_hi, v4
	v_xor_b32_e32 v3, vcc_lo, v3
	v_cmp_gt_i64_e32 vcc, 0, v[17:18]
	v_not_b32_e32 v4, v18
	v_ashrrev_i32_e32 v4, 31, v4
	v_and_b32_e32 v2, exec_hi, v2
	v_xor_b32_e32 v18, vcc_hi, v4
	v_and_b32_e32 v3, exec_lo, v3
	v_xor_b32_e32 v4, vcc_lo, v4
	v_and_b32_e32 v2, v2, v18
	v_lshlrev_b32_e32 v18, 29, v1
	v_and_b32_e32 v3, v3, v4
	v_cmp_gt_i64_e32 vcc, 0, v[17:18]
	v_not_b32_e32 v4, v18
	v_ashrrev_i32_e32 v4, 31, v4
	v_xor_b32_e32 v18, vcc_hi, v4
	v_xor_b32_e32 v4, vcc_lo, v4
	v_and_b32_e32 v2, v2, v18
	v_lshlrev_b32_e32 v18, 28, v1
	v_and_b32_e32 v3, v3, v4
	v_cmp_gt_i64_e32 vcc, 0, v[17:18]
	v_not_b32_e32 v4, v18
	v_ashrrev_i32_e32 v4, 31, v4
	v_xor_b32_e32 v18, vcc_hi, v4
	;; [unrolled: 8-line block ×5, first 2 shown]
	v_and_b32_e32 v2, v2, v18
	v_lshlrev_b32_e32 v18, 24, v1
	v_xor_b32_e32 v4, vcc_lo, v4
	v_cmp_gt_i64_e32 vcc, 0, v[17:18]
	v_not_b32_e32 v1, v18
	v_ashrrev_i32_e32 v1, 31, v1
	v_and_b32_e32 v3, v3, v4
	v_xor_b32_e32 v4, vcc_hi, v1
	v_xor_b32_e32 v1, vcc_lo, v1
	; wave barrier
	ds_read_b32 v43, v24 offset:16
	v_and_b32_e32 v1, v3, v1
	v_and_b32_e32 v2, v2, v4
	v_mbcnt_lo_u32_b32 v3, v1, 0
	v_mbcnt_hi_u32_b32 v44, v2, v3
	v_cmp_ne_u64_e32 vcc, 0, v[1:2]
	v_cmp_eq_u32_e64 s[26:27], 0, v44
	s_and_b64 s[40:41], vcc, s[26:27]
	; wave barrier
	s_and_saveexec_b64 s[26:27], s[40:41]
	s_cbranch_execz .LBB16_25
; %bb.24:                               ;   in Loop: Header=BB16_19 Depth=1
	v_bcnt_u32_b32 v1, v1, 0
	v_bcnt_u32_b32 v1, v2, v1
	s_waitcnt lgkmcnt(0)
	v_add_u32_e32 v1, v43, v1
	ds_write_b32 v24, v1 offset:16
.LBB16_25:                              ;   in Loop: Header=BB16_19 Depth=1
	s_or_b64 exec, exec, s[26:27]
	v_lshrrev_b32_sdwa v1, s34, v25 dst_sel:DWORD dst_unused:UNUSED_PAD src0_sel:DWORD src1_sel:BYTE_0
	v_and_b32_e32 v1, s37, v1
	v_lshlrev_b32_e32 v2, 4, v1
	v_add_u32_e32 v46, v34, v2
	v_and_b32_e32 v2, 1, v1
	v_add_co_u32_e32 v3, vcc, -1, v2
	v_addc_co_u32_e64 v4, s[26:27], 0, -1, vcc
	v_cmp_ne_u32_e32 vcc, 0, v2
	v_lshlrev_b32_e32 v18, 30, v1
	v_xor_b32_e32 v2, vcc_hi, v4
	v_xor_b32_e32 v3, vcc_lo, v3
	v_cmp_gt_i64_e32 vcc, 0, v[17:18]
	v_not_b32_e32 v4, v18
	v_ashrrev_i32_e32 v4, 31, v4
	v_and_b32_e32 v2, exec_hi, v2
	v_xor_b32_e32 v18, vcc_hi, v4
	v_and_b32_e32 v3, exec_lo, v3
	v_xor_b32_e32 v4, vcc_lo, v4
	v_and_b32_e32 v2, v2, v18
	v_lshlrev_b32_e32 v18, 29, v1
	v_and_b32_e32 v3, v3, v4
	v_cmp_gt_i64_e32 vcc, 0, v[17:18]
	v_not_b32_e32 v4, v18
	v_ashrrev_i32_e32 v4, 31, v4
	v_xor_b32_e32 v18, vcc_hi, v4
	v_xor_b32_e32 v4, vcc_lo, v4
	v_and_b32_e32 v2, v2, v18
	v_lshlrev_b32_e32 v18, 28, v1
	v_and_b32_e32 v3, v3, v4
	v_cmp_gt_i64_e32 vcc, 0, v[17:18]
	v_not_b32_e32 v4, v18
	v_ashrrev_i32_e32 v4, 31, v4
	v_xor_b32_e32 v18, vcc_hi, v4
	;; [unrolled: 8-line block ×5, first 2 shown]
	v_and_b32_e32 v2, v2, v18
	v_lshlrev_b32_e32 v18, 24, v1
	v_xor_b32_e32 v4, vcc_lo, v4
	v_cmp_gt_i64_e32 vcc, 0, v[17:18]
	v_not_b32_e32 v1, v18
	v_ashrrev_i32_e32 v1, 31, v1
	v_and_b32_e32 v3, v3, v4
	v_xor_b32_e32 v4, vcc_hi, v1
	v_xor_b32_e32 v1, vcc_lo, v1
	; wave barrier
	ds_read_b32 v45, v46 offset:16
	v_and_b32_e32 v1, v3, v1
	v_and_b32_e32 v2, v2, v4
	v_mbcnt_lo_u32_b32 v3, v1, 0
	v_mbcnt_hi_u32_b32 v18, v2, v3
	v_cmp_ne_u64_e32 vcc, 0, v[1:2]
	v_cmp_eq_u32_e64 s[26:27], 0, v18
	s_and_b64 s[40:41], vcc, s[26:27]
	; wave barrier
	s_and_saveexec_b64 s[26:27], s[40:41]
	s_cbranch_execz .LBB16_27
; %bb.26:                               ;   in Loop: Header=BB16_19 Depth=1
	v_bcnt_u32_b32 v1, v1, 0
	v_bcnt_u32_b32 v1, v2, v1
	s_waitcnt lgkmcnt(0)
	v_add_u32_e32 v1, v45, v1
	ds_write_b32 v46, v1 offset:16
.LBB16_27:                              ;   in Loop: Header=BB16_19 Depth=1
	s_or_b64 exec, exec, s[26:27]
	; wave barrier
	s_waitcnt lgkmcnt(0)
	s_barrier
	ds_read2_b64 v[1:4], v33 offset0:2 offset1:3
	s_waitcnt lgkmcnt(0)
	v_add_u32_e32 v47, v2, v1
	v_add3_u32 v4, v47, v3, v4
	s_nop 1
	v_mov_b32_dpp v47, v4 row_shr:1 row_mask:0xf bank_mask:0xf
	v_cndmask_b32_e64 v47, v47, 0, s[0:1]
	v_add_u32_e32 v4, v47, v4
	s_nop 1
	v_mov_b32_dpp v47, v4 row_shr:2 row_mask:0xf bank_mask:0xf
	v_cndmask_b32_e64 v47, 0, v47, s[2:3]
	v_add_u32_e32 v4, v4, v47
	;; [unrolled: 4-line block ×4, first 2 shown]
	s_nop 1
	v_mov_b32_dpp v47, v4 row_bcast:15 row_mask:0xf bank_mask:0xf
	v_cndmask_b32_e64 v47, v47, 0, s[8:9]
	v_add_u32_e32 v4, v4, v47
	s_nop 1
	v_mov_b32_dpp v47, v4 row_bcast:31 row_mask:0xf bank_mask:0xf
	v_cndmask_b32_e64 v47, 0, v47, s[10:11]
	v_add_u32_e32 v4, v4, v47
	s_and_saveexec_b64 s[26:27], s[12:13]
; %bb.28:                               ;   in Loop: Header=BB16_19 Depth=1
	ds_write_b32 v36, v4
; %bb.29:                               ;   in Loop: Header=BB16_19 Depth=1
	s_or_b64 exec, exec, s[26:27]
	s_waitcnt lgkmcnt(0)
	s_barrier
	s_and_saveexec_b64 s[26:27], s[14:15]
	s_cbranch_execz .LBB16_31
; %bb.30:                               ;   in Loop: Header=BB16_19 Depth=1
	ds_read_b32 v47, v38
	s_waitcnt lgkmcnt(0)
	s_nop 0
	v_mov_b32_dpp v48, v47 row_shr:1 row_mask:0xf bank_mask:0xf
	v_cndmask_b32_e64 v48, v48, 0, s[22:23]
	v_add_u32_e32 v47, v48, v47
	s_nop 1
	v_mov_b32_dpp v48, v47 row_shr:2 row_mask:0xf bank_mask:0xf
	v_cndmask_b32_e64 v48, 0, v48, s[24:25]
	v_add_u32_e32 v47, v47, v48
	ds_write_b32 v38, v47
.LBB16_31:                              ;   in Loop: Header=BB16_19 Depth=1
	s_or_b64 exec, exec, s[26:27]
	v_mov_b32_e32 v50, 0
	s_waitcnt lgkmcnt(0)
	s_barrier
	s_and_saveexec_b64 s[26:27], s[16:17]
; %bb.32:                               ;   in Loop: Header=BB16_19 Depth=1
	ds_read_b32 v50, v37
; %bb.33:                               ;   in Loop: Header=BB16_19 Depth=1
	s_or_b64 exec, exec, s[26:27]
	s_waitcnt lgkmcnt(0)
	v_add_u32_e32 v4, v50, v4
	ds_bpermute_b32 v4, v35, v4
	s_add_i32 s34, s34, 8
	v_mov_b32_e32 v47, v26
	v_mov_b32_e32 v48, v27
	;; [unrolled: 1-line block ×3, first 2 shown]
	s_waitcnt lgkmcnt(0)
	v_cndmask_b32_e64 v4, v4, v50, s[18:19]
	v_cndmask_b32_e64 v50, v4, 0, s[20:21]
	v_add_u32_e32 v51, v50, v1
	v_add_u32_e32 v1, v51, v2
	;; [unrolled: 1-line block ×3, first 2 shown]
	ds_write2_b64 v33, v[50:51], v[1:2] offset0:2 offset1:3
	s_waitcnt lgkmcnt(0)
	s_barrier
	ds_read_b32 v1, v20 offset:16
	ds_read_b32 v2, v22 offset:16
	;; [unrolled: 1-line block ×4, first 2 shown]
	v_mov_b32_e32 v50, v25
	s_waitcnt lgkmcnt(3)
	v_add_u32_e32 v46, v1, v19
	s_waitcnt lgkmcnt(2)
	v_add3_u32 v24, v23, v21, v2
	s_waitcnt lgkmcnt(1)
	v_add3_u32 v2, v44, v43, v3
	v_mul_lo_u32 v43, v46, 7
	s_waitcnt lgkmcnt(0)
	v_add3_u32 v1, v18, v45, v4
	s_cmp_ge_u32 s34, s36
	s_mov_b64 s[26:27], -1
                                        ; implicit-def: $vgpr3_vgpr4
                                        ; implicit-def: $vgpr18_vgpr19
                                        ; implicit-def: $vgpr20_vgpr21
                                        ; implicit-def: $vgpr22_vgpr23
	s_cbranch_scc1 .LBB16_18
; %bb.34:                               ;   in Loop: Header=BB16_19 Depth=1
	s_barrier
	ds_write_b8 v46, v26
	ds_write_b8 v24, v27
	;; [unrolled: 1-line block ×4, first 2 shown]
	s_waitcnt lgkmcnt(0)
	s_barrier
	ds_read_u8 v25, v31
	ds_read_u8 v28, v30
	;; [unrolled: 1-line block ×4, first 2 shown]
	v_add_u32_e32 v21, v46, v43
	s_waitcnt lgkmcnt(3)
	v_mad_u64_u32 v[3:4], s[26:27], v24, 7, v[24:25]
	s_waitcnt lgkmcnt(0)
	s_barrier
	v_mad_u64_u32 v[18:19], s[26:27], v2, 7, v[2:3]
	v_mad_u64_u32 v[19:20], s[26:27], v1, 7, v[1:2]
	ds_write_b64 v21, v[11:12]
	ds_write_b64 v3, v[9:10]
	;; [unrolled: 1-line block ×4, first 2 shown]
	s_waitcnt lgkmcnt(0)
	s_barrier
	ds_read_b64 v[3:4], v39
	ds_read_b64 v[18:19], v40
	;; [unrolled: 1-line block ×4, first 2 shown]
	s_add_i32 s35, s35, -8
	s_mov_b64 s[26:27], 0
	s_waitcnt lgkmcnt(0)
	s_barrier
	s_branch .LBB16_18
.LBB16_35:
	v_mad_u64_u32 v[3:4], s[0:1], v24, 7, v[24:25]
	s_barrier
	v_mad_u64_u32 v[17:18], s[0:1], v2, 7, v[2:3]
	ds_write_b8 v46, v47
	ds_write_b8 v24, v48
	;; [unrolled: 1-line block ×4, first 2 shown]
	s_waitcnt lgkmcnt(0)
	s_barrier
	ds_read_u8 v16, v0
	ds_read_u8 v15, v0 offset:256
	ds_read_u8 v14, v0 offset:512
	;; [unrolled: 1-line block ×3, first 2 shown]
	v_add_u32_e32 v19, v46, v43
	v_mad_u64_u32 v[1:2], s[0:1], v1, 7, v[1:2]
	s_waitcnt lgkmcnt(0)
	s_barrier
	ds_write_b64 v19, v[11:12]
	ds_write_b64 v3, v[9:10]
	;; [unrolled: 1-line block ×4, first 2 shown]
	v_mad_u32_u24 v1, v0, 7, v0
	s_waitcnt lgkmcnt(0)
	s_barrier
	ds_read2st64_b64 v[5:8], v1 offset1:4
	ds_read2st64_b64 v[1:4], v1 offset0:8 offset1:12
	s_add_u32 s0, s38, s28
	s_addc_u32 s1, s39, 0
	v_mov_b32_e32 v10, s1
	v_add_co_u32_e32 v9, vcc, s0, v0
	v_addc_co_u32_e32 v10, vcc, 0, v10, vcc
	s_andn2_b64 vcc, exec, s[30:31]
	v_lshlrev_b32_e32 v11, 3, v0
	s_cbranch_vccnz .LBB16_37
; %bb.36:
	s_lshl_b64 s[0:1], s[28:29], 3
	s_add_u32 s0, s42, s0
	s_addc_u32 s1, s43, s1
	v_mov_b32_e32 v12, s1
	v_add_co_u32_e32 v17, vcc, s0, v11
	v_addc_co_u32_e32 v12, vcc, 0, v12, vcc
	v_add_co_u32_e32 v17, vcc, 0x1000, v17
	global_store_byte v[9:10], v16, off
	global_store_byte v[9:10], v15, off offset:256
	global_store_byte v[9:10], v14, off offset:512
	;; [unrolled: 1-line block ×3, first 2 shown]
	s_waitcnt lgkmcnt(1)
	global_store_dwordx2 v11, v[5:6], s[0:1]
	global_store_dwordx2 v11, v[7:8], s[0:1] offset:2048
	v_addc_co_u32_e32 v18, vcc, 0, v12, vcc
	s_mov_b64 s[6:7], -1
	s_waitcnt lgkmcnt(0)
	global_store_dwordx2 v[17:18], v[1:2], off
	s_cbranch_execz .LBB16_38
	s_branch .LBB16_51
.LBB16_37:
	s_mov_b64 s[6:7], 0
.LBB16_38:
	v_cmp_gt_u32_e32 vcc, s33, v0
	s_and_saveexec_b64 s[0:1], vcc
	s_cbranch_execz .LBB16_40
; %bb.39:
	global_store_byte v[9:10], v16, off
.LBB16_40:
	s_or_b64 exec, exec, s[0:1]
	v_or_b32_e32 v12, 0x100, v0
	v_cmp_gt_u32_e64 s[0:1], s33, v12
	s_and_saveexec_b64 s[2:3], s[0:1]
	s_cbranch_execz .LBB16_42
; %bb.41:
	global_store_byte v[9:10], v15, off offset:256
.LBB16_42:
	s_or_b64 exec, exec, s[2:3]
	v_or_b32_e32 v12, 0x200, v0
	v_cmp_gt_u32_e64 s[2:3], s33, v12
	s_and_saveexec_b64 s[4:5], s[2:3]
	s_cbranch_execz .LBB16_44
; %bb.43:
	global_store_byte v[9:10], v14, off offset:512
.LBB16_44:
	;; [unrolled: 8-line block ×3, first 2 shown]
	s_or_b64 exec, exec, s[4:5]
	s_lshl_b64 s[4:5], s[28:29], 3
	s_add_u32 s4, s42, s4
	s_addc_u32 s5, s43, s5
	v_mov_b32_e32 v0, s5
	v_add_co_u32_e64 v9, s[4:5], s4, v11
	v_addc_co_u32_e64 v10, s[4:5], 0, v0, s[4:5]
	s_and_saveexec_b64 s[4:5], vcc
	s_cbranch_execnz .LBB16_57
; %bb.47:
	s_or_b64 exec, exec, s[4:5]
	s_and_saveexec_b64 s[4:5], s[0:1]
	s_cbranch_execnz .LBB16_58
.LBB16_48:
	s_or_b64 exec, exec, s[4:5]
	s_and_saveexec_b64 s[0:1], s[2:3]
	s_cbranch_execz .LBB16_50
.LBB16_49:
	s_waitcnt lgkmcnt(1)
	v_add_co_u32_e32 v5, vcc, 0x1000, v9
	v_addc_co_u32_e32 v6, vcc, 0, v10, vcc
	s_waitcnt lgkmcnt(0)
	global_store_dwordx2 v[5:6], v[1:2], off
.LBB16_50:
	s_or_b64 exec, exec, s[0:1]
.LBB16_51:
	s_and_saveexec_b64 s[0:1], s[6:7]
	s_cbranch_execnz .LBB16_53
; %bb.52:
	s_endpgm
.LBB16_53:
	s_lshl_b64 s[0:1], s[28:29], 3
	s_add_u32 s0, s42, s0
	s_addc_u32 s1, s43, s1
	v_mov_b32_e32 v0, s1
	s_waitcnt lgkmcnt(0)
	v_add_co_u32_e32 v1, vcc, s0, v11
	v_addc_co_u32_e32 v2, vcc, 0, v0, vcc
	v_add_co_u32_e32 v0, vcc, 0x1000, v1
	v_addc_co_u32_e32 v1, vcc, 0, v2, vcc
	global_store_dwordx2 v[0:1], v[3:4], off offset:2048
	s_endpgm
.LBB16_54:
	global_load_dwordx2 v[3:4], v[5:6], off
	s_or_b64 exec, exec, s[8:9]
                                        ; implicit-def: $vgpr18_vgpr19
	s_and_saveexec_b64 s[8:9], s[0:1]
	s_cbranch_execz .LBB16_13
.LBB16_55:
	global_load_dwordx2 v[18:19], v[5:6], off offset:512
	s_or_b64 exec, exec, s[8:9]
                                        ; implicit-def: $vgpr20_vgpr21
	s_and_saveexec_b64 s[0:1], s[2:3]
	s_cbranch_execz .LBB16_14
.LBB16_56:
	global_load_dwordx2 v[20:21], v[5:6], off offset:1024
	s_or_b64 exec, exec, s[0:1]
                                        ; implicit-def: $vgpr22_vgpr23
	s_and_saveexec_b64 s[0:1], s[6:7]
	s_cbranch_execnz .LBB16_15
	s_branch .LBB16_16
.LBB16_57:
	s_waitcnt lgkmcnt(1)
	global_store_dwordx2 v[9:10], v[5:6], off
	s_or_b64 exec, exec, s[4:5]
	s_and_saveexec_b64 s[4:5], s[0:1]
	s_cbranch_execz .LBB16_48
.LBB16_58:
	s_waitcnt lgkmcnt(1)
	global_store_dwordx2 v[9:10], v[7:8], off offset:2048
	s_or_b64 exec, exec, s[4:5]
	s_and_saveexec_b64 s[0:1], s[2:3]
	s_cbranch_execnz .LBB16_49
	s_branch .LBB16_50
	.section	.rodata,"a",@progbits
	.p2align	6, 0x0
	.amdhsa_kernel _ZN7rocprim17ROCPRIM_304000_NS6detail28radix_sort_block_sort_kernelINS1_36wrapped_radix_sort_block_sort_configINS0_13kernel_configILj256ELj4ELj4294967295EEEhN2at4cuda3cub6detail10OpaqueTypeILi8EEEEELb0EPKhPhPKSB_PSB_NS0_19identity_decomposerEEEvT1_T2_T3_T4_jT5_jj
		.amdhsa_group_segment_fixed_size 8192
		.amdhsa_private_segment_fixed_size 0
		.amdhsa_kernarg_size 304
		.amdhsa_user_sgpr_count 6
		.amdhsa_user_sgpr_private_segment_buffer 1
		.amdhsa_user_sgpr_dispatch_ptr 0
		.amdhsa_user_sgpr_queue_ptr 0
		.amdhsa_user_sgpr_kernarg_segment_ptr 1
		.amdhsa_user_sgpr_dispatch_id 0
		.amdhsa_user_sgpr_flat_scratch_init 0
		.amdhsa_user_sgpr_private_segment_size 0
		.amdhsa_uses_dynamic_stack 0
		.amdhsa_system_sgpr_private_segment_wavefront_offset 0
		.amdhsa_system_sgpr_workgroup_id_x 1
		.amdhsa_system_sgpr_workgroup_id_y 0
		.amdhsa_system_sgpr_workgroup_id_z 0
		.amdhsa_system_sgpr_workgroup_info 0
		.amdhsa_system_vgpr_workitem_id 2
		.amdhsa_next_free_vgpr 52
		.amdhsa_next_free_sgpr 61
		.amdhsa_reserve_vcc 1
		.amdhsa_reserve_flat_scratch 0
		.amdhsa_float_round_mode_32 0
		.amdhsa_float_round_mode_16_64 0
		.amdhsa_float_denorm_mode_32 3
		.amdhsa_float_denorm_mode_16_64 3
		.amdhsa_dx10_clamp 1
		.amdhsa_ieee_mode 1
		.amdhsa_fp16_overflow 0
		.amdhsa_exception_fp_ieee_invalid_op 0
		.amdhsa_exception_fp_denorm_src 0
		.amdhsa_exception_fp_ieee_div_zero 0
		.amdhsa_exception_fp_ieee_overflow 0
		.amdhsa_exception_fp_ieee_underflow 0
		.amdhsa_exception_fp_ieee_inexact 0
		.amdhsa_exception_int_div_zero 0
	.end_amdhsa_kernel
	.section	.text._ZN7rocprim17ROCPRIM_304000_NS6detail28radix_sort_block_sort_kernelINS1_36wrapped_radix_sort_block_sort_configINS0_13kernel_configILj256ELj4ELj4294967295EEEhN2at4cuda3cub6detail10OpaqueTypeILi8EEEEELb0EPKhPhPKSB_PSB_NS0_19identity_decomposerEEEvT1_T2_T3_T4_jT5_jj,"axG",@progbits,_ZN7rocprim17ROCPRIM_304000_NS6detail28radix_sort_block_sort_kernelINS1_36wrapped_radix_sort_block_sort_configINS0_13kernel_configILj256ELj4ELj4294967295EEEhN2at4cuda3cub6detail10OpaqueTypeILi8EEEEELb0EPKhPhPKSB_PSB_NS0_19identity_decomposerEEEvT1_T2_T3_T4_jT5_jj,comdat
.Lfunc_end16:
	.size	_ZN7rocprim17ROCPRIM_304000_NS6detail28radix_sort_block_sort_kernelINS1_36wrapped_radix_sort_block_sort_configINS0_13kernel_configILj256ELj4ELj4294967295EEEhN2at4cuda3cub6detail10OpaqueTypeILi8EEEEELb0EPKhPhPKSB_PSB_NS0_19identity_decomposerEEEvT1_T2_T3_T4_jT5_jj, .Lfunc_end16-_ZN7rocprim17ROCPRIM_304000_NS6detail28radix_sort_block_sort_kernelINS1_36wrapped_radix_sort_block_sort_configINS0_13kernel_configILj256ELj4ELj4294967295EEEhN2at4cuda3cub6detail10OpaqueTypeILi8EEEEELb0EPKhPhPKSB_PSB_NS0_19identity_decomposerEEEvT1_T2_T3_T4_jT5_jj
                                        ; -- End function
	.set _ZN7rocprim17ROCPRIM_304000_NS6detail28radix_sort_block_sort_kernelINS1_36wrapped_radix_sort_block_sort_configINS0_13kernel_configILj256ELj4ELj4294967295EEEhN2at4cuda3cub6detail10OpaqueTypeILi8EEEEELb0EPKhPhPKSB_PSB_NS0_19identity_decomposerEEEvT1_T2_T3_T4_jT5_jj.num_vgpr, 52
	.set _ZN7rocprim17ROCPRIM_304000_NS6detail28radix_sort_block_sort_kernelINS1_36wrapped_radix_sort_block_sort_configINS0_13kernel_configILj256ELj4ELj4294967295EEEhN2at4cuda3cub6detail10OpaqueTypeILi8EEEEELb0EPKhPhPKSB_PSB_NS0_19identity_decomposerEEEvT1_T2_T3_T4_jT5_jj.num_agpr, 0
	.set _ZN7rocprim17ROCPRIM_304000_NS6detail28radix_sort_block_sort_kernelINS1_36wrapped_radix_sort_block_sort_configINS0_13kernel_configILj256ELj4ELj4294967295EEEhN2at4cuda3cub6detail10OpaqueTypeILi8EEEEELb0EPKhPhPKSB_PSB_NS0_19identity_decomposerEEEvT1_T2_T3_T4_jT5_jj.numbered_sgpr, 44
	.set _ZN7rocprim17ROCPRIM_304000_NS6detail28radix_sort_block_sort_kernelINS1_36wrapped_radix_sort_block_sort_configINS0_13kernel_configILj256ELj4ELj4294967295EEEhN2at4cuda3cub6detail10OpaqueTypeILi8EEEEELb0EPKhPhPKSB_PSB_NS0_19identity_decomposerEEEvT1_T2_T3_T4_jT5_jj.num_named_barrier, 0
	.set _ZN7rocprim17ROCPRIM_304000_NS6detail28radix_sort_block_sort_kernelINS1_36wrapped_radix_sort_block_sort_configINS0_13kernel_configILj256ELj4ELj4294967295EEEhN2at4cuda3cub6detail10OpaqueTypeILi8EEEEELb0EPKhPhPKSB_PSB_NS0_19identity_decomposerEEEvT1_T2_T3_T4_jT5_jj.private_seg_size, 0
	.set _ZN7rocprim17ROCPRIM_304000_NS6detail28radix_sort_block_sort_kernelINS1_36wrapped_radix_sort_block_sort_configINS0_13kernel_configILj256ELj4ELj4294967295EEEhN2at4cuda3cub6detail10OpaqueTypeILi8EEEEELb0EPKhPhPKSB_PSB_NS0_19identity_decomposerEEEvT1_T2_T3_T4_jT5_jj.uses_vcc, 1
	.set _ZN7rocprim17ROCPRIM_304000_NS6detail28radix_sort_block_sort_kernelINS1_36wrapped_radix_sort_block_sort_configINS0_13kernel_configILj256ELj4ELj4294967295EEEhN2at4cuda3cub6detail10OpaqueTypeILi8EEEEELb0EPKhPhPKSB_PSB_NS0_19identity_decomposerEEEvT1_T2_T3_T4_jT5_jj.uses_flat_scratch, 0
	.set _ZN7rocprim17ROCPRIM_304000_NS6detail28radix_sort_block_sort_kernelINS1_36wrapped_radix_sort_block_sort_configINS0_13kernel_configILj256ELj4ELj4294967295EEEhN2at4cuda3cub6detail10OpaqueTypeILi8EEEEELb0EPKhPhPKSB_PSB_NS0_19identity_decomposerEEEvT1_T2_T3_T4_jT5_jj.has_dyn_sized_stack, 0
	.set _ZN7rocprim17ROCPRIM_304000_NS6detail28radix_sort_block_sort_kernelINS1_36wrapped_radix_sort_block_sort_configINS0_13kernel_configILj256ELj4ELj4294967295EEEhN2at4cuda3cub6detail10OpaqueTypeILi8EEEEELb0EPKhPhPKSB_PSB_NS0_19identity_decomposerEEEvT1_T2_T3_T4_jT5_jj.has_recursion, 0
	.set _ZN7rocprim17ROCPRIM_304000_NS6detail28radix_sort_block_sort_kernelINS1_36wrapped_radix_sort_block_sort_configINS0_13kernel_configILj256ELj4ELj4294967295EEEhN2at4cuda3cub6detail10OpaqueTypeILi8EEEEELb0EPKhPhPKSB_PSB_NS0_19identity_decomposerEEEvT1_T2_T3_T4_jT5_jj.has_indirect_call, 0
	.section	.AMDGPU.csdata,"",@progbits
; Kernel info:
; codeLenInByte = 3804
; TotalNumSgprs: 48
; NumVgprs: 52
; ScratchSize: 0
; MemoryBound: 0
; FloatMode: 240
; IeeeMode: 1
; LDSByteSize: 8192 bytes/workgroup (compile time only)
; SGPRBlocks: 8
; VGPRBlocks: 12
; NumSGPRsForWavesPerEU: 65
; NumVGPRsForWavesPerEU: 52
; Occupancy: 4
; WaveLimiterHint : 1
; COMPUTE_PGM_RSRC2:SCRATCH_EN: 0
; COMPUTE_PGM_RSRC2:USER_SGPR: 6
; COMPUTE_PGM_RSRC2:TRAP_HANDLER: 0
; COMPUTE_PGM_RSRC2:TGID_X_EN: 1
; COMPUTE_PGM_RSRC2:TGID_Y_EN: 0
; COMPUTE_PGM_RSRC2:TGID_Z_EN: 0
; COMPUTE_PGM_RSRC2:TIDIG_COMP_CNT: 2
	.section	.text._ZN7rocprim17ROCPRIM_304000_NS6detail45device_block_merge_mergepath_partition_kernelINS1_37wrapped_merge_sort_block_merge_configINS0_14default_configEhN2at4cuda3cub6detail10OpaqueTypeILi8EEEEEPhjNS1_19radix_merge_compareILb0ELb0EhNS0_19identity_decomposerEEEEEvT0_T1_jPSH_T2_SH_,"axG",@progbits,_ZN7rocprim17ROCPRIM_304000_NS6detail45device_block_merge_mergepath_partition_kernelINS1_37wrapped_merge_sort_block_merge_configINS0_14default_configEhN2at4cuda3cub6detail10OpaqueTypeILi8EEEEEPhjNS1_19radix_merge_compareILb0ELb0EhNS0_19identity_decomposerEEEEEvT0_T1_jPSH_T2_SH_,comdat
	.protected	_ZN7rocprim17ROCPRIM_304000_NS6detail45device_block_merge_mergepath_partition_kernelINS1_37wrapped_merge_sort_block_merge_configINS0_14default_configEhN2at4cuda3cub6detail10OpaqueTypeILi8EEEEEPhjNS1_19radix_merge_compareILb0ELb0EhNS0_19identity_decomposerEEEEEvT0_T1_jPSH_T2_SH_ ; -- Begin function _ZN7rocprim17ROCPRIM_304000_NS6detail45device_block_merge_mergepath_partition_kernelINS1_37wrapped_merge_sort_block_merge_configINS0_14default_configEhN2at4cuda3cub6detail10OpaqueTypeILi8EEEEEPhjNS1_19radix_merge_compareILb0ELb0EhNS0_19identity_decomposerEEEEEvT0_T1_jPSH_T2_SH_
	.globl	_ZN7rocprim17ROCPRIM_304000_NS6detail45device_block_merge_mergepath_partition_kernelINS1_37wrapped_merge_sort_block_merge_configINS0_14default_configEhN2at4cuda3cub6detail10OpaqueTypeILi8EEEEEPhjNS1_19radix_merge_compareILb0ELb0EhNS0_19identity_decomposerEEEEEvT0_T1_jPSH_T2_SH_
	.p2align	8
	.type	_ZN7rocprim17ROCPRIM_304000_NS6detail45device_block_merge_mergepath_partition_kernelINS1_37wrapped_merge_sort_block_merge_configINS0_14default_configEhN2at4cuda3cub6detail10OpaqueTypeILi8EEEEEPhjNS1_19radix_merge_compareILb0ELb0EhNS0_19identity_decomposerEEEEEvT0_T1_jPSH_T2_SH_,@function
_ZN7rocprim17ROCPRIM_304000_NS6detail45device_block_merge_mergepath_partition_kernelINS1_37wrapped_merge_sort_block_merge_configINS0_14default_configEhN2at4cuda3cub6detail10OpaqueTypeILi8EEEEEPhjNS1_19radix_merge_compareILb0ELb0EhNS0_19identity_decomposerEEEEEvT0_T1_jPSH_T2_SH_: ; @_ZN7rocprim17ROCPRIM_304000_NS6detail45device_block_merge_mergepath_partition_kernelINS1_37wrapped_merge_sort_block_merge_configINS0_14default_configEhN2at4cuda3cub6detail10OpaqueTypeILi8EEEEEPhjNS1_19radix_merge_compareILb0ELb0EhNS0_19identity_decomposerEEEEEvT0_T1_jPSH_T2_SH_
; %bb.0:
	s_load_dwordx2 s[0:1], s[4:5], 0x8
	v_lshl_or_b32 v0, s6, 7, v0
	s_waitcnt lgkmcnt(0)
	v_cmp_gt_u32_e32 vcc, s1, v0
	s_and_saveexec_b64 s[2:3], vcc
	s_cbranch_execz .LBB17_6
; %bb.1:
	s_load_dword s1, s[4:5], 0x1c
	s_waitcnt lgkmcnt(0)
	s_lshr_b32 s2, s1, 9
	s_and_b32 s2, s2, 0x7ffffe
	s_add_i32 s3, s2, -1
	s_sub_i32 s2, 0, s2
	v_and_b32_e32 v1, s2, v0
	v_lshlrev_b32_e32 v3, 10, v1
	v_min_u32_e32 v1, s0, v3
	v_add_u32_e32 v3, s1, v3
	v_min_u32_e32 v7, s0, v3
	v_add_u32_e32 v3, s1, v7
	v_and_b32_e32 v2, s3, v0
	v_min_u32_e32 v4, s0, v3
	v_lshlrev_b32_e32 v2, 10, v2
	v_sub_u32_e32 v3, v4, v1
	v_min_u32_e32 v3, v3, v2
	v_sub_u32_e32 v5, v7, v1
	v_sub_u32_e32 v2, v4, v7
	v_sub_u32_e64 v2, v3, v2 clamp
	v_min_u32_e32 v4, v3, v5
	v_cmp_lt_u32_e32 vcc, v2, v4
	s_and_saveexec_b64 s[0:1], vcc
	s_cbranch_execz .LBB17_5
; %bb.2:
	s_load_dwordx2 s[2:3], s[4:5], 0x0
	s_waitcnt lgkmcnt(0)
	v_mov_b32_e32 v8, s3
	v_add_co_u32_e32 v5, vcc, s2, v1
	v_addc_co_u32_e32 v6, vcc, 0, v8, vcc
	v_add_co_u32_e32 v7, vcc, s2, v7
	v_addc_co_u32_e32 v8, vcc, 0, v8, vcc
	s_mov_b64 s[2:3], 0
.LBB17_3:                               ; =>This Inner Loop Header: Depth=1
	v_add_u32_e32 v9, v4, v2
	v_lshrrev_b32_e32 v13, 1, v9
	v_add_co_u32_e32 v9, vcc, v5, v13
	v_xad_u32 v11, v13, -1, v3
	v_addc_co_u32_e32 v10, vcc, 0, v6, vcc
	v_add_co_u32_e32 v11, vcc, v7, v11
	v_addc_co_u32_e32 v12, vcc, 0, v8, vcc
	global_load_ubyte v14, v[9:10], off
	global_load_ubyte v15, v[11:12], off
	v_add_u32_e32 v9, 1, v13
	s_waitcnt vmcnt(0)
	v_cmp_gt_u16_e32 vcc, v14, v15
	v_cndmask_b32_e32 v4, v4, v13, vcc
	v_cndmask_b32_e32 v2, v9, v2, vcc
	v_cmp_ge_u32_e32 vcc, v2, v4
	s_or_b64 s[2:3], vcc, s[2:3]
	s_andn2_b64 exec, exec, s[2:3]
	s_cbranch_execnz .LBB17_3
; %bb.4:
	s_or_b64 exec, exec, s[2:3]
.LBB17_5:
	s_or_b64 exec, exec, s[0:1]
	s_load_dwordx2 s[0:1], s[4:5], 0x10
	v_add_u32_e32 v2, v2, v1
	v_mov_b32_e32 v1, 0
	v_lshlrev_b64 v[0:1], 2, v[0:1]
	s_waitcnt lgkmcnt(0)
	v_mov_b32_e32 v3, s1
	v_add_co_u32_e32 v0, vcc, s0, v0
	v_addc_co_u32_e32 v1, vcc, v3, v1, vcc
	global_store_dword v[0:1], v2, off
.LBB17_6:
	s_endpgm
	.section	.rodata,"a",@progbits
	.p2align	6, 0x0
	.amdhsa_kernel _ZN7rocprim17ROCPRIM_304000_NS6detail45device_block_merge_mergepath_partition_kernelINS1_37wrapped_merge_sort_block_merge_configINS0_14default_configEhN2at4cuda3cub6detail10OpaqueTypeILi8EEEEEPhjNS1_19radix_merge_compareILb0ELb0EhNS0_19identity_decomposerEEEEEvT0_T1_jPSH_T2_SH_
		.amdhsa_group_segment_fixed_size 0
		.amdhsa_private_segment_fixed_size 0
		.amdhsa_kernarg_size 32
		.amdhsa_user_sgpr_count 6
		.amdhsa_user_sgpr_private_segment_buffer 1
		.amdhsa_user_sgpr_dispatch_ptr 0
		.amdhsa_user_sgpr_queue_ptr 0
		.amdhsa_user_sgpr_kernarg_segment_ptr 1
		.amdhsa_user_sgpr_dispatch_id 0
		.amdhsa_user_sgpr_flat_scratch_init 0
		.amdhsa_user_sgpr_private_segment_size 0
		.amdhsa_uses_dynamic_stack 0
		.amdhsa_system_sgpr_private_segment_wavefront_offset 0
		.amdhsa_system_sgpr_workgroup_id_x 1
		.amdhsa_system_sgpr_workgroup_id_y 0
		.amdhsa_system_sgpr_workgroup_id_z 0
		.amdhsa_system_sgpr_workgroup_info 0
		.amdhsa_system_vgpr_workitem_id 0
		.amdhsa_next_free_vgpr 16
		.amdhsa_next_free_sgpr 7
		.amdhsa_reserve_vcc 1
		.amdhsa_reserve_flat_scratch 0
		.amdhsa_float_round_mode_32 0
		.amdhsa_float_round_mode_16_64 0
		.amdhsa_float_denorm_mode_32 3
		.amdhsa_float_denorm_mode_16_64 3
		.amdhsa_dx10_clamp 1
		.amdhsa_ieee_mode 1
		.amdhsa_fp16_overflow 0
		.amdhsa_exception_fp_ieee_invalid_op 0
		.amdhsa_exception_fp_denorm_src 0
		.amdhsa_exception_fp_ieee_div_zero 0
		.amdhsa_exception_fp_ieee_overflow 0
		.amdhsa_exception_fp_ieee_underflow 0
		.amdhsa_exception_fp_ieee_inexact 0
		.amdhsa_exception_int_div_zero 0
	.end_amdhsa_kernel
	.section	.text._ZN7rocprim17ROCPRIM_304000_NS6detail45device_block_merge_mergepath_partition_kernelINS1_37wrapped_merge_sort_block_merge_configINS0_14default_configEhN2at4cuda3cub6detail10OpaqueTypeILi8EEEEEPhjNS1_19radix_merge_compareILb0ELb0EhNS0_19identity_decomposerEEEEEvT0_T1_jPSH_T2_SH_,"axG",@progbits,_ZN7rocprim17ROCPRIM_304000_NS6detail45device_block_merge_mergepath_partition_kernelINS1_37wrapped_merge_sort_block_merge_configINS0_14default_configEhN2at4cuda3cub6detail10OpaqueTypeILi8EEEEEPhjNS1_19radix_merge_compareILb0ELb0EhNS0_19identity_decomposerEEEEEvT0_T1_jPSH_T2_SH_,comdat
.Lfunc_end17:
	.size	_ZN7rocprim17ROCPRIM_304000_NS6detail45device_block_merge_mergepath_partition_kernelINS1_37wrapped_merge_sort_block_merge_configINS0_14default_configEhN2at4cuda3cub6detail10OpaqueTypeILi8EEEEEPhjNS1_19radix_merge_compareILb0ELb0EhNS0_19identity_decomposerEEEEEvT0_T1_jPSH_T2_SH_, .Lfunc_end17-_ZN7rocprim17ROCPRIM_304000_NS6detail45device_block_merge_mergepath_partition_kernelINS1_37wrapped_merge_sort_block_merge_configINS0_14default_configEhN2at4cuda3cub6detail10OpaqueTypeILi8EEEEEPhjNS1_19radix_merge_compareILb0ELb0EhNS0_19identity_decomposerEEEEEvT0_T1_jPSH_T2_SH_
                                        ; -- End function
	.set _ZN7rocprim17ROCPRIM_304000_NS6detail45device_block_merge_mergepath_partition_kernelINS1_37wrapped_merge_sort_block_merge_configINS0_14default_configEhN2at4cuda3cub6detail10OpaqueTypeILi8EEEEEPhjNS1_19radix_merge_compareILb0ELb0EhNS0_19identity_decomposerEEEEEvT0_T1_jPSH_T2_SH_.num_vgpr, 16
	.set _ZN7rocprim17ROCPRIM_304000_NS6detail45device_block_merge_mergepath_partition_kernelINS1_37wrapped_merge_sort_block_merge_configINS0_14default_configEhN2at4cuda3cub6detail10OpaqueTypeILi8EEEEEPhjNS1_19radix_merge_compareILb0ELb0EhNS0_19identity_decomposerEEEEEvT0_T1_jPSH_T2_SH_.num_agpr, 0
	.set _ZN7rocprim17ROCPRIM_304000_NS6detail45device_block_merge_mergepath_partition_kernelINS1_37wrapped_merge_sort_block_merge_configINS0_14default_configEhN2at4cuda3cub6detail10OpaqueTypeILi8EEEEEPhjNS1_19radix_merge_compareILb0ELb0EhNS0_19identity_decomposerEEEEEvT0_T1_jPSH_T2_SH_.numbered_sgpr, 7
	.set _ZN7rocprim17ROCPRIM_304000_NS6detail45device_block_merge_mergepath_partition_kernelINS1_37wrapped_merge_sort_block_merge_configINS0_14default_configEhN2at4cuda3cub6detail10OpaqueTypeILi8EEEEEPhjNS1_19radix_merge_compareILb0ELb0EhNS0_19identity_decomposerEEEEEvT0_T1_jPSH_T2_SH_.num_named_barrier, 0
	.set _ZN7rocprim17ROCPRIM_304000_NS6detail45device_block_merge_mergepath_partition_kernelINS1_37wrapped_merge_sort_block_merge_configINS0_14default_configEhN2at4cuda3cub6detail10OpaqueTypeILi8EEEEEPhjNS1_19radix_merge_compareILb0ELb0EhNS0_19identity_decomposerEEEEEvT0_T1_jPSH_T2_SH_.private_seg_size, 0
	.set _ZN7rocprim17ROCPRIM_304000_NS6detail45device_block_merge_mergepath_partition_kernelINS1_37wrapped_merge_sort_block_merge_configINS0_14default_configEhN2at4cuda3cub6detail10OpaqueTypeILi8EEEEEPhjNS1_19radix_merge_compareILb0ELb0EhNS0_19identity_decomposerEEEEEvT0_T1_jPSH_T2_SH_.uses_vcc, 1
	.set _ZN7rocprim17ROCPRIM_304000_NS6detail45device_block_merge_mergepath_partition_kernelINS1_37wrapped_merge_sort_block_merge_configINS0_14default_configEhN2at4cuda3cub6detail10OpaqueTypeILi8EEEEEPhjNS1_19radix_merge_compareILb0ELb0EhNS0_19identity_decomposerEEEEEvT0_T1_jPSH_T2_SH_.uses_flat_scratch, 0
	.set _ZN7rocprim17ROCPRIM_304000_NS6detail45device_block_merge_mergepath_partition_kernelINS1_37wrapped_merge_sort_block_merge_configINS0_14default_configEhN2at4cuda3cub6detail10OpaqueTypeILi8EEEEEPhjNS1_19radix_merge_compareILb0ELb0EhNS0_19identity_decomposerEEEEEvT0_T1_jPSH_T2_SH_.has_dyn_sized_stack, 0
	.set _ZN7rocprim17ROCPRIM_304000_NS6detail45device_block_merge_mergepath_partition_kernelINS1_37wrapped_merge_sort_block_merge_configINS0_14default_configEhN2at4cuda3cub6detail10OpaqueTypeILi8EEEEEPhjNS1_19radix_merge_compareILb0ELb0EhNS0_19identity_decomposerEEEEEvT0_T1_jPSH_T2_SH_.has_recursion, 0
	.set _ZN7rocprim17ROCPRIM_304000_NS6detail45device_block_merge_mergepath_partition_kernelINS1_37wrapped_merge_sort_block_merge_configINS0_14default_configEhN2at4cuda3cub6detail10OpaqueTypeILi8EEEEEPhjNS1_19radix_merge_compareILb0ELb0EhNS0_19identity_decomposerEEEEEvT0_T1_jPSH_T2_SH_.has_indirect_call, 0
	.section	.AMDGPU.csdata,"",@progbits
; Kernel info:
; codeLenInByte = 320
; TotalNumSgprs: 11
; NumVgprs: 16
; ScratchSize: 0
; MemoryBound: 0
; FloatMode: 240
; IeeeMode: 1
; LDSByteSize: 0 bytes/workgroup (compile time only)
; SGPRBlocks: 1
; VGPRBlocks: 3
; NumSGPRsForWavesPerEU: 11
; NumVGPRsForWavesPerEU: 16
; Occupancy: 10
; WaveLimiterHint : 0
; COMPUTE_PGM_RSRC2:SCRATCH_EN: 0
; COMPUTE_PGM_RSRC2:USER_SGPR: 6
; COMPUTE_PGM_RSRC2:TRAP_HANDLER: 0
; COMPUTE_PGM_RSRC2:TGID_X_EN: 1
; COMPUTE_PGM_RSRC2:TGID_Y_EN: 0
; COMPUTE_PGM_RSRC2:TGID_Z_EN: 0
; COMPUTE_PGM_RSRC2:TIDIG_COMP_CNT: 0
	.section	.text._ZN7rocprim17ROCPRIM_304000_NS6detail35device_block_merge_mergepath_kernelINS1_37wrapped_merge_sort_block_merge_configINS0_14default_configEhN2at4cuda3cub6detail10OpaqueTypeILi8EEEEEPhSC_PSA_SD_jNS1_19radix_merge_compareILb0ELb0EhNS0_19identity_decomposerEEEEEvT0_T1_T2_T3_T4_SL_jT5_PKSL_NS1_7vsmem_tE,"axG",@progbits,_ZN7rocprim17ROCPRIM_304000_NS6detail35device_block_merge_mergepath_kernelINS1_37wrapped_merge_sort_block_merge_configINS0_14default_configEhN2at4cuda3cub6detail10OpaqueTypeILi8EEEEEPhSC_PSA_SD_jNS1_19radix_merge_compareILb0ELb0EhNS0_19identity_decomposerEEEEEvT0_T1_T2_T3_T4_SL_jT5_PKSL_NS1_7vsmem_tE,comdat
	.protected	_ZN7rocprim17ROCPRIM_304000_NS6detail35device_block_merge_mergepath_kernelINS1_37wrapped_merge_sort_block_merge_configINS0_14default_configEhN2at4cuda3cub6detail10OpaqueTypeILi8EEEEEPhSC_PSA_SD_jNS1_19radix_merge_compareILb0ELb0EhNS0_19identity_decomposerEEEEEvT0_T1_T2_T3_T4_SL_jT5_PKSL_NS1_7vsmem_tE ; -- Begin function _ZN7rocprim17ROCPRIM_304000_NS6detail35device_block_merge_mergepath_kernelINS1_37wrapped_merge_sort_block_merge_configINS0_14default_configEhN2at4cuda3cub6detail10OpaqueTypeILi8EEEEEPhSC_PSA_SD_jNS1_19radix_merge_compareILb0ELb0EhNS0_19identity_decomposerEEEEEvT0_T1_T2_T3_T4_SL_jT5_PKSL_NS1_7vsmem_tE
	.globl	_ZN7rocprim17ROCPRIM_304000_NS6detail35device_block_merge_mergepath_kernelINS1_37wrapped_merge_sort_block_merge_configINS0_14default_configEhN2at4cuda3cub6detail10OpaqueTypeILi8EEEEEPhSC_PSA_SD_jNS1_19radix_merge_compareILb0ELb0EhNS0_19identity_decomposerEEEEEvT0_T1_T2_T3_T4_SL_jT5_PKSL_NS1_7vsmem_tE
	.p2align	8
	.type	_ZN7rocprim17ROCPRIM_304000_NS6detail35device_block_merge_mergepath_kernelINS1_37wrapped_merge_sort_block_merge_configINS0_14default_configEhN2at4cuda3cub6detail10OpaqueTypeILi8EEEEEPhSC_PSA_SD_jNS1_19radix_merge_compareILb0ELb0EhNS0_19identity_decomposerEEEEEvT0_T1_T2_T3_T4_SL_jT5_PKSL_NS1_7vsmem_tE,@function
_ZN7rocprim17ROCPRIM_304000_NS6detail35device_block_merge_mergepath_kernelINS1_37wrapped_merge_sort_block_merge_configINS0_14default_configEhN2at4cuda3cub6detail10OpaqueTypeILi8EEEEEPhSC_PSA_SD_jNS1_19radix_merge_compareILb0ELb0EhNS0_19identity_decomposerEEEEEvT0_T1_T2_T3_T4_SL_jT5_PKSL_NS1_7vsmem_tE: ; @_ZN7rocprim17ROCPRIM_304000_NS6detail35device_block_merge_mergepath_kernelINS1_37wrapped_merge_sort_block_merge_configINS0_14default_configEhN2at4cuda3cub6detail10OpaqueTypeILi8EEEEEPhSC_PSA_SD_jNS1_19radix_merge_compareILb0ELb0EhNS0_19identity_decomposerEEEEEvT0_T1_T2_T3_T4_SL_jT5_PKSL_NS1_7vsmem_tE
; %bb.0:
	s_load_dwordx2 s[10:11], s[4:5], 0x40
	s_load_dwordx4 s[20:23], s[4:5], 0x20
	s_add_u32 s2, s4, 64
	s_addc_u32 s3, s5, 0
	s_waitcnt lgkmcnt(0)
	s_mul_i32 s0, s11, s8
	s_add_i32 s0, s0, s7
	s_mul_i32 s0, s0, s10
	s_add_i32 s0, s0, s6
	s_cmp_ge_u32 s0, s22
	s_cbranch_scc1 .LBB18_109
; %bb.1:
	s_load_dwordx8 s[12:19], s[4:5], 0x0
	s_load_dwordx2 s[8:9], s[4:5], 0x30
	s_lshr_b32 s11, s20, 10
	s_cmp_lg_u32 s0, s11
	s_mov_b32 s1, 0
	s_cselect_b64 s[22:23], -1, 0
	s_lshl_b64 s[4:5], s[0:1], 2
	s_waitcnt lgkmcnt(0)
	s_add_u32 s4, s8, s4
	s_addc_u32 s5, s9, s5
	s_load_dwordx2 s[24:25], s[4:5], 0x0
	s_lshr_b32 s4, s21, 9
	s_and_b32 s4, s4, 0x7ffffe
	s_sub_i32 s4, 0, s4
	s_and_b32 s5, s0, s4
	s_lshl_b32 s7, s5, 10
	s_lshl_b32 s28, s0, 10
	;; [unrolled: 1-line block ×3, first 2 shown]
	s_sub_i32 s8, s28, s7
	s_add_i32 s5, s5, s21
	s_add_i32 s8, s5, s8
	s_waitcnt lgkmcnt(0)
	s_sub_i32 s9, s8, s24
	s_sub_i32 s8, s8, s25
	;; [unrolled: 1-line block ×3, first 2 shown]
	s_min_u32 s26, s20, s9
	s_addk_i32 s8, 0x400
	s_or_b32 s4, s0, s4
	s_min_u32 s7, s20, s5
	s_add_i32 s5, s5, s21
	s_cmp_eq_u32 s4, -1
	s_cselect_b32 s4, s5, s8
	s_cselect_b32 s5, s7, s25
	s_min_u32 s4, s4, s20
	s_sub_i32 s29, s5, s24
	s_sub_i32 s30, s4, s26
	s_add_u32 s5, s12, s24
	s_addc_u32 s7, s13, 0
	s_add_u32 s4, s12, s26
	v_mov_b32_e32 v1, 0
	global_load_dword v2, v1, s[2:3] offset:14
	s_addc_u32 s8, s13, 0
	s_cmp_lt_u32 s6, s10
	s_cselect_b32 s6, 12, 18
	s_add_u32 s2, s2, s6
	s_addc_u32 s3, s3, 0
	global_load_ushort v1, v1, s[2:3]
	s_mov_b32 s25, s1
	s_mov_b32 s27, s1
	s_cmp_eq_u32 s0, s11
	s_waitcnt vmcnt(1)
	v_lshrrev_b32_e32 v3, 16, v2
	v_and_b32_e32 v2, 0xffff, v2
	v_mul_lo_u32 v2, v2, v3
	s_waitcnt vmcnt(0)
	v_mul_lo_u32 v3, v2, v1
	v_add_u32_e32 v5, v3, v0
	v_add_u32_e32 v4, v5, v3
	s_cbranch_scc1 .LBB18_3
; %bb.2:
	v_mov_b32_e32 v1, s7
	v_add_co_u32_e32 v6, vcc, s5, v0
	v_addc_co_u32_e32 v1, vcc, 0, v1, vcc
	v_subrev_co_u32_e32 v2, vcc, s29, v0
	v_mov_b32_e32 v7, s8
	v_add_co_u32_e64 v8, s[0:1], s4, v2
	v_addc_co_u32_e64 v2, s[0:1], 0, v7, s[0:1]
	v_cndmask_b32_e32 v2, v2, v1, vcc
	v_cndmask_b32_e32 v1, v8, v6, vcc
	v_mov_b32_e32 v6, s7
	v_add_co_u32_e32 v8, vcc, s5, v5
	v_addc_co_u32_e32 v6, vcc, 0, v6, vcc
	v_subrev_co_u32_e32 v7, vcc, s29, v5
	v_mov_b32_e32 v9, s8
	v_add_co_u32_e64 v10, s[0:1], s4, v7
	v_addc_co_u32_e64 v7, s[0:1], 0, v9, s[0:1]
	v_cndmask_b32_e32 v7, v7, v6, vcc
	v_cndmask_b32_e32 v6, v10, v8, vcc
	;; [unrolled: 9-line block ×3, first 2 shown]
	v_add_u32_e32 v12, v4, v3
	v_mov_b32_e32 v10, s7
	v_add_co_u32_e32 v13, vcc, s5, v12
	v_addc_co_u32_e32 v10, vcc, 0, v10, vcc
	v_subrev_co_u32_e32 v11, vcc, s29, v12
	v_mov_b32_e32 v14, s8
	v_add_co_u32_e64 v15, s[0:1], s4, v11
	v_addc_co_u32_e64 v11, s[0:1], 0, v14, s[0:1]
	v_add_u32_e32 v14, v12, v3
	v_cndmask_b32_e32 v11, v11, v10, vcc
	v_cndmask_b32_e32 v10, v15, v13, vcc
	v_mov_b32_e32 v12, s7
	v_add_co_u32_e32 v15, vcc, s5, v14
	v_addc_co_u32_e32 v12, vcc, 0, v12, vcc
	v_subrev_co_u32_e32 v13, vcc, s29, v14
	v_mov_b32_e32 v16, s8
	v_add_co_u32_e64 v17, s[0:1], s4, v13
	v_addc_co_u32_e64 v13, s[0:1], 0, v16, s[0:1]
	v_add_u32_e32 v16, v14, v3
	v_cndmask_b32_e32 v13, v13, v12, vcc
	v_cndmask_b32_e32 v12, v17, v15, vcc
	;; [unrolled: 10-line block ×4, first 2 shown]
	v_mov_b32_e32 v19, s7
	v_add_co_u32_e32 v20, vcc, s5, v18
	v_addc_co_u32_e32 v19, vcc, 0, v19, vcc
	v_subrev_co_u32_e32 v18, vcc, s29, v18
	v_mov_b32_e32 v21, s8
	v_add_co_u32_e64 v18, s[0:1], s4, v18
	v_addc_co_u32_e64 v21, s[0:1], 0, v21, s[0:1]
	v_cndmask_b32_e32 v19, v21, v19, vcc
	v_cndmask_b32_e32 v18, v18, v20, vcc
	global_load_ubyte v20, v[1:2], off
	global_load_ubyte v21, v[6:7], off
	;; [unrolled: 1-line block ×8, first 2 shown]
	s_mov_b32 s0, 0xc0c0004
	s_add_i32 s21, s30, s29
	s_waitcnt vmcnt(6)
	v_perm_b32 v1, v20, v21, s0
	s_waitcnt vmcnt(4)
	v_perm_b32 v2, v22, v23, s0
	v_lshl_or_b32 v1, v2, 16, v1
	s_waitcnt vmcnt(2)
	v_perm_b32 v2, v24, v25, s0
	s_waitcnt vmcnt(0)
	v_perm_b32 v6, v26, v27, s0
	v_lshl_or_b32 v2, v6, 16, v2
	s_cbranch_execz .LBB18_4
	s_branch .LBB18_19
.LBB18_3:
                                        ; implicit-def: $vgpr1_vgpr2
                                        ; implicit-def: $sgpr21
.LBB18_4:
	s_add_i32 s21, s30, s29
	v_mov_b32_e32 v1, 0
	v_cmp_gt_u32_e32 vcc, s21, v0
	s_mov_b32 s6, 0
	v_mov_b32_e32 v2, v1
	s_and_saveexec_b64 s[2:3], vcc
	s_cbranch_execnz .LBB18_110
; %bb.5:
	s_or_b64 exec, exec, s[2:3]
	v_cmp_gt_u32_e32 vcc, s21, v5
	s_and_saveexec_b64 s[2:3], vcc
	s_cbranch_execnz .LBB18_111
.LBB18_6:
	s_or_b64 exec, exec, s[2:3]
	v_cmp_gt_u32_e32 vcc, s21, v4
	s_and_saveexec_b64 s[2:3], vcc
	s_cbranch_execz .LBB18_8
.LBB18_7:
	v_mov_b32_e32 v5, s7
	v_add_co_u32_e32 v7, vcc, s5, v4
	v_addc_co_u32_e32 v5, vcc, 0, v5, vcc
	v_subrev_co_u32_e32 v6, vcc, s29, v4
	v_mov_b32_e32 v8, s8
	v_add_co_u32_e64 v9, s[0:1], s4, v6
	v_addc_co_u32_e64 v6, s[0:1], 0, v8, s[0:1]
	v_cndmask_b32_e32 v6, v6, v5, vcc
	v_cndmask_b32_e32 v5, v9, v7, vcc
	global_load_ubyte v5, v[5:6], off
	s_mov_b32 s0, 0xc0c0304
	s_waitcnt vmcnt(0)
	v_perm_b32 v5, v5, v1, s0
	v_lshlrev_b32_e32 v5, 16, v5
	s_mov_b32 s0, 0xffff
	v_and_or_b32 v1, v1, s0, v5
.LBB18_8:
	s_or_b64 exec, exec, s[2:3]
	v_add_u32_e32 v4, v4, v3
	v_cmp_gt_u32_e32 vcc, s21, v4
	s_and_saveexec_b64 s[2:3], vcc
	s_cbranch_execz .LBB18_10
; %bb.9:
	v_mov_b32_e32 v5, s7
	v_add_co_u32_e32 v7, vcc, s5, v4
	v_addc_co_u32_e32 v5, vcc, 0, v5, vcc
	v_subrev_co_u32_e32 v6, vcc, s29, v4
	v_mov_b32_e32 v8, s8
	v_add_co_u32_e64 v9, s[0:1], s4, v6
	v_addc_co_u32_e64 v6, s[0:1], 0, v8, s[0:1]
	v_cndmask_b32_e32 v6, v6, v5, vcc
	v_cndmask_b32_e32 v5, v9, v7, vcc
	global_load_ubyte v5, v[5:6], off
	s_mov_b32 s0, 0xc0c0006
	s_waitcnt vmcnt(0)
	v_perm_b32 v5, v1, v5, s0
	v_lshlrev_b32_e32 v5, 16, v5
	s_mov_b32 s0, 0xffff
	v_and_or_b32 v1, v1, s0, v5
.LBB18_10:
	s_or_b64 exec, exec, s[2:3]
	v_add_u32_e32 v4, v4, v3
	v_cmp_gt_u32_e32 vcc, s21, v4
	s_and_saveexec_b64 s[2:3], vcc
	s_cbranch_execz .LBB18_12
; %bb.11:
	v_mov_b32_e32 v5, s7
	v_add_co_u32_e32 v7, vcc, s5, v4
	v_addc_co_u32_e32 v5, vcc, 0, v5, vcc
	v_subrev_co_u32_e32 v6, vcc, s29, v4
	v_mov_b32_e32 v8, s8
	v_add_co_u32_e64 v9, s[0:1], s4, v6
	v_addc_co_u32_e64 v6, s[0:1], 0, v8, s[0:1]
	v_cndmask_b32_e32 v6, v6, v5, vcc
	v_cndmask_b32_e32 v5, v9, v7, vcc
	global_load_ubyte v5, v[5:6], off
	s_mov_b32 s0, 0x3020104
	s_waitcnt vmcnt(0)
	v_perm_b32 v2, v5, v2, s0
.LBB18_12:
	s_or_b64 exec, exec, s[2:3]
	v_add_u32_e32 v4, v4, v3
	v_cmp_gt_u32_e32 vcc, s21, v4
	s_and_saveexec_b64 s[2:3], vcc
	s_cbranch_execz .LBB18_14
; %bb.13:
	v_mov_b32_e32 v5, s7
	v_add_co_u32_e32 v7, vcc, s5, v4
	v_addc_co_u32_e32 v5, vcc, 0, v5, vcc
	v_subrev_co_u32_e32 v6, vcc, s29, v4
	v_mov_b32_e32 v8, s8
	v_add_co_u32_e64 v9, s[0:1], s4, v6
	v_addc_co_u32_e64 v6, s[0:1], 0, v8, s[0:1]
	v_cndmask_b32_e32 v6, v6, v5, vcc
	v_cndmask_b32_e32 v5, v9, v7, vcc
	global_load_ubyte v5, v[5:6], off
	s_mov_b32 s0, 0x7060004
	s_waitcnt vmcnt(0)
	v_perm_b32 v2, v2, v5, s0
.LBB18_14:
	;; [unrolled: 20-line block ×4, first 2 shown]
	s_or_b64 exec, exec, s[2:3]
.LBB18_19:
	v_lshrrev_b32_e32 v3, 8, v1
	ds_write_b8 v0, v1
	ds_write_b8 v0, v3 offset:128
	ds_write_b8_d16_hi v0, v1 offset:256
	v_lshrrev_b32_e32 v3, 24, v1
	ds_write_b8 v0, v3 offset:384
	ds_write_b8 v0, v2 offset:512
	v_lshrrev_b32_e32 v3, 8, v2
	v_lshlrev_b32_e32 v7, 3, v0
	ds_write_b8 v0, v3 offset:640
	ds_write_b8_d16_hi v0, v2 offset:768
	v_lshrrev_b32_e32 v3, 24, v2
	v_min_u32_e32 v4, s21, v7
	ds_write_b8 v0, v3 offset:896
	v_sub_u32_e64 v3, v4, s30 clamp
	v_min_u32_e32 v5, s29, v4
	v_cmp_lt_u32_e32 vcc, v3, v5
	s_waitcnt lgkmcnt(0)
	s_barrier
	s_and_saveexec_b64 s[0:1], vcc
	s_cbranch_execz .LBB18_23
; %bb.20:
	v_add_u32_e32 v6, s29, v4
	s_mov_b64 s[2:3], 0
.LBB18_21:                              ; =>This Inner Loop Header: Depth=1
	v_add_u32_e32 v8, v5, v3
	v_lshrrev_b32_e32 v8, 1, v8
	v_xad_u32 v9, v8, -1, v6
	ds_read_u8 v10, v8
	ds_read_u8 v9, v9
	v_add_u32_e32 v11, 1, v8
	s_waitcnt lgkmcnt(0)
	v_cmp_gt_u16_e32 vcc, v10, v9
	v_cndmask_b32_e32 v5, v5, v8, vcc
	v_cndmask_b32_e32 v3, v11, v3, vcc
	v_cmp_ge_u32_e32 vcc, v3, v5
	s_or_b64 s[2:3], vcc, s[2:3]
	s_andn2_b64 exec, exec, s[2:3]
	s_cbranch_execnz .LBB18_21
; %bb.22:
	s_or_b64 exec, exec, s[2:3]
.LBB18_23:
	s_or_b64 exec, exec, s[0:1]
	v_sub_u32_e32 v4, v4, v3
	v_add_u32_e32 v4, s29, v4
	v_cmp_ge_u32_e32 vcc, s29, v3
	v_cmp_ge_u32_e64 s[0:1], s21, v4
	s_or_b64 s[0:1], vcc, s[0:1]
	v_mov_b32_e32 v8, 0
	v_mov_b32_e32 v9, 0
	;; [unrolled: 1-line block ×8, first 2 shown]
	s_and_saveexec_b64 s[12:13], s[0:1]
	s_cbranch_execz .LBB18_29
; %bb.24:
	v_cmp_gt_u32_e32 vcc, s29, v3
                                        ; implicit-def: $vgpr1
	s_and_saveexec_b64 s[0:1], vcc
; %bb.25:
	ds_read_u8 v1, v3
; %bb.26:
	s_or_b64 exec, exec, s[0:1]
	v_cmp_le_u32_e64 s[0:1], s21, v4
	v_cmp_gt_u32_e64 s[2:3], s21, v4
                                        ; implicit-def: $vgpr2
	s_and_saveexec_b64 s[4:5], s[2:3]
; %bb.27:
	ds_read_u8 v2, v4
; %bb.28:
	s_or_b64 exec, exec, s[4:5]
	s_waitcnt lgkmcnt(0)
	v_cmp_le_u16_sdwa s[2:3], v1, v2 src0_sel:BYTE_0 src1_sel:BYTE_0
	s_and_b64 s[2:3], vcc, s[2:3]
	s_or_b64 vcc, s[0:1], s[2:3]
	v_mov_b32_e32 v5, s21
	v_mov_b32_e32 v6, s29
	v_cndmask_b32_e32 v15, v4, v3, vcc
	v_cndmask_b32_e32 v8, v5, v6, vcc
	v_add_u32_e32 v9, 1, v15
	v_add_u32_e32 v8, -1, v8
	v_min_u32_e32 v8, v9, v8
	ds_read_u8 v8, v8
	v_cndmask_b32_e32 v3, v3, v9, vcc
	v_cndmask_b32_e32 v4, v9, v4, vcc
	v_cmp_gt_u32_e64 s[2:3], s29, v3
	v_cmp_le_u32_e64 s[0:1], s21, v4
	s_waitcnt lgkmcnt(0)
	v_cndmask_b32_e32 v16, v8, v2, vcc
	v_cndmask_b32_e32 v8, v1, v8, vcc
	v_cmp_le_u16_sdwa s[4:5], v8, v16 src0_sel:BYTE_0 src1_sel:BYTE_0
	s_and_b64 s[2:3], s[2:3], s[4:5]
	s_or_b64 s[0:1], s[0:1], s[2:3]
	v_cndmask_b32_e64 v14, v4, v3, s[0:1]
	v_cndmask_b32_e64 v9, v5, v6, s[0:1]
	v_add_u32_e32 v10, 1, v14
	v_add_u32_e32 v9, -1, v9
	v_min_u32_e32 v9, v10, v9
	ds_read_u8 v9, v9
	v_cndmask_b32_e64 v3, v3, v10, s[0:1]
	v_cndmask_b32_e64 v4, v10, v4, s[0:1]
	v_cmp_gt_u32_e64 s[4:5], s29, v3
	v_cmp_le_u32_e64 s[2:3], s21, v4
	s_waitcnt lgkmcnt(0)
	v_cndmask_b32_e64 v17, v9, v16, s[0:1]
	v_cndmask_b32_e64 v9, v8, v9, s[0:1]
	v_cmp_le_u16_sdwa s[6:7], v9, v17 src0_sel:BYTE_0 src1_sel:BYTE_0
	s_and_b64 s[4:5], s[4:5], s[6:7]
	s_or_b64 s[2:3], s[2:3], s[4:5]
	v_cndmask_b32_e64 v13, v4, v3, s[2:3]
	v_cndmask_b32_e64 v10, v5, v6, s[2:3]
	v_add_u32_e32 v11, 1, v13
	v_add_u32_e32 v10, -1, v10
	v_min_u32_e32 v10, v11, v10
	ds_read_u8 v10, v10
	v_cndmask_b32_e64 v3, v3, v11, s[2:3]
	v_cndmask_b32_e64 v4, v11, v4, s[2:3]
	v_cmp_gt_u32_e64 s[6:7], s29, v3
	v_cmp_le_u32_e64 s[4:5], s21, v4
	s_waitcnt lgkmcnt(0)
	v_cndmask_b32_e64 v18, v10, v17, s[2:3]
	v_cndmask_b32_e64 v19, v9, v10, s[2:3]
	;; [unrolled: 16-line block ×4, first 2 shown]
	v_cmp_le_u16_sdwa s[34:35], v24, v23 src0_sel:BYTE_0 src1_sel:BYTE_0
	s_and_b64 s[10:11], s[10:11], s[34:35]
	s_or_b64 s[8:9], s[8:9], s[10:11]
	v_cndmask_b32_e64 v10, v4, v3, s[8:9]
	v_cndmask_b32_e64 v22, v5, v6, s[8:9]
	v_add_u32_e32 v25, 1, v10
	v_add_u32_e32 v22, -1, v22
	v_min_u32_e32 v22, v25, v22
	ds_read_u8 v22, v22
	v_cndmask_b32_e32 v1, v2, v1, vcc
	v_cndmask_b32_e64 v16, v16, v8, s[0:1]
	v_cndmask_b32_e64 v3, v3, v25, s[8:9]
	v_cndmask_b32_e64 v17, v17, v9, s[2:3]
	s_waitcnt lgkmcnt(0)
	v_cndmask_b32_e64 v2, v22, v23, s[8:9]
	v_cndmask_b32_e64 v8, v24, v22, s[8:9]
	;; [unrolled: 1-line block ×3, first 2 shown]
	v_cmp_gt_u32_e64 s[0:1], s29, v3
	v_cmp_le_u16_sdwa s[2:3], v8, v2 src0_sel:BYTE_0 src1_sel:BYTE_0
	v_cmp_le_u32_e32 vcc, s21, v4
	s_and_b64 s[0:1], s[0:1], s[2:3]
	s_or_b64 vcc, vcc, s[0:1]
	v_cndmask_b32_e32 v9, v4, v3, vcc
	v_cndmask_b32_e32 v5, v5, v6, vcc
	v_add_u32_e32 v6, 1, v9
	v_add_u32_e32 v5, -1, v5
	v_min_u32_e32 v5, v6, v5
	ds_read_u8 v5, v5
	v_cndmask_b32_e64 v18, v18, v19, s[4:5]
	v_cndmask_b32_e64 v19, v20, v21, s[6:7]
	v_cndmask_b32_e32 v21, v2, v8, vcc
	v_cndmask_b32_e32 v3, v3, v6, vcc
	s_waitcnt lgkmcnt(0)
	v_cndmask_b32_e32 v2, v5, v2, vcc
	v_cndmask_b32_e32 v5, v8, v5, vcc
	;; [unrolled: 1-line block ×3, first 2 shown]
	v_cmp_gt_u32_e64 s[0:1], s29, v3
	v_cmp_le_u16_sdwa s[2:3], v5, v2 src0_sel:BYTE_0 src1_sel:BYTE_0
	v_cmp_le_u32_e32 vcc, s21, v4
	s_and_b64 s[0:1], s[0:1], s[2:3]
	s_or_b64 vcc, vcc, s[0:1]
	v_cndmask_b32_e64 v20, v23, v24, s[8:9]
	v_cndmask_b32_e32 v2, v2, v5, vcc
	v_cndmask_b32_e32 v8, v4, v3, vcc
	v_lshlrev_b16_e32 v2, 8, v2
	v_lshlrev_b16_e32 v3, 8, v20
	v_or_b32_sdwa v2, v21, v2 dst_sel:WORD_1 dst_unused:UNUSED_PAD src0_sel:BYTE_0 src1_sel:DWORD
	v_or_b32_sdwa v3, v19, v3 dst_sel:DWORD dst_unused:UNUSED_PAD src0_sel:BYTE_0 src1_sel:DWORD
	v_or_b32_sdwa v2, v3, v2 dst_sel:DWORD dst_unused:UNUSED_PAD src0_sel:WORD_0 src1_sel:DWORD
	v_lshlrev_b16_e32 v3, 8, v18
	v_lshlrev_b16_e32 v4, 8, v16
	v_or_b32_sdwa v3, v17, v3 dst_sel:WORD_1 dst_unused:UNUSED_PAD src0_sel:BYTE_0 src1_sel:DWORD
	v_or_b32_sdwa v1, v1, v4 dst_sel:DWORD dst_unused:UNUSED_PAD src0_sel:BYTE_0 src1_sel:DWORD
	v_or_b32_sdwa v1, v1, v3 dst_sel:DWORD dst_unused:UNUSED_PAD src0_sel:WORD_0 src1_sel:DWORD
.LBB18_29:
	s_or_b64 exec, exec, s[12:13]
	s_lshl_b64 s[0:1], s[24:25], 3
	s_add_u32 s8, s16, s0
	s_addc_u32 s9, s17, s1
	s_lshl_b64 s[0:1], s[26:27], 3
	s_add_u32 s6, s16, s0
	v_cndmask_b32_e64 v3, 0, 1, s[22:23]
	s_addc_u32 s7, s17, s1
	v_cmp_gt_u32_e64 s[4:5], s29, v0
	v_cmp_ne_u32_e64 s[0:1], 1, v3
	s_andn2_b64 vcc, exec, s[22:23]
	v_cmp_le_u32_e64 s[2:3], s29, v0
	s_barrier
	s_cbranch_vccnz .LBB18_31
; %bb.30:
	v_mov_b32_e32 v3, s9
	v_add_co_u32_e32 v5, vcc, s8, v7
	v_subrev_u32_e32 v4, s29, v0
	v_addc_co_u32_e32 v3, vcc, 0, v3, vcc
	v_lshlrev_b32_e32 v4, 3, v4
	v_mov_b32_e32 v6, s7
	v_add_co_u32_e32 v16, vcc, s6, v4
	v_addc_co_u32_e32 v4, vcc, 0, v6, vcc
	v_cndmask_b32_e64 v4, v4, v3, s[4:5]
	v_cndmask_b32_e64 v3, v16, v5, s[4:5]
	v_or_b32_e32 v5, 0x80, v0
	v_subrev_u32_e32 v6, s29, v5
	v_min_u32_e32 v6, v5, v6
	v_cmp_gt_u32_e32 vcc, s29, v5
	v_mov_b32_e32 v28, s6
	v_mov_b32_e32 v29, s8
	;; [unrolled: 1-line block ×4, first 2 shown]
	v_cndmask_b32_e32 v5, v28, v29, vcc
	v_lshlrev_b32_e32 v6, 3, v6
	v_cndmask_b32_e32 v16, v26, v27, vcc
	v_add_co_u32_e32 v5, vcc, v5, v6
	v_addc_co_u32_e32 v6, vcc, 0, v16, vcc
	v_or_b32_e32 v16, 0x100, v0
	v_subrev_u32_e32 v17, s29, v16
	v_min_u32_e32 v17, v16, v17
	v_cmp_gt_u32_e32 vcc, s29, v16
	v_cndmask_b32_e32 v16, v28, v29, vcc
	v_lshlrev_b32_e32 v17, 3, v17
	v_cndmask_b32_e32 v18, v26, v27, vcc
	v_add_co_u32_e32 v16, vcc, v16, v17
	v_addc_co_u32_e32 v17, vcc, 0, v18, vcc
	v_or_b32_e32 v18, 0x180, v0
	v_subrev_u32_e32 v19, s29, v18
	v_min_u32_e32 v19, v18, v19
	v_cmp_gt_u32_e32 vcc, s29, v18
	;; [unrolled: 9-line block ×5, first 2 shown]
	global_load_dwordx2 v[3:4], v[3:4], off
	v_cndmask_b32_e32 v24, v28, v29, vcc
	global_load_dwordx2 v[5:6], v[5:6], off
	v_lshlrev_b32_e32 v25, 3, v25
	global_load_dwordx2 v[16:17], v[16:17], off
	v_cndmask_b32_e32 v30, v26, v27, vcc
	global_load_dwordx2 v[18:19], v[18:19], off
	v_add_co_u32_e32 v24, vcc, v24, v25
	global_load_dwordx2 v[20:21], v[20:21], off
	v_addc_co_u32_e32 v25, vcc, 0, v30, vcc
	global_load_dwordx2 v[22:23], v[22:23], off
	s_nop 0
	global_load_dwordx2 v[24:25], v[24:25], off
	s_mov_b64 s[4:5], -1
	s_waitcnt vmcnt(5)
	ds_write2st64_b64 v7, v[3:4], v[5:6] offset1:2
	s_waitcnt vmcnt(3)
	ds_write2st64_b64 v7, v[16:17], v[18:19] offset0:4 offset1:6
	s_waitcnt vmcnt(1)
	ds_write2st64_b64 v7, v[20:21], v[22:23] offset0:8 offset1:10
	s_waitcnt vmcnt(0)
	ds_write_b64 v7, v[24:25] offset:6144
	v_or_b32_e32 v16, 0x380, v0
	v_subrev_u32_e32 v3, s29, v16
	v_cmp_gt_u32_e32 vcc, s29, v16
	v_min_u32_e32 v5, v16, v3
	v_cndmask_b32_e32 v4, v26, v27, vcc
	v_cndmask_b32_e32 v3, v28, v29, vcc
	s_cbranch_execz .LBB18_32
	s_branch .LBB18_65
.LBB18_31:
	s_mov_b64 s[4:5], 0
                                        ; implicit-def: $vgpr16
                                        ; implicit-def: $vgpr3_vgpr4
                                        ; implicit-def: $vgpr5
.LBB18_32:
	s_and_saveexec_b64 s[4:5], s[2:3]
	s_xor_b64 s[2:3], exec, s[4:5]
	s_cbranch_execz .LBB18_36
; %bb.33:
	v_subrev_u32_e32 v3, s29, v0
	v_cmp_gt_u32_e32 vcc, s30, v3
	s_and_saveexec_b64 s[4:5], vcc
	s_cbranch_execz .LBB18_35
; %bb.34:
	v_lshlrev_b32_e32 v3, 3, v3
	global_load_dwordx2 v[3:4], v3, s[6:7]
	s_waitcnt vmcnt(0)
	ds_write_b64 v7, v[3:4]
.LBB18_35:
	s_or_b64 exec, exec, s[4:5]
.LBB18_36:
	s_or_saveexec_b64 s[2:3], s[2:3]
	v_mad_u32_u24 v5, v0, 7, v0
	s_xor_b64 exec, exec, s[2:3]
	s_cbranch_execz .LBB18_38
; %bb.37:
	global_load_dwordx2 v[3:4], v7, s[8:9]
	s_waitcnt vmcnt(0)
	ds_write_b64 v5, v[3:4]
.LBB18_38:
	s_or_b64 exec, exec, s[2:3]
	v_or_b32_e32 v6, 0x80, v0
	v_mov_b32_e32 v3, s24
	v_cmp_le_u32_e32 vcc, s29, v6
	s_mov_b64 s[2:3], -1
	v_mov_b32_e32 v4, s25
	s_and_saveexec_b64 s[4:5], vcc
; %bb.39:
	v_subrev_u32_e32 v6, s29, v6
	v_cmp_gt_u32_e32 vcc, s30, v6
	v_mov_b32_e32 v3, s26
	v_mov_b32_e32 v4, s27
	s_orn2_b64 s[2:3], vcc, exec
; %bb.40:
	s_or_b64 exec, exec, s[4:5]
	s_and_saveexec_b64 s[4:5], s[2:3]
	s_cbranch_execz .LBB18_42
; %bb.41:
	v_lshlrev_b64 v[3:4], 3, v[3:4]
	v_mov_b32_e32 v16, s17
	v_add_co_u32_e32 v3, vcc, s16, v3
	v_addc_co_u32_e32 v4, vcc, v16, v4, vcc
	v_lshlrev_b32_e32 v6, 3, v6
	v_add_co_u32_e32 v3, vcc, v3, v6
	v_addc_co_u32_e32 v4, vcc, 0, v4, vcc
	global_load_dwordx2 v[3:4], v[3:4], off
	s_waitcnt vmcnt(0)
	ds_write_b64 v5, v[3:4] offset:1024
.LBB18_42:
	s_or_b64 exec, exec, s[4:5]
	v_or_b32_e32 v6, 0x100, v0
	v_mov_b32_e32 v3, s24
	v_cmp_le_u32_e32 vcc, s29, v6
	s_mov_b64 s[2:3], -1
	v_mov_b32_e32 v4, s25
	s_and_saveexec_b64 s[4:5], vcc
; %bb.43:
	v_subrev_u32_e32 v6, s29, v6
	v_cmp_gt_u32_e32 vcc, s30, v6
	v_mov_b32_e32 v3, s26
	v_mov_b32_e32 v4, s27
	s_orn2_b64 s[2:3], vcc, exec
; %bb.44:
	s_or_b64 exec, exec, s[4:5]
	s_and_saveexec_b64 s[4:5], s[2:3]
	s_cbranch_execz .LBB18_46
; %bb.45:
	v_lshlrev_b64 v[3:4], 3, v[3:4]
	v_mov_b32_e32 v16, s17
	v_add_co_u32_e32 v3, vcc, s16, v3
	v_addc_co_u32_e32 v4, vcc, v16, v4, vcc
	v_lshlrev_b32_e32 v6, 3, v6
	v_add_co_u32_e32 v3, vcc, v3, v6
	v_addc_co_u32_e32 v4, vcc, 0, v4, vcc
	global_load_dwordx2 v[3:4], v[3:4], off
	s_waitcnt vmcnt(0)
	ds_write_b64 v5, v[3:4] offset:2048
.LBB18_46:
	;; [unrolled: 29-line block ×6, first 2 shown]
	s_or_b64 exec, exec, s[4:5]
	v_or_b32_e32 v16, 0x380, v0
	v_mov_b32_e32 v3, s8
	v_cmp_le_u32_e32 vcc, s29, v16
	s_mov_b64 s[4:5], -1
	v_mov_b32_e32 v4, s9
	v_mov_b32_e32 v5, v16
	s_and_saveexec_b64 s[2:3], vcc
; %bb.63:
	v_subrev_u32_e32 v5, s29, v16
	v_cmp_gt_u32_e32 vcc, s30, v5
	v_mov_b32_e32 v3, s6
	v_mov_b32_e32 v4, s7
	s_orn2_b64 s[4:5], vcc, exec
; %bb.64:
	s_or_b64 exec, exec, s[2:3]
.LBB18_65:
	s_and_saveexec_b64 s[2:3], s[4:5]
	s_cbranch_execz .LBB18_67
; %bb.66:
	v_mov_b32_e32 v6, 0
	v_lshlrev_b64 v[5:6], 3, v[5:6]
	v_add_co_u32_e32 v3, vcc, v3, v5
	v_addc_co_u32_e32 v4, vcc, v4, v6, vcc
	global_load_dwordx2 v[3:4], v[3:4], off
	v_lshlrev_b32_e32 v5, 3, v16
	s_waitcnt vmcnt(0)
	ds_write_b64 v5, v[3:4]
.LBB18_67:
	s_or_b64 exec, exec, s[2:3]
	s_and_b64 vcc, exec, s[0:1]
	v_add_u32_e32 v3, s28, v7
	s_waitcnt lgkmcnt(0)
	s_barrier
	s_cbranch_vccnz .LBB18_69
; %bb.68:
	v_lshlrev_b32_e32 v16, 3, v15
	v_lshlrev_b32_e32 v18, 3, v14
	;; [unrolled: 1-line block ×7, first 2 shown]
	v_mov_b32_e32 v4, 0
	ds_read_b64 v[16:17], v16
	ds_read_b64 v[18:19], v18
	;; [unrolled: 1-line block ×7, first 2 shown]
	v_lshlrev_b64 v[5:6], 3, v[3:4]
	v_mov_b32_e32 v30, s19
	v_add_co_u32_e32 v5, vcc, s18, v5
	v_addc_co_u32_e32 v6, vcc, v30, v6, vcc
	s_mov_b64 s[0:1], -1
	s_waitcnt lgkmcnt(5)
	global_store_dwordx4 v[5:6], v[16:19], off
	s_waitcnt lgkmcnt(3)
	global_store_dwordx4 v[5:6], v[20:23], off offset:16
	s_waitcnt lgkmcnt(1)
	global_store_dwordx4 v[5:6], v[24:27], off offset:32
	s_waitcnt lgkmcnt(0)
	global_store_dwordx2 v[5:6], v[28:29], off offset:48
	s_cbranch_execz .LBB18_70
	s_branch .LBB18_87
.LBB18_69:
	s_mov_b64 s[0:1], 0
.LBB18_70:
	v_cmp_gt_u32_e32 vcc, s21, v7
	s_and_saveexec_b64 s[2:3], vcc
	s_cbranch_execz .LBB18_72
; %bb.71:
	v_lshlrev_b32_e32 v6, 3, v15
	v_mov_b32_e32 v4, 0
	ds_read_b64 v[15:16], v6
	v_lshlrev_b64 v[4:5], 3, v[3:4]
	v_mov_b32_e32 v17, s19
	v_add_co_u32_e32 v4, vcc, s18, v4
	v_addc_co_u32_e32 v5, vcc, v17, v5, vcc
	s_waitcnt lgkmcnt(0)
	global_store_dwordx2 v[4:5], v[15:16], off
.LBB18_72:
	s_or_b64 exec, exec, s[2:3]
	v_or_b32_e32 v4, 1, v7
	v_cmp_gt_u32_e32 vcc, s21, v4
	s_and_saveexec_b64 s[2:3], vcc
	s_cbranch_execz .LBB18_74
; %bb.73:
	v_lshlrev_b32_e32 v6, 3, v14
	v_mov_b32_e32 v4, 0
	ds_read_b64 v[14:15], v6
	v_lshlrev_b64 v[4:5], 3, v[3:4]
	v_mov_b32_e32 v16, s19
	v_add_co_u32_e32 v4, vcc, s18, v4
	v_addc_co_u32_e32 v5, vcc, v16, v5, vcc
	s_waitcnt lgkmcnt(0)
	global_store_dwordx2 v[4:5], v[14:15], off offset:8
.LBB18_74:
	s_or_b64 exec, exec, s[2:3]
	v_or_b32_e32 v4, 2, v7
	v_cmp_gt_u32_e32 vcc, s21, v4
	s_and_saveexec_b64 s[2:3], vcc
	s_cbranch_execz .LBB18_76
; %bb.75:
	v_lshlrev_b32_e32 v6, 3, v13
	v_mov_b32_e32 v4, 0
	ds_read_b64 v[13:14], v6
	v_lshlrev_b64 v[4:5], 3, v[3:4]
	v_mov_b32_e32 v15, s19
	v_add_co_u32_e32 v4, vcc, s18, v4
	v_addc_co_u32_e32 v5, vcc, v15, v5, vcc
	s_waitcnt lgkmcnt(0)
	global_store_dwordx2 v[4:5], v[13:14], off offset:16
.LBB18_76:
	;; [unrolled: 16-line block ×6, first 2 shown]
	s_or_b64 exec, exec, s[2:3]
	v_or_b32_e32 v4, 7, v7
	v_cmp_gt_u32_e32 vcc, s21, v4
	s_and_saveexec_b64 s[2:3], vcc
; %bb.85:
	v_mov_b32_e32 v4, 0
	s_or_b64 s[0:1], s[0:1], exec
; %bb.86:
	s_or_b64 exec, exec, s[2:3]
.LBB18_87:
	s_and_saveexec_b64 s[2:3], s[0:1]
	s_cbranch_execz .LBB18_89
; %bb.88:
	v_lshlrev_b32_e32 v5, 3, v8
	ds_read_b64 v[5:6], v5
	v_lshlrev_b64 v[3:4], 3, v[3:4]
	v_mov_b32_e32 v8, s19
	v_add_co_u32_e32 v3, vcc, s18, v3
	v_addc_co_u32_e32 v4, vcc, v8, v4, vcc
	s_waitcnt lgkmcnt(0)
	global_store_dwordx2 v[3:4], v[5:6], off offset:56
.LBB18_89:
	s_or_b64 exec, exec, s[2:3]
	v_lshrrev_b32_e32 v3, 2, v0
	s_add_u32 s0, s14, s28
	v_and_b32_e32 v3, 28, v3
	s_addc_u32 s1, s15, 0
	v_add_u32_e32 v3, v3, v7
	s_waitcnt vmcnt(0)
	s_barrier
	s_barrier
	ds_write2_b32 v3, v1, v2 offset1:1
	v_mov_b32_e32 v2, s1
	v_add_co_u32_e32 v1, vcc, s0, v0
	v_addc_co_u32_e32 v2, vcc, 0, v2, vcc
	s_and_b64 vcc, exec, s[22:23]
	v_add_u32_e32 v4, 4, v0
	v_add_u32_e32 v5, 8, v0
	;; [unrolled: 1-line block ×7, first 2 shown]
	s_waitcnt lgkmcnt(0)
	s_cbranch_vccz .LBB18_91
; %bb.90:
	s_barrier
	ds_read_u8 v11, v0
	ds_read_u8 v12, v4 offset:128
	ds_read_u8 v13, v5 offset:256
	;; [unrolled: 1-line block ×7, first 2 shown]
	s_waitcnt lgkmcnt(7)
	global_store_byte v[1:2], v11, off
	s_waitcnt lgkmcnt(6)
	global_store_byte v[1:2], v12, off offset:128
	s_waitcnt lgkmcnt(5)
	global_store_byte v[1:2], v13, off offset:256
	;; [unrolled: 2-line block ×6, first 2 shown]
	s_mov_b64 s[0:1], -1
	s_cbranch_execz .LBB18_92
	s_branch .LBB18_107
.LBB18_91:
	s_mov_b64 s[0:1], 0
                                        ; implicit-def: $vgpr3
.LBB18_92:
	s_waitcnt vmcnt(0) lgkmcnt(0)
	s_barrier
	ds_read_u8 v13, v4 offset:128
	ds_read_u8 v12, v5 offset:256
	ds_read_u8 v11, v6 offset:384
	ds_read_u8 v6, v7 offset:512
	ds_read_u8 v5, v8 offset:640
	ds_read_u8 v4, v9 offset:768
	ds_read_u8 v3, v10 offset:896
	s_sub_i32 s2, s20, s28
	v_or_b32_e32 v7, 0x80, v0
	v_cmp_gt_u32_e32 vcc, s2, v0
	s_and_saveexec_b64 s[0:1], vcc
	s_cbranch_execz .LBB18_94
; %bb.93:
	ds_read_u8 v8, v0
	s_waitcnt lgkmcnt(0)
	global_store_byte v[1:2], v8, off
.LBB18_94:
	s_or_b64 exec, exec, s[0:1]
	v_or_b32_e32 v8, 0x100, v0
	v_cmp_gt_u32_e32 vcc, s2, v7
	s_and_saveexec_b64 s[0:1], vcc
	s_cbranch_execz .LBB18_96
; %bb.95:
	s_waitcnt lgkmcnt(6)
	global_store_byte v[1:2], v13, off offset:128
.LBB18_96:
	s_or_b64 exec, exec, s[0:1]
	v_or_b32_e32 v7, 0x180, v0
	v_cmp_gt_u32_e32 vcc, s2, v8
	s_and_saveexec_b64 s[0:1], vcc
	s_cbranch_execz .LBB18_98
; %bb.97:
	s_waitcnt lgkmcnt(5)
	global_store_byte v[1:2], v12, off offset:256
.LBB18_98:
	;; [unrolled: 9-line block ×4, first 2 shown]
	s_or_b64 exec, exec, s[0:1]
	s_waitcnt lgkmcnt(3)
	v_or_b32_e32 v6, 0x300, v0
	v_cmp_gt_u32_e32 vcc, s2, v7
	s_and_saveexec_b64 s[0:1], vcc
	s_cbranch_execz .LBB18_104
; %bb.103:
	s_waitcnt lgkmcnt(2)
	global_store_byte v[1:2], v5, off offset:640
.LBB18_104:
	s_or_b64 exec, exec, s[0:1]
	v_or_b32_e32 v0, 0x380, v0
	v_cmp_gt_u32_e32 vcc, s2, v6
	s_and_saveexec_b64 s[0:1], vcc
	s_cbranch_execz .LBB18_106
; %bb.105:
	s_waitcnt lgkmcnt(1)
	global_store_byte v[1:2], v4, off offset:768
.LBB18_106:
	s_or_b64 exec, exec, s[0:1]
	v_cmp_gt_u32_e64 s[0:1], s2, v0
.LBB18_107:
	s_and_saveexec_b64 s[2:3], s[0:1]
	s_cbranch_execz .LBB18_109
; %bb.108:
	s_waitcnt lgkmcnt(0)
	global_store_byte v[1:2], v3, off offset:896
.LBB18_109:
	s_endpgm
.LBB18_110:
	v_mov_b32_e32 v1, s7
	v_add_co_u32_e32 v6, vcc, s5, v0
	v_addc_co_u32_e32 v1, vcc, 0, v1, vcc
	v_subrev_co_u32_e32 v2, vcc, s29, v0
	v_mov_b32_e32 v7, s8
	v_add_co_u32_e64 v8, s[0:1], s4, v2
	v_addc_co_u32_e64 v2, s[0:1], 0, v7, s[0:1]
	v_cndmask_b32_e32 v2, v2, v1, vcc
	v_cndmask_b32_e32 v1, v8, v6, vcc
	global_load_ubyte v1, v[1:2], off
	v_mov_b32_e32 v2, s6
	s_waitcnt vmcnt(0)
	v_and_b32_e32 v1, 0xffff, v1
	s_or_b64 exec, exec, s[2:3]
	v_cmp_gt_u32_e32 vcc, s21, v5
	s_and_saveexec_b64 s[2:3], vcc
	s_cbranch_execz .LBB18_6
.LBB18_111:
	v_mov_b32_e32 v6, s7
	v_add_co_u32_e32 v7, vcc, s5, v5
	v_addc_co_u32_e32 v6, vcc, 0, v6, vcc
	v_subrev_co_u32_e32 v5, vcc, s29, v5
	v_mov_b32_e32 v8, s8
	v_add_co_u32_e64 v5, s[0:1], s4, v5
	v_addc_co_u32_e64 v8, s[0:1], 0, v8, s[0:1]
	v_cndmask_b32_e32 v6, v8, v6, vcc
	v_cndmask_b32_e32 v5, v5, v7, vcc
	global_load_ubyte v5, v[5:6], off
	s_mov_b32 s0, 0x7060004
	s_waitcnt vmcnt(0)
	v_perm_b32 v1, v1, v5, s0
	s_or_b64 exec, exec, s[2:3]
	v_cmp_gt_u32_e32 vcc, s21, v4
	s_and_saveexec_b64 s[2:3], vcc
	s_cbranch_execnz .LBB18_7
	s_branch .LBB18_8
	.section	.rodata,"a",@progbits
	.p2align	6, 0x0
	.amdhsa_kernel _ZN7rocprim17ROCPRIM_304000_NS6detail35device_block_merge_mergepath_kernelINS1_37wrapped_merge_sort_block_merge_configINS0_14default_configEhN2at4cuda3cub6detail10OpaqueTypeILi8EEEEEPhSC_PSA_SD_jNS1_19radix_merge_compareILb0ELb0EhNS0_19identity_decomposerEEEEEvT0_T1_T2_T3_T4_SL_jT5_PKSL_NS1_7vsmem_tE
		.amdhsa_group_segment_fixed_size 8208
		.amdhsa_private_segment_fixed_size 0
		.amdhsa_kernarg_size 320
		.amdhsa_user_sgpr_count 6
		.amdhsa_user_sgpr_private_segment_buffer 1
		.amdhsa_user_sgpr_dispatch_ptr 0
		.amdhsa_user_sgpr_queue_ptr 0
		.amdhsa_user_sgpr_kernarg_segment_ptr 1
		.amdhsa_user_sgpr_dispatch_id 0
		.amdhsa_user_sgpr_flat_scratch_init 0
		.amdhsa_user_sgpr_private_segment_size 0
		.amdhsa_uses_dynamic_stack 0
		.amdhsa_system_sgpr_private_segment_wavefront_offset 0
		.amdhsa_system_sgpr_workgroup_id_x 1
		.amdhsa_system_sgpr_workgroup_id_y 1
		.amdhsa_system_sgpr_workgroup_id_z 1
		.amdhsa_system_sgpr_workgroup_info 0
		.amdhsa_system_vgpr_workitem_id 0
		.amdhsa_next_free_vgpr 49
		.amdhsa_next_free_sgpr 98
		.amdhsa_reserve_vcc 1
		.amdhsa_reserve_flat_scratch 0
		.amdhsa_float_round_mode_32 0
		.amdhsa_float_round_mode_16_64 0
		.amdhsa_float_denorm_mode_32 3
		.amdhsa_float_denorm_mode_16_64 3
		.amdhsa_dx10_clamp 1
		.amdhsa_ieee_mode 1
		.amdhsa_fp16_overflow 0
		.amdhsa_exception_fp_ieee_invalid_op 0
		.amdhsa_exception_fp_denorm_src 0
		.amdhsa_exception_fp_ieee_div_zero 0
		.amdhsa_exception_fp_ieee_overflow 0
		.amdhsa_exception_fp_ieee_underflow 0
		.amdhsa_exception_fp_ieee_inexact 0
		.amdhsa_exception_int_div_zero 0
	.end_amdhsa_kernel
	.section	.text._ZN7rocprim17ROCPRIM_304000_NS6detail35device_block_merge_mergepath_kernelINS1_37wrapped_merge_sort_block_merge_configINS0_14default_configEhN2at4cuda3cub6detail10OpaqueTypeILi8EEEEEPhSC_PSA_SD_jNS1_19radix_merge_compareILb0ELb0EhNS0_19identity_decomposerEEEEEvT0_T1_T2_T3_T4_SL_jT5_PKSL_NS1_7vsmem_tE,"axG",@progbits,_ZN7rocprim17ROCPRIM_304000_NS6detail35device_block_merge_mergepath_kernelINS1_37wrapped_merge_sort_block_merge_configINS0_14default_configEhN2at4cuda3cub6detail10OpaqueTypeILi8EEEEEPhSC_PSA_SD_jNS1_19radix_merge_compareILb0ELb0EhNS0_19identity_decomposerEEEEEvT0_T1_T2_T3_T4_SL_jT5_PKSL_NS1_7vsmem_tE,comdat
.Lfunc_end18:
	.size	_ZN7rocprim17ROCPRIM_304000_NS6detail35device_block_merge_mergepath_kernelINS1_37wrapped_merge_sort_block_merge_configINS0_14default_configEhN2at4cuda3cub6detail10OpaqueTypeILi8EEEEEPhSC_PSA_SD_jNS1_19radix_merge_compareILb0ELb0EhNS0_19identity_decomposerEEEEEvT0_T1_T2_T3_T4_SL_jT5_PKSL_NS1_7vsmem_tE, .Lfunc_end18-_ZN7rocprim17ROCPRIM_304000_NS6detail35device_block_merge_mergepath_kernelINS1_37wrapped_merge_sort_block_merge_configINS0_14default_configEhN2at4cuda3cub6detail10OpaqueTypeILi8EEEEEPhSC_PSA_SD_jNS1_19radix_merge_compareILb0ELb0EhNS0_19identity_decomposerEEEEEvT0_T1_T2_T3_T4_SL_jT5_PKSL_NS1_7vsmem_tE
                                        ; -- End function
	.set _ZN7rocprim17ROCPRIM_304000_NS6detail35device_block_merge_mergepath_kernelINS1_37wrapped_merge_sort_block_merge_configINS0_14default_configEhN2at4cuda3cub6detail10OpaqueTypeILi8EEEEEPhSC_PSA_SD_jNS1_19radix_merge_compareILb0ELb0EhNS0_19identity_decomposerEEEEEvT0_T1_T2_T3_T4_SL_jT5_PKSL_NS1_7vsmem_tE.num_vgpr, 31
	.set _ZN7rocprim17ROCPRIM_304000_NS6detail35device_block_merge_mergepath_kernelINS1_37wrapped_merge_sort_block_merge_configINS0_14default_configEhN2at4cuda3cub6detail10OpaqueTypeILi8EEEEEPhSC_PSA_SD_jNS1_19radix_merge_compareILb0ELb0EhNS0_19identity_decomposerEEEEEvT0_T1_T2_T3_T4_SL_jT5_PKSL_NS1_7vsmem_tE.num_agpr, 0
	.set _ZN7rocprim17ROCPRIM_304000_NS6detail35device_block_merge_mergepath_kernelINS1_37wrapped_merge_sort_block_merge_configINS0_14default_configEhN2at4cuda3cub6detail10OpaqueTypeILi8EEEEEPhSC_PSA_SD_jNS1_19radix_merge_compareILb0ELb0EhNS0_19identity_decomposerEEEEEvT0_T1_T2_T3_T4_SL_jT5_PKSL_NS1_7vsmem_tE.numbered_sgpr, 36
	.set _ZN7rocprim17ROCPRIM_304000_NS6detail35device_block_merge_mergepath_kernelINS1_37wrapped_merge_sort_block_merge_configINS0_14default_configEhN2at4cuda3cub6detail10OpaqueTypeILi8EEEEEPhSC_PSA_SD_jNS1_19radix_merge_compareILb0ELb0EhNS0_19identity_decomposerEEEEEvT0_T1_T2_T3_T4_SL_jT5_PKSL_NS1_7vsmem_tE.num_named_barrier, 0
	.set _ZN7rocprim17ROCPRIM_304000_NS6detail35device_block_merge_mergepath_kernelINS1_37wrapped_merge_sort_block_merge_configINS0_14default_configEhN2at4cuda3cub6detail10OpaqueTypeILi8EEEEEPhSC_PSA_SD_jNS1_19radix_merge_compareILb0ELb0EhNS0_19identity_decomposerEEEEEvT0_T1_T2_T3_T4_SL_jT5_PKSL_NS1_7vsmem_tE.private_seg_size, 0
	.set _ZN7rocprim17ROCPRIM_304000_NS6detail35device_block_merge_mergepath_kernelINS1_37wrapped_merge_sort_block_merge_configINS0_14default_configEhN2at4cuda3cub6detail10OpaqueTypeILi8EEEEEPhSC_PSA_SD_jNS1_19radix_merge_compareILb0ELb0EhNS0_19identity_decomposerEEEEEvT0_T1_T2_T3_T4_SL_jT5_PKSL_NS1_7vsmem_tE.uses_vcc, 1
	.set _ZN7rocprim17ROCPRIM_304000_NS6detail35device_block_merge_mergepath_kernelINS1_37wrapped_merge_sort_block_merge_configINS0_14default_configEhN2at4cuda3cub6detail10OpaqueTypeILi8EEEEEPhSC_PSA_SD_jNS1_19radix_merge_compareILb0ELb0EhNS0_19identity_decomposerEEEEEvT0_T1_T2_T3_T4_SL_jT5_PKSL_NS1_7vsmem_tE.uses_flat_scratch, 0
	.set _ZN7rocprim17ROCPRIM_304000_NS6detail35device_block_merge_mergepath_kernelINS1_37wrapped_merge_sort_block_merge_configINS0_14default_configEhN2at4cuda3cub6detail10OpaqueTypeILi8EEEEEPhSC_PSA_SD_jNS1_19radix_merge_compareILb0ELb0EhNS0_19identity_decomposerEEEEEvT0_T1_T2_T3_T4_SL_jT5_PKSL_NS1_7vsmem_tE.has_dyn_sized_stack, 0
	.set _ZN7rocprim17ROCPRIM_304000_NS6detail35device_block_merge_mergepath_kernelINS1_37wrapped_merge_sort_block_merge_configINS0_14default_configEhN2at4cuda3cub6detail10OpaqueTypeILi8EEEEEPhSC_PSA_SD_jNS1_19radix_merge_compareILb0ELb0EhNS0_19identity_decomposerEEEEEvT0_T1_T2_T3_T4_SL_jT5_PKSL_NS1_7vsmem_tE.has_recursion, 0
	.set _ZN7rocprim17ROCPRIM_304000_NS6detail35device_block_merge_mergepath_kernelINS1_37wrapped_merge_sort_block_merge_configINS0_14default_configEhN2at4cuda3cub6detail10OpaqueTypeILi8EEEEEPhSC_PSA_SD_jNS1_19radix_merge_compareILb0ELb0EhNS0_19identity_decomposerEEEEEvT0_T1_T2_T3_T4_SL_jT5_PKSL_NS1_7vsmem_tE.has_indirect_call, 0
	.section	.AMDGPU.csdata,"",@progbits
; Kernel info:
; codeLenInByte = 5600
; TotalNumSgprs: 40
; NumVgprs: 31
; ScratchSize: 0
; MemoryBound: 0
; FloatMode: 240
; IeeeMode: 1
; LDSByteSize: 8208 bytes/workgroup (compile time only)
; SGPRBlocks: 12
; VGPRBlocks: 12
; NumSGPRsForWavesPerEU: 102
; NumVGPRsForWavesPerEU: 49
; Occupancy: 4
; WaveLimiterHint : 1
; COMPUTE_PGM_RSRC2:SCRATCH_EN: 0
; COMPUTE_PGM_RSRC2:USER_SGPR: 6
; COMPUTE_PGM_RSRC2:TRAP_HANDLER: 0
; COMPUTE_PGM_RSRC2:TGID_X_EN: 1
; COMPUTE_PGM_RSRC2:TGID_Y_EN: 1
; COMPUTE_PGM_RSRC2:TGID_Z_EN: 1
; COMPUTE_PGM_RSRC2:TIDIG_COMP_CNT: 0
	.section	.text._ZN7rocprim17ROCPRIM_304000_NS6detail33device_block_merge_oddeven_kernelINS1_37wrapped_merge_sort_block_merge_configINS0_14default_configEhN2at4cuda3cub6detail10OpaqueTypeILi8EEEEEPhSC_PSA_SD_jNS1_19radix_merge_compareILb0ELb0EhNS0_19identity_decomposerEEEEEvT0_T1_T2_T3_T4_SL_T5_,"axG",@progbits,_ZN7rocprim17ROCPRIM_304000_NS6detail33device_block_merge_oddeven_kernelINS1_37wrapped_merge_sort_block_merge_configINS0_14default_configEhN2at4cuda3cub6detail10OpaqueTypeILi8EEEEEPhSC_PSA_SD_jNS1_19radix_merge_compareILb0ELb0EhNS0_19identity_decomposerEEEEEvT0_T1_T2_T3_T4_SL_T5_,comdat
	.protected	_ZN7rocprim17ROCPRIM_304000_NS6detail33device_block_merge_oddeven_kernelINS1_37wrapped_merge_sort_block_merge_configINS0_14default_configEhN2at4cuda3cub6detail10OpaqueTypeILi8EEEEEPhSC_PSA_SD_jNS1_19radix_merge_compareILb0ELb0EhNS0_19identity_decomposerEEEEEvT0_T1_T2_T3_T4_SL_T5_ ; -- Begin function _ZN7rocprim17ROCPRIM_304000_NS6detail33device_block_merge_oddeven_kernelINS1_37wrapped_merge_sort_block_merge_configINS0_14default_configEhN2at4cuda3cub6detail10OpaqueTypeILi8EEEEEPhSC_PSA_SD_jNS1_19radix_merge_compareILb0ELb0EhNS0_19identity_decomposerEEEEEvT0_T1_T2_T3_T4_SL_T5_
	.globl	_ZN7rocprim17ROCPRIM_304000_NS6detail33device_block_merge_oddeven_kernelINS1_37wrapped_merge_sort_block_merge_configINS0_14default_configEhN2at4cuda3cub6detail10OpaqueTypeILi8EEEEEPhSC_PSA_SD_jNS1_19radix_merge_compareILb0ELb0EhNS0_19identity_decomposerEEEEEvT0_T1_T2_T3_T4_SL_T5_
	.p2align	8
	.type	_ZN7rocprim17ROCPRIM_304000_NS6detail33device_block_merge_oddeven_kernelINS1_37wrapped_merge_sort_block_merge_configINS0_14default_configEhN2at4cuda3cub6detail10OpaqueTypeILi8EEEEEPhSC_PSA_SD_jNS1_19radix_merge_compareILb0ELb0EhNS0_19identity_decomposerEEEEEvT0_T1_T2_T3_T4_SL_T5_,@function
_ZN7rocprim17ROCPRIM_304000_NS6detail33device_block_merge_oddeven_kernelINS1_37wrapped_merge_sort_block_merge_configINS0_14default_configEhN2at4cuda3cub6detail10OpaqueTypeILi8EEEEEPhSC_PSA_SD_jNS1_19radix_merge_compareILb0ELb0EhNS0_19identity_decomposerEEEEEvT0_T1_T2_T3_T4_SL_T5_: ; @_ZN7rocprim17ROCPRIM_304000_NS6detail33device_block_merge_oddeven_kernelINS1_37wrapped_merge_sort_block_merge_configINS0_14default_configEhN2at4cuda3cub6detail10OpaqueTypeILi8EEEEEPhSC_PSA_SD_jNS1_19radix_merge_compareILb0ELb0EhNS0_19identity_decomposerEEEEEvT0_T1_T2_T3_T4_SL_T5_
; %bb.0:
	s_load_dwordx2 s[18:19], s[4:5], 0x20
	s_waitcnt lgkmcnt(0)
	s_lshr_b32 s0, s18, 8
	s_cmp_eq_u32 s6, s0
	s_cselect_b64 s[16:17], -1, 0
	s_cmp_lg_u32 s6, s0
	s_cselect_b64 s[0:1], -1, 0
	s_lshl_b32 s20, s6, 8
	s_sub_i32 s2, s18, s20
	v_cmp_gt_u32_e64 s[2:3], s2, v0
	s_or_b64 s[0:1], s[0:1], s[2:3]
	s_and_saveexec_b64 s[8:9], s[0:1]
	s_cbranch_execz .LBB19_24
; %bb.1:
	s_load_dwordx8 s[8:15], s[4:5], 0x0
	s_mov_b32 s21, 0
	v_lshlrev_b32_e32 v3, 3, v0
	s_waitcnt lgkmcnt(0)
	s_add_u32 s0, s8, s20
	s_addc_u32 s1, s9, 0
	s_lshl_b64 s[4:5], s[20:21], 3
	s_add_u32 s4, s12, s4
	s_addc_u32 s5, s13, s5
	global_load_dwordx2 v[1:2], v3, s[4:5]
	global_load_ubyte v5, v0, s[0:1]
	s_lshr_b32 s0, s19, 8
	s_sub_i32 s1, 0, s0
	s_and_b32 s1, s6, s1
	s_and_b32 s0, s1, s0
	s_lshl_b32 s13, s1, 8
	s_sub_i32 s6, 0, s19
	s_cmp_eq_u32 s0, 0
	s_cselect_b64 s[0:1], -1, 0
	s_and_b64 s[4:5], s[0:1], exec
	s_cselect_b32 s6, s19, s6
	s_add_i32 s6, s6, s13
	s_mov_b64 s[4:5], -1
	s_cmp_gt_u32 s18, s6
	v_add_u32_e32 v3, s20, v0
	s_cbranch_scc1 .LBB19_9
; %bb.2:
	s_and_b64 vcc, exec, s[16:17]
	s_cbranch_vccz .LBB19_6
; %bb.3:
	v_cmp_gt_u32_e32 vcc, s18, v3
	s_and_saveexec_b64 s[4:5], vcc
	s_cbranch_execz .LBB19_5
; %bb.4:
	v_mov_b32_e32 v4, 0
	v_lshlrev_b64 v[6:7], 3, v[3:4]
	v_mov_b32_e32 v0, s15
	v_add_co_u32_e32 v6, vcc, s14, v6
	v_addc_co_u32_e32 v7, vcc, v0, v7, vcc
	s_waitcnt vmcnt(0)
	global_store_byte v3, v5, s[10:11]
	global_store_dwordx2 v[6:7], v[1:2], off
.LBB19_5:
	s_or_b64 exec, exec, s[4:5]
	s_mov_b64 s[4:5], 0
.LBB19_6:
	s_andn2_b64 vcc, exec, s[4:5]
	s_cbranch_vccnz .LBB19_8
; %bb.7:
	v_mov_b32_e32 v4, 0
	v_lshlrev_b64 v[6:7], 3, v[3:4]
	v_mov_b32_e32 v0, s15
	v_add_co_u32_e32 v6, vcc, s14, v6
	v_addc_co_u32_e32 v7, vcc, v0, v7, vcc
	s_waitcnt vmcnt(0)
	global_store_byte v3, v5, s[10:11]
	global_store_dwordx2 v[6:7], v[1:2], off
.LBB19_8:
	s_mov_b64 s[4:5], 0
.LBB19_9:
	s_andn2_b64 vcc, exec, s[4:5]
	s_cbranch_vccnz .LBB19_24
; %bb.10:
	s_min_u32 s7, s6, s18
	s_add_i32 s4, s7, s19
	s_min_u32 s12, s4, s18
	s_min_u32 s4, s13, s7
	s_add_i32 s13, s13, s7
	v_subrev_u32_e32 v0, s13, v3
	v_add_u32_e32 v0, s4, v0
	s_andn2_b64 vcc, exec, s[16:17]
	s_mov_b64 s[4:5], -1
	s_cbranch_vccnz .LBB19_18
; %bb.11:
	s_and_saveexec_b64 s[4:5], s[2:3]
	s_cbranch_execz .LBB19_17
; %bb.12:
	s_cmp_ge_u32 s6, s12
	v_mov_b32_e32 v3, s7
	s_cbranch_scc1 .LBB19_16
; %bb.13:
	s_mov_b64 s[2:3], 0
	v_mov_b32_e32 v4, s12
	v_mov_b32_e32 v3, s7
.LBB19_14:                              ; =>This Inner Loop Header: Depth=1
	v_add_u32_e32 v6, v3, v4
	v_lshrrev_b32_e32 v6, 1, v6
	global_load_ubyte v7, v6, s[8:9]
	v_add_u32_e32 v8, 1, v6
	s_waitcnt vmcnt(0)
	v_cmp_gt_u16_sdwa s[16:17], v5, v7 src0_sel:BYTE_0 src1_sel:DWORD
	v_cndmask_b32_e64 v9, 0, 1, s[16:17]
	v_cmp_le_u16_sdwa s[16:17], v7, v5 src0_sel:DWORD src1_sel:BYTE_0
	v_cndmask_b32_e64 v7, 0, 1, s[16:17]
	v_cndmask_b32_e64 v7, v7, v9, s[0:1]
	v_and_b32_e32 v7, 1, v7
	v_cmp_eq_u32_e32 vcc, 1, v7
	v_cndmask_b32_e32 v4, v6, v4, vcc
	v_cndmask_b32_e32 v3, v3, v8, vcc
	v_cmp_ge_u32_e32 vcc, v3, v4
	s_or_b64 s[2:3], vcc, s[2:3]
	s_andn2_b64 exec, exec, s[2:3]
	s_cbranch_execnz .LBB19_14
; %bb.15:
	s_or_b64 exec, exec, s[2:3]
.LBB19_16:
	v_add_u32_e32 v3, v3, v0
	v_mov_b32_e32 v4, 0
	s_waitcnt vmcnt(0)
	global_store_byte v3, v5, s[10:11]
	v_lshlrev_b64 v[3:4], 3, v[3:4]
	v_mov_b32_e32 v6, s15
	v_add_co_u32_e32 v3, vcc, s14, v3
	v_addc_co_u32_e32 v4, vcc, v6, v4, vcc
	global_store_dwordx2 v[3:4], v[1:2], off
.LBB19_17:
	s_or_b64 exec, exec, s[4:5]
	s_mov_b64 s[4:5], 0
.LBB19_18:
	s_andn2_b64 vcc, exec, s[4:5]
	s_cbranch_vccnz .LBB19_24
; %bb.19:
	s_cmp_ge_u32 s6, s12
	v_mov_b32_e32 v3, s7
	s_cbranch_scc1 .LBB19_23
; %bb.20:
	s_mov_b64 s[2:3], 0
	v_mov_b32_e32 v4, s12
	v_mov_b32_e32 v3, s7
.LBB19_21:                              ; =>This Inner Loop Header: Depth=1
	v_add_u32_e32 v6, v3, v4
	v_lshrrev_b32_e32 v6, 1, v6
	global_load_ubyte v7, v6, s[8:9]
	v_add_u32_e32 v8, 1, v6
	s_waitcnt vmcnt(0)
	v_cmp_gt_u16_sdwa s[4:5], v5, v7 src0_sel:BYTE_0 src1_sel:DWORD
	v_cndmask_b32_e64 v9, 0, 1, s[4:5]
	v_cmp_le_u16_sdwa s[4:5], v7, v5 src0_sel:DWORD src1_sel:BYTE_0
	v_cndmask_b32_e64 v7, 0, 1, s[4:5]
	v_cndmask_b32_e64 v7, v7, v9, s[0:1]
	v_and_b32_e32 v7, 1, v7
	v_cmp_eq_u32_e32 vcc, 1, v7
	v_cndmask_b32_e32 v4, v6, v4, vcc
	v_cndmask_b32_e32 v3, v3, v8, vcc
	v_cmp_ge_u32_e32 vcc, v3, v4
	s_or_b64 s[2:3], vcc, s[2:3]
	s_andn2_b64 exec, exec, s[2:3]
	s_cbranch_execnz .LBB19_21
; %bb.22:
	s_or_b64 exec, exec, s[2:3]
.LBB19_23:
	v_add_u32_e32 v3, v3, v0
	v_mov_b32_e32 v4, 0
	s_waitcnt vmcnt(0)
	global_store_byte v3, v5, s[10:11]
	v_lshlrev_b64 v[3:4], 3, v[3:4]
	v_mov_b32_e32 v0, s15
	v_add_co_u32_e32 v3, vcc, s14, v3
	v_addc_co_u32_e32 v4, vcc, v0, v4, vcc
	global_store_dwordx2 v[3:4], v[1:2], off
.LBB19_24:
	s_endpgm
	.section	.rodata,"a",@progbits
	.p2align	6, 0x0
	.amdhsa_kernel _ZN7rocprim17ROCPRIM_304000_NS6detail33device_block_merge_oddeven_kernelINS1_37wrapped_merge_sort_block_merge_configINS0_14default_configEhN2at4cuda3cub6detail10OpaqueTypeILi8EEEEEPhSC_PSA_SD_jNS1_19radix_merge_compareILb0ELb0EhNS0_19identity_decomposerEEEEEvT0_T1_T2_T3_T4_SL_T5_
		.amdhsa_group_segment_fixed_size 0
		.amdhsa_private_segment_fixed_size 0
		.amdhsa_kernarg_size 44
		.amdhsa_user_sgpr_count 6
		.amdhsa_user_sgpr_private_segment_buffer 1
		.amdhsa_user_sgpr_dispatch_ptr 0
		.amdhsa_user_sgpr_queue_ptr 0
		.amdhsa_user_sgpr_kernarg_segment_ptr 1
		.amdhsa_user_sgpr_dispatch_id 0
		.amdhsa_user_sgpr_flat_scratch_init 0
		.amdhsa_user_sgpr_private_segment_size 0
		.amdhsa_uses_dynamic_stack 0
		.amdhsa_system_sgpr_private_segment_wavefront_offset 0
		.amdhsa_system_sgpr_workgroup_id_x 1
		.amdhsa_system_sgpr_workgroup_id_y 0
		.amdhsa_system_sgpr_workgroup_id_z 0
		.amdhsa_system_sgpr_workgroup_info 0
		.amdhsa_system_vgpr_workitem_id 0
		.amdhsa_next_free_vgpr 10
		.amdhsa_next_free_sgpr 22
		.amdhsa_reserve_vcc 1
		.amdhsa_reserve_flat_scratch 0
		.amdhsa_float_round_mode_32 0
		.amdhsa_float_round_mode_16_64 0
		.amdhsa_float_denorm_mode_32 3
		.amdhsa_float_denorm_mode_16_64 3
		.amdhsa_dx10_clamp 1
		.amdhsa_ieee_mode 1
		.amdhsa_fp16_overflow 0
		.amdhsa_exception_fp_ieee_invalid_op 0
		.amdhsa_exception_fp_denorm_src 0
		.amdhsa_exception_fp_ieee_div_zero 0
		.amdhsa_exception_fp_ieee_overflow 0
		.amdhsa_exception_fp_ieee_underflow 0
		.amdhsa_exception_fp_ieee_inexact 0
		.amdhsa_exception_int_div_zero 0
	.end_amdhsa_kernel
	.section	.text._ZN7rocprim17ROCPRIM_304000_NS6detail33device_block_merge_oddeven_kernelINS1_37wrapped_merge_sort_block_merge_configINS0_14default_configEhN2at4cuda3cub6detail10OpaqueTypeILi8EEEEEPhSC_PSA_SD_jNS1_19radix_merge_compareILb0ELb0EhNS0_19identity_decomposerEEEEEvT0_T1_T2_T3_T4_SL_T5_,"axG",@progbits,_ZN7rocprim17ROCPRIM_304000_NS6detail33device_block_merge_oddeven_kernelINS1_37wrapped_merge_sort_block_merge_configINS0_14default_configEhN2at4cuda3cub6detail10OpaqueTypeILi8EEEEEPhSC_PSA_SD_jNS1_19radix_merge_compareILb0ELb0EhNS0_19identity_decomposerEEEEEvT0_T1_T2_T3_T4_SL_T5_,comdat
.Lfunc_end19:
	.size	_ZN7rocprim17ROCPRIM_304000_NS6detail33device_block_merge_oddeven_kernelINS1_37wrapped_merge_sort_block_merge_configINS0_14default_configEhN2at4cuda3cub6detail10OpaqueTypeILi8EEEEEPhSC_PSA_SD_jNS1_19radix_merge_compareILb0ELb0EhNS0_19identity_decomposerEEEEEvT0_T1_T2_T3_T4_SL_T5_, .Lfunc_end19-_ZN7rocprim17ROCPRIM_304000_NS6detail33device_block_merge_oddeven_kernelINS1_37wrapped_merge_sort_block_merge_configINS0_14default_configEhN2at4cuda3cub6detail10OpaqueTypeILi8EEEEEPhSC_PSA_SD_jNS1_19radix_merge_compareILb0ELb0EhNS0_19identity_decomposerEEEEEvT0_T1_T2_T3_T4_SL_T5_
                                        ; -- End function
	.set _ZN7rocprim17ROCPRIM_304000_NS6detail33device_block_merge_oddeven_kernelINS1_37wrapped_merge_sort_block_merge_configINS0_14default_configEhN2at4cuda3cub6detail10OpaqueTypeILi8EEEEEPhSC_PSA_SD_jNS1_19radix_merge_compareILb0ELb0EhNS0_19identity_decomposerEEEEEvT0_T1_T2_T3_T4_SL_T5_.num_vgpr, 10
	.set _ZN7rocprim17ROCPRIM_304000_NS6detail33device_block_merge_oddeven_kernelINS1_37wrapped_merge_sort_block_merge_configINS0_14default_configEhN2at4cuda3cub6detail10OpaqueTypeILi8EEEEEPhSC_PSA_SD_jNS1_19radix_merge_compareILb0ELb0EhNS0_19identity_decomposerEEEEEvT0_T1_T2_T3_T4_SL_T5_.num_agpr, 0
	.set _ZN7rocprim17ROCPRIM_304000_NS6detail33device_block_merge_oddeven_kernelINS1_37wrapped_merge_sort_block_merge_configINS0_14default_configEhN2at4cuda3cub6detail10OpaqueTypeILi8EEEEEPhSC_PSA_SD_jNS1_19radix_merge_compareILb0ELb0EhNS0_19identity_decomposerEEEEEvT0_T1_T2_T3_T4_SL_T5_.numbered_sgpr, 22
	.set _ZN7rocprim17ROCPRIM_304000_NS6detail33device_block_merge_oddeven_kernelINS1_37wrapped_merge_sort_block_merge_configINS0_14default_configEhN2at4cuda3cub6detail10OpaqueTypeILi8EEEEEPhSC_PSA_SD_jNS1_19radix_merge_compareILb0ELb0EhNS0_19identity_decomposerEEEEEvT0_T1_T2_T3_T4_SL_T5_.num_named_barrier, 0
	.set _ZN7rocprim17ROCPRIM_304000_NS6detail33device_block_merge_oddeven_kernelINS1_37wrapped_merge_sort_block_merge_configINS0_14default_configEhN2at4cuda3cub6detail10OpaqueTypeILi8EEEEEPhSC_PSA_SD_jNS1_19radix_merge_compareILb0ELb0EhNS0_19identity_decomposerEEEEEvT0_T1_T2_T3_T4_SL_T5_.private_seg_size, 0
	.set _ZN7rocprim17ROCPRIM_304000_NS6detail33device_block_merge_oddeven_kernelINS1_37wrapped_merge_sort_block_merge_configINS0_14default_configEhN2at4cuda3cub6detail10OpaqueTypeILi8EEEEEPhSC_PSA_SD_jNS1_19radix_merge_compareILb0ELb0EhNS0_19identity_decomposerEEEEEvT0_T1_T2_T3_T4_SL_T5_.uses_vcc, 1
	.set _ZN7rocprim17ROCPRIM_304000_NS6detail33device_block_merge_oddeven_kernelINS1_37wrapped_merge_sort_block_merge_configINS0_14default_configEhN2at4cuda3cub6detail10OpaqueTypeILi8EEEEEPhSC_PSA_SD_jNS1_19radix_merge_compareILb0ELb0EhNS0_19identity_decomposerEEEEEvT0_T1_T2_T3_T4_SL_T5_.uses_flat_scratch, 0
	.set _ZN7rocprim17ROCPRIM_304000_NS6detail33device_block_merge_oddeven_kernelINS1_37wrapped_merge_sort_block_merge_configINS0_14default_configEhN2at4cuda3cub6detail10OpaqueTypeILi8EEEEEPhSC_PSA_SD_jNS1_19radix_merge_compareILb0ELb0EhNS0_19identity_decomposerEEEEEvT0_T1_T2_T3_T4_SL_T5_.has_dyn_sized_stack, 0
	.set _ZN7rocprim17ROCPRIM_304000_NS6detail33device_block_merge_oddeven_kernelINS1_37wrapped_merge_sort_block_merge_configINS0_14default_configEhN2at4cuda3cub6detail10OpaqueTypeILi8EEEEEPhSC_PSA_SD_jNS1_19radix_merge_compareILb0ELb0EhNS0_19identity_decomposerEEEEEvT0_T1_T2_T3_T4_SL_T5_.has_recursion, 0
	.set _ZN7rocprim17ROCPRIM_304000_NS6detail33device_block_merge_oddeven_kernelINS1_37wrapped_merge_sort_block_merge_configINS0_14default_configEhN2at4cuda3cub6detail10OpaqueTypeILi8EEEEEPhSC_PSA_SD_jNS1_19radix_merge_compareILb0ELb0EhNS0_19identity_decomposerEEEEEvT0_T1_T2_T3_T4_SL_T5_.has_indirect_call, 0
	.section	.AMDGPU.csdata,"",@progbits
; Kernel info:
; codeLenInByte = 724
; TotalNumSgprs: 26
; NumVgprs: 10
; ScratchSize: 0
; MemoryBound: 0
; FloatMode: 240
; IeeeMode: 1
; LDSByteSize: 0 bytes/workgroup (compile time only)
; SGPRBlocks: 3
; VGPRBlocks: 2
; NumSGPRsForWavesPerEU: 26
; NumVGPRsForWavesPerEU: 10
; Occupancy: 10
; WaveLimiterHint : 0
; COMPUTE_PGM_RSRC2:SCRATCH_EN: 0
; COMPUTE_PGM_RSRC2:USER_SGPR: 6
; COMPUTE_PGM_RSRC2:TRAP_HANDLER: 0
; COMPUTE_PGM_RSRC2:TGID_X_EN: 1
; COMPUTE_PGM_RSRC2:TGID_Y_EN: 0
; COMPUTE_PGM_RSRC2:TGID_Z_EN: 0
; COMPUTE_PGM_RSRC2:TIDIG_COMP_CNT: 0
	.section	.text._ZN7rocprim17ROCPRIM_304000_NS6detail45device_block_merge_mergepath_partition_kernelINS1_37wrapped_merge_sort_block_merge_configINS0_14default_configEhN2at4cuda3cub6detail10OpaqueTypeILi8EEEEEPhjNS1_19radix_merge_compareILb0ELb1EhNS0_19identity_decomposerEEEEEvT0_T1_jPSH_T2_SH_,"axG",@progbits,_ZN7rocprim17ROCPRIM_304000_NS6detail45device_block_merge_mergepath_partition_kernelINS1_37wrapped_merge_sort_block_merge_configINS0_14default_configEhN2at4cuda3cub6detail10OpaqueTypeILi8EEEEEPhjNS1_19radix_merge_compareILb0ELb1EhNS0_19identity_decomposerEEEEEvT0_T1_jPSH_T2_SH_,comdat
	.protected	_ZN7rocprim17ROCPRIM_304000_NS6detail45device_block_merge_mergepath_partition_kernelINS1_37wrapped_merge_sort_block_merge_configINS0_14default_configEhN2at4cuda3cub6detail10OpaqueTypeILi8EEEEEPhjNS1_19radix_merge_compareILb0ELb1EhNS0_19identity_decomposerEEEEEvT0_T1_jPSH_T2_SH_ ; -- Begin function _ZN7rocprim17ROCPRIM_304000_NS6detail45device_block_merge_mergepath_partition_kernelINS1_37wrapped_merge_sort_block_merge_configINS0_14default_configEhN2at4cuda3cub6detail10OpaqueTypeILi8EEEEEPhjNS1_19radix_merge_compareILb0ELb1EhNS0_19identity_decomposerEEEEEvT0_T1_jPSH_T2_SH_
	.globl	_ZN7rocprim17ROCPRIM_304000_NS6detail45device_block_merge_mergepath_partition_kernelINS1_37wrapped_merge_sort_block_merge_configINS0_14default_configEhN2at4cuda3cub6detail10OpaqueTypeILi8EEEEEPhjNS1_19radix_merge_compareILb0ELb1EhNS0_19identity_decomposerEEEEEvT0_T1_jPSH_T2_SH_
	.p2align	8
	.type	_ZN7rocprim17ROCPRIM_304000_NS6detail45device_block_merge_mergepath_partition_kernelINS1_37wrapped_merge_sort_block_merge_configINS0_14default_configEhN2at4cuda3cub6detail10OpaqueTypeILi8EEEEEPhjNS1_19radix_merge_compareILb0ELb1EhNS0_19identity_decomposerEEEEEvT0_T1_jPSH_T2_SH_,@function
_ZN7rocprim17ROCPRIM_304000_NS6detail45device_block_merge_mergepath_partition_kernelINS1_37wrapped_merge_sort_block_merge_configINS0_14default_configEhN2at4cuda3cub6detail10OpaqueTypeILi8EEEEEPhjNS1_19radix_merge_compareILb0ELb1EhNS0_19identity_decomposerEEEEEvT0_T1_jPSH_T2_SH_: ; @_ZN7rocprim17ROCPRIM_304000_NS6detail45device_block_merge_mergepath_partition_kernelINS1_37wrapped_merge_sort_block_merge_configINS0_14default_configEhN2at4cuda3cub6detail10OpaqueTypeILi8EEEEEPhjNS1_19radix_merge_compareILb0ELb1EhNS0_19identity_decomposerEEEEEvT0_T1_jPSH_T2_SH_
; %bb.0:
	s_load_dwordx2 s[2:3], s[4:5], 0x8
	v_lshl_or_b32 v0, s6, 7, v0
	s_waitcnt lgkmcnt(0)
	v_cmp_gt_u32_e32 vcc, s3, v0
	s_and_saveexec_b64 s[0:1], vcc
	s_cbranch_execz .LBB20_6
; %bb.1:
	s_load_dwordx2 s[0:1], s[4:5], 0x18
	s_waitcnt lgkmcnt(0)
	s_lshr_b32 s3, s1, 9
	s_and_b32 s3, s3, 0x7ffffe
	s_add_i32 s6, s3, -1
	s_sub_i32 s3, 0, s3
	v_and_b32_e32 v1, s3, v0
	v_lshlrev_b32_e32 v3, 10, v1
	v_min_u32_e32 v1, s2, v3
	v_add_u32_e32 v3, s1, v3
	v_min_u32_e32 v7, s2, v3
	v_add_u32_e32 v3, s1, v7
	v_and_b32_e32 v2, s6, v0
	v_min_u32_e32 v4, s2, v3
	v_lshlrev_b32_e32 v2, 10, v2
	v_sub_u32_e32 v3, v4, v1
	v_min_u32_e32 v3, v3, v2
	v_sub_u32_e32 v5, v7, v1
	v_sub_u32_e32 v2, v4, v7
	v_sub_u32_e64 v2, v3, v2 clamp
	v_min_u32_e32 v4, v3, v5
	v_cmp_lt_u32_e32 vcc, v2, v4
	s_and_saveexec_b64 s[2:3], vcc
	s_cbranch_execz .LBB20_5
; %bb.2:
	s_load_dwordx2 s[6:7], s[4:5], 0x0
	s_waitcnt lgkmcnt(0)
	v_mov_b32_e32 v8, s7
	v_add_co_u32_e32 v5, vcc, s6, v1
	v_addc_co_u32_e32 v6, vcc, 0, v8, vcc
	v_add_co_u32_e32 v7, vcc, s6, v7
	v_addc_co_u32_e32 v8, vcc, 0, v8, vcc
	s_mov_b64 s[6:7], 0
.LBB20_3:                               ; =>This Inner Loop Header: Depth=1
	v_add_u32_e32 v9, v4, v2
	v_lshrrev_b32_e32 v13, 1, v9
	v_add_co_u32_e32 v9, vcc, v5, v13
	v_xad_u32 v11, v13, -1, v3
	v_addc_co_u32_e32 v10, vcc, 0, v6, vcc
	v_add_co_u32_e32 v11, vcc, v7, v11
	v_addc_co_u32_e32 v12, vcc, 0, v8, vcc
	global_load_ubyte v14, v[9:10], off
	global_load_ubyte v15, v[11:12], off
	v_add_u32_e32 v9, 1, v13
	s_waitcnt vmcnt(1)
	v_and_b32_e32 v10, s0, v14
	s_waitcnt vmcnt(0)
	v_and_b32_e32 v11, s0, v15
	v_cmp_gt_u16_sdwa vcc, v10, v11 src0_sel:BYTE_0 src1_sel:BYTE_0
	v_cndmask_b32_e32 v4, v4, v13, vcc
	v_cndmask_b32_e32 v2, v9, v2, vcc
	v_cmp_ge_u32_e32 vcc, v2, v4
	s_or_b64 s[6:7], vcc, s[6:7]
	s_andn2_b64 exec, exec, s[6:7]
	s_cbranch_execnz .LBB20_3
; %bb.4:
	s_or_b64 exec, exec, s[6:7]
.LBB20_5:
	s_or_b64 exec, exec, s[2:3]
	s_load_dwordx2 s[0:1], s[4:5], 0x10
	v_add_u32_e32 v2, v2, v1
	v_mov_b32_e32 v1, 0
	v_lshlrev_b64 v[0:1], 2, v[0:1]
	s_waitcnt lgkmcnt(0)
	v_mov_b32_e32 v3, s1
	v_add_co_u32_e32 v0, vcc, s0, v0
	v_addc_co_u32_e32 v1, vcc, v3, v1, vcc
	global_store_dword v[0:1], v2, off
.LBB20_6:
	s_endpgm
	.section	.rodata,"a",@progbits
	.p2align	6, 0x0
	.amdhsa_kernel _ZN7rocprim17ROCPRIM_304000_NS6detail45device_block_merge_mergepath_partition_kernelINS1_37wrapped_merge_sort_block_merge_configINS0_14default_configEhN2at4cuda3cub6detail10OpaqueTypeILi8EEEEEPhjNS1_19radix_merge_compareILb0ELb1EhNS0_19identity_decomposerEEEEEvT0_T1_jPSH_T2_SH_
		.amdhsa_group_segment_fixed_size 0
		.amdhsa_private_segment_fixed_size 0
		.amdhsa_kernarg_size 32
		.amdhsa_user_sgpr_count 6
		.amdhsa_user_sgpr_private_segment_buffer 1
		.amdhsa_user_sgpr_dispatch_ptr 0
		.amdhsa_user_sgpr_queue_ptr 0
		.amdhsa_user_sgpr_kernarg_segment_ptr 1
		.amdhsa_user_sgpr_dispatch_id 0
		.amdhsa_user_sgpr_flat_scratch_init 0
		.amdhsa_user_sgpr_private_segment_size 0
		.amdhsa_uses_dynamic_stack 0
		.amdhsa_system_sgpr_private_segment_wavefront_offset 0
		.amdhsa_system_sgpr_workgroup_id_x 1
		.amdhsa_system_sgpr_workgroup_id_y 0
		.amdhsa_system_sgpr_workgroup_id_z 0
		.amdhsa_system_sgpr_workgroup_info 0
		.amdhsa_system_vgpr_workitem_id 0
		.amdhsa_next_free_vgpr 16
		.amdhsa_next_free_sgpr 8
		.amdhsa_reserve_vcc 1
		.amdhsa_reserve_flat_scratch 0
		.amdhsa_float_round_mode_32 0
		.amdhsa_float_round_mode_16_64 0
		.amdhsa_float_denorm_mode_32 3
		.amdhsa_float_denorm_mode_16_64 3
		.amdhsa_dx10_clamp 1
		.amdhsa_ieee_mode 1
		.amdhsa_fp16_overflow 0
		.amdhsa_exception_fp_ieee_invalid_op 0
		.amdhsa_exception_fp_denorm_src 0
		.amdhsa_exception_fp_ieee_div_zero 0
		.amdhsa_exception_fp_ieee_overflow 0
		.amdhsa_exception_fp_ieee_underflow 0
		.amdhsa_exception_fp_ieee_inexact 0
		.amdhsa_exception_int_div_zero 0
	.end_amdhsa_kernel
	.section	.text._ZN7rocprim17ROCPRIM_304000_NS6detail45device_block_merge_mergepath_partition_kernelINS1_37wrapped_merge_sort_block_merge_configINS0_14default_configEhN2at4cuda3cub6detail10OpaqueTypeILi8EEEEEPhjNS1_19radix_merge_compareILb0ELb1EhNS0_19identity_decomposerEEEEEvT0_T1_jPSH_T2_SH_,"axG",@progbits,_ZN7rocprim17ROCPRIM_304000_NS6detail45device_block_merge_mergepath_partition_kernelINS1_37wrapped_merge_sort_block_merge_configINS0_14default_configEhN2at4cuda3cub6detail10OpaqueTypeILi8EEEEEPhjNS1_19radix_merge_compareILb0ELb1EhNS0_19identity_decomposerEEEEEvT0_T1_jPSH_T2_SH_,comdat
.Lfunc_end20:
	.size	_ZN7rocprim17ROCPRIM_304000_NS6detail45device_block_merge_mergepath_partition_kernelINS1_37wrapped_merge_sort_block_merge_configINS0_14default_configEhN2at4cuda3cub6detail10OpaqueTypeILi8EEEEEPhjNS1_19radix_merge_compareILb0ELb1EhNS0_19identity_decomposerEEEEEvT0_T1_jPSH_T2_SH_, .Lfunc_end20-_ZN7rocprim17ROCPRIM_304000_NS6detail45device_block_merge_mergepath_partition_kernelINS1_37wrapped_merge_sort_block_merge_configINS0_14default_configEhN2at4cuda3cub6detail10OpaqueTypeILi8EEEEEPhjNS1_19radix_merge_compareILb0ELb1EhNS0_19identity_decomposerEEEEEvT0_T1_jPSH_T2_SH_
                                        ; -- End function
	.set _ZN7rocprim17ROCPRIM_304000_NS6detail45device_block_merge_mergepath_partition_kernelINS1_37wrapped_merge_sort_block_merge_configINS0_14default_configEhN2at4cuda3cub6detail10OpaqueTypeILi8EEEEEPhjNS1_19radix_merge_compareILb0ELb1EhNS0_19identity_decomposerEEEEEvT0_T1_jPSH_T2_SH_.num_vgpr, 16
	.set _ZN7rocprim17ROCPRIM_304000_NS6detail45device_block_merge_mergepath_partition_kernelINS1_37wrapped_merge_sort_block_merge_configINS0_14default_configEhN2at4cuda3cub6detail10OpaqueTypeILi8EEEEEPhjNS1_19radix_merge_compareILb0ELb1EhNS0_19identity_decomposerEEEEEvT0_T1_jPSH_T2_SH_.num_agpr, 0
	.set _ZN7rocprim17ROCPRIM_304000_NS6detail45device_block_merge_mergepath_partition_kernelINS1_37wrapped_merge_sort_block_merge_configINS0_14default_configEhN2at4cuda3cub6detail10OpaqueTypeILi8EEEEEPhjNS1_19radix_merge_compareILb0ELb1EhNS0_19identity_decomposerEEEEEvT0_T1_jPSH_T2_SH_.numbered_sgpr, 8
	.set _ZN7rocprim17ROCPRIM_304000_NS6detail45device_block_merge_mergepath_partition_kernelINS1_37wrapped_merge_sort_block_merge_configINS0_14default_configEhN2at4cuda3cub6detail10OpaqueTypeILi8EEEEEPhjNS1_19radix_merge_compareILb0ELb1EhNS0_19identity_decomposerEEEEEvT0_T1_jPSH_T2_SH_.num_named_barrier, 0
	.set _ZN7rocprim17ROCPRIM_304000_NS6detail45device_block_merge_mergepath_partition_kernelINS1_37wrapped_merge_sort_block_merge_configINS0_14default_configEhN2at4cuda3cub6detail10OpaqueTypeILi8EEEEEPhjNS1_19radix_merge_compareILb0ELb1EhNS0_19identity_decomposerEEEEEvT0_T1_jPSH_T2_SH_.private_seg_size, 0
	.set _ZN7rocprim17ROCPRIM_304000_NS6detail45device_block_merge_mergepath_partition_kernelINS1_37wrapped_merge_sort_block_merge_configINS0_14default_configEhN2at4cuda3cub6detail10OpaqueTypeILi8EEEEEPhjNS1_19radix_merge_compareILb0ELb1EhNS0_19identity_decomposerEEEEEvT0_T1_jPSH_T2_SH_.uses_vcc, 1
	.set _ZN7rocprim17ROCPRIM_304000_NS6detail45device_block_merge_mergepath_partition_kernelINS1_37wrapped_merge_sort_block_merge_configINS0_14default_configEhN2at4cuda3cub6detail10OpaqueTypeILi8EEEEEPhjNS1_19radix_merge_compareILb0ELb1EhNS0_19identity_decomposerEEEEEvT0_T1_jPSH_T2_SH_.uses_flat_scratch, 0
	.set _ZN7rocprim17ROCPRIM_304000_NS6detail45device_block_merge_mergepath_partition_kernelINS1_37wrapped_merge_sort_block_merge_configINS0_14default_configEhN2at4cuda3cub6detail10OpaqueTypeILi8EEEEEPhjNS1_19radix_merge_compareILb0ELb1EhNS0_19identity_decomposerEEEEEvT0_T1_jPSH_T2_SH_.has_dyn_sized_stack, 0
	.set _ZN7rocprim17ROCPRIM_304000_NS6detail45device_block_merge_mergepath_partition_kernelINS1_37wrapped_merge_sort_block_merge_configINS0_14default_configEhN2at4cuda3cub6detail10OpaqueTypeILi8EEEEEPhjNS1_19radix_merge_compareILb0ELb1EhNS0_19identity_decomposerEEEEEvT0_T1_jPSH_T2_SH_.has_recursion, 0
	.set _ZN7rocprim17ROCPRIM_304000_NS6detail45device_block_merge_mergepath_partition_kernelINS1_37wrapped_merge_sort_block_merge_configINS0_14default_configEhN2at4cuda3cub6detail10OpaqueTypeILi8EEEEEPhjNS1_19radix_merge_compareILb0ELb1EhNS0_19identity_decomposerEEEEEvT0_T1_jPSH_T2_SH_.has_indirect_call, 0
	.section	.AMDGPU.csdata,"",@progbits
; Kernel info:
; codeLenInByte = 336
; TotalNumSgprs: 12
; NumVgprs: 16
; ScratchSize: 0
; MemoryBound: 0
; FloatMode: 240
; IeeeMode: 1
; LDSByteSize: 0 bytes/workgroup (compile time only)
; SGPRBlocks: 1
; VGPRBlocks: 3
; NumSGPRsForWavesPerEU: 12
; NumVGPRsForWavesPerEU: 16
; Occupancy: 10
; WaveLimiterHint : 0
; COMPUTE_PGM_RSRC2:SCRATCH_EN: 0
; COMPUTE_PGM_RSRC2:USER_SGPR: 6
; COMPUTE_PGM_RSRC2:TRAP_HANDLER: 0
; COMPUTE_PGM_RSRC2:TGID_X_EN: 1
; COMPUTE_PGM_RSRC2:TGID_Y_EN: 0
; COMPUTE_PGM_RSRC2:TGID_Z_EN: 0
; COMPUTE_PGM_RSRC2:TIDIG_COMP_CNT: 0
	.section	.text._ZN7rocprim17ROCPRIM_304000_NS6detail35device_block_merge_mergepath_kernelINS1_37wrapped_merge_sort_block_merge_configINS0_14default_configEhN2at4cuda3cub6detail10OpaqueTypeILi8EEEEEPhSC_PSA_SD_jNS1_19radix_merge_compareILb0ELb1EhNS0_19identity_decomposerEEEEEvT0_T1_T2_T3_T4_SL_jT5_PKSL_NS1_7vsmem_tE,"axG",@progbits,_ZN7rocprim17ROCPRIM_304000_NS6detail35device_block_merge_mergepath_kernelINS1_37wrapped_merge_sort_block_merge_configINS0_14default_configEhN2at4cuda3cub6detail10OpaqueTypeILi8EEEEEPhSC_PSA_SD_jNS1_19radix_merge_compareILb0ELb1EhNS0_19identity_decomposerEEEEEvT0_T1_T2_T3_T4_SL_jT5_PKSL_NS1_7vsmem_tE,comdat
	.protected	_ZN7rocprim17ROCPRIM_304000_NS6detail35device_block_merge_mergepath_kernelINS1_37wrapped_merge_sort_block_merge_configINS0_14default_configEhN2at4cuda3cub6detail10OpaqueTypeILi8EEEEEPhSC_PSA_SD_jNS1_19radix_merge_compareILb0ELb1EhNS0_19identity_decomposerEEEEEvT0_T1_T2_T3_T4_SL_jT5_PKSL_NS1_7vsmem_tE ; -- Begin function _ZN7rocprim17ROCPRIM_304000_NS6detail35device_block_merge_mergepath_kernelINS1_37wrapped_merge_sort_block_merge_configINS0_14default_configEhN2at4cuda3cub6detail10OpaqueTypeILi8EEEEEPhSC_PSA_SD_jNS1_19radix_merge_compareILb0ELb1EhNS0_19identity_decomposerEEEEEvT0_T1_T2_T3_T4_SL_jT5_PKSL_NS1_7vsmem_tE
	.globl	_ZN7rocprim17ROCPRIM_304000_NS6detail35device_block_merge_mergepath_kernelINS1_37wrapped_merge_sort_block_merge_configINS0_14default_configEhN2at4cuda3cub6detail10OpaqueTypeILi8EEEEEPhSC_PSA_SD_jNS1_19radix_merge_compareILb0ELb1EhNS0_19identity_decomposerEEEEEvT0_T1_T2_T3_T4_SL_jT5_PKSL_NS1_7vsmem_tE
	.p2align	8
	.type	_ZN7rocprim17ROCPRIM_304000_NS6detail35device_block_merge_mergepath_kernelINS1_37wrapped_merge_sort_block_merge_configINS0_14default_configEhN2at4cuda3cub6detail10OpaqueTypeILi8EEEEEPhSC_PSA_SD_jNS1_19radix_merge_compareILb0ELb1EhNS0_19identity_decomposerEEEEEvT0_T1_T2_T3_T4_SL_jT5_PKSL_NS1_7vsmem_tE,@function
_ZN7rocprim17ROCPRIM_304000_NS6detail35device_block_merge_mergepath_kernelINS1_37wrapped_merge_sort_block_merge_configINS0_14default_configEhN2at4cuda3cub6detail10OpaqueTypeILi8EEEEEPhSC_PSA_SD_jNS1_19radix_merge_compareILb0ELb1EhNS0_19identity_decomposerEEEEEvT0_T1_T2_T3_T4_SL_jT5_PKSL_NS1_7vsmem_tE: ; @_ZN7rocprim17ROCPRIM_304000_NS6detail35device_block_merge_mergepath_kernelINS1_37wrapped_merge_sort_block_merge_configINS0_14default_configEhN2at4cuda3cub6detail10OpaqueTypeILi8EEEEEPhSC_PSA_SD_jNS1_19radix_merge_compareILb0ELb1EhNS0_19identity_decomposerEEEEEvT0_T1_T2_T3_T4_SL_jT5_PKSL_NS1_7vsmem_tE
; %bb.0:
	s_load_dwordx2 s[10:11], s[4:5], 0x40
	s_load_dwordx4 s[20:23], s[4:5], 0x20
	s_add_u32 s2, s4, 64
	s_addc_u32 s3, s5, 0
	s_waitcnt lgkmcnt(0)
	s_mul_i32 s0, s11, s8
	s_add_i32 s0, s0, s7
	s_mul_i32 s0, s0, s10
	s_add_i32 s0, s0, s6
	s_cmp_ge_u32 s0, s22
	s_cbranch_scc1 .LBB21_109
; %bb.1:
	s_load_dwordx8 s[12:19], s[4:5], 0x0
	s_load_dwordx2 s[8:9], s[4:5], 0x30
	s_lshr_b32 s11, s20, 10
	s_cmp_lg_u32 s0, s11
	s_mov_b32 s1, 0
	s_cselect_b64 s[24:25], -1, 0
	s_lshl_b64 s[4:5], s[0:1], 2
	s_waitcnt lgkmcnt(0)
	s_add_u32 s4, s8, s4
	s_addc_u32 s5, s9, s5
	s_load_dwordx2 s[26:27], s[4:5], 0x0
	s_lshr_b32 s4, s21, 9
	s_and_b32 s4, s4, 0x7ffffe
	s_sub_i32 s4, 0, s4
	s_and_b32 s5, s0, s4
	s_lshl_b32 s7, s5, 10
	s_lshl_b32 s22, s0, 10
	;; [unrolled: 1-line block ×3, first 2 shown]
	s_sub_i32 s8, s22, s7
	s_add_i32 s5, s5, s21
	s_add_i32 s8, s5, s8
	s_waitcnt lgkmcnt(0)
	s_sub_i32 s9, s8, s26
	s_sub_i32 s8, s8, s27
	;; [unrolled: 1-line block ×3, first 2 shown]
	s_min_u32 s28, s20, s9
	s_addk_i32 s8, 0x400
	s_or_b32 s4, s0, s4
	s_min_u32 s7, s20, s5
	s_add_i32 s5, s5, s21
	s_cmp_eq_u32 s4, -1
	s_cselect_b32 s4, s5, s8
	s_cselect_b32 s5, s7, s27
	s_min_u32 s4, s4, s20
	s_sub_i32 s30, s5, s26
	s_sub_i32 s31, s4, s28
	s_add_u32 s5, s12, s26
	s_addc_u32 s7, s13, 0
	s_add_u32 s4, s12, s28
	v_mov_b32_e32 v1, 0
	global_load_dword v2, v1, s[2:3] offset:14
	s_addc_u32 s8, s13, 0
	s_cmp_lt_u32 s6, s10
	s_cselect_b32 s6, 12, 18
	s_add_u32 s2, s2, s6
	s_addc_u32 s3, s3, 0
	global_load_ushort v1, v1, s[2:3]
	s_mov_b32 s27, s1
	s_mov_b32 s29, s1
	s_cmp_eq_u32 s0, s11
	s_waitcnt vmcnt(1)
	v_lshrrev_b32_e32 v3, 16, v2
	v_and_b32_e32 v2, 0xffff, v2
	v_mul_lo_u32 v2, v2, v3
	s_waitcnt vmcnt(0)
	v_mul_lo_u32 v3, v2, v1
	v_add_u32_e32 v5, v3, v0
	v_add_u32_e32 v4, v5, v3
	s_cbranch_scc1 .LBB21_3
; %bb.2:
	v_mov_b32_e32 v1, s7
	v_add_co_u32_e32 v6, vcc, s5, v0
	v_addc_co_u32_e32 v1, vcc, 0, v1, vcc
	v_subrev_co_u32_e32 v2, vcc, s30, v0
	v_mov_b32_e32 v7, s8
	v_add_co_u32_e64 v8, s[0:1], s4, v2
	v_addc_co_u32_e64 v2, s[0:1], 0, v7, s[0:1]
	v_cndmask_b32_e32 v2, v2, v1, vcc
	v_cndmask_b32_e32 v1, v8, v6, vcc
	v_mov_b32_e32 v6, s7
	v_add_co_u32_e32 v8, vcc, s5, v5
	v_addc_co_u32_e32 v6, vcc, 0, v6, vcc
	v_subrev_co_u32_e32 v7, vcc, s30, v5
	v_mov_b32_e32 v9, s8
	v_add_co_u32_e64 v10, s[0:1], s4, v7
	v_addc_co_u32_e64 v7, s[0:1], 0, v9, s[0:1]
	v_cndmask_b32_e32 v7, v7, v6, vcc
	v_cndmask_b32_e32 v6, v10, v8, vcc
	;; [unrolled: 9-line block ×3, first 2 shown]
	v_add_u32_e32 v12, v4, v3
	v_mov_b32_e32 v10, s7
	v_add_co_u32_e32 v13, vcc, s5, v12
	v_addc_co_u32_e32 v10, vcc, 0, v10, vcc
	v_subrev_co_u32_e32 v11, vcc, s30, v12
	v_mov_b32_e32 v14, s8
	v_add_co_u32_e64 v15, s[0:1], s4, v11
	v_addc_co_u32_e64 v11, s[0:1], 0, v14, s[0:1]
	v_add_u32_e32 v14, v12, v3
	v_cndmask_b32_e32 v11, v11, v10, vcc
	v_cndmask_b32_e32 v10, v15, v13, vcc
	v_mov_b32_e32 v12, s7
	v_add_co_u32_e32 v15, vcc, s5, v14
	v_addc_co_u32_e32 v12, vcc, 0, v12, vcc
	v_subrev_co_u32_e32 v13, vcc, s30, v14
	v_mov_b32_e32 v16, s8
	v_add_co_u32_e64 v17, s[0:1], s4, v13
	v_addc_co_u32_e64 v13, s[0:1], 0, v16, s[0:1]
	v_add_u32_e32 v16, v14, v3
	v_cndmask_b32_e32 v13, v13, v12, vcc
	v_cndmask_b32_e32 v12, v17, v15, vcc
	;; [unrolled: 10-line block ×4, first 2 shown]
	v_mov_b32_e32 v19, s7
	v_add_co_u32_e32 v20, vcc, s5, v18
	v_addc_co_u32_e32 v19, vcc, 0, v19, vcc
	v_subrev_co_u32_e32 v18, vcc, s30, v18
	v_mov_b32_e32 v21, s8
	v_add_co_u32_e64 v18, s[0:1], s4, v18
	v_addc_co_u32_e64 v21, s[0:1], 0, v21, s[0:1]
	v_cndmask_b32_e32 v19, v21, v19, vcc
	v_cndmask_b32_e32 v18, v18, v20, vcc
	global_load_ubyte v20, v[1:2], off
	global_load_ubyte v21, v[6:7], off
	;; [unrolled: 1-line block ×8, first 2 shown]
	s_mov_b32 s0, 0xc0c0004
	s_add_i32 s21, s31, s30
	s_waitcnt vmcnt(6)
	v_perm_b32 v1, v20, v21, s0
	s_waitcnt vmcnt(4)
	v_perm_b32 v2, v22, v23, s0
	v_lshl_or_b32 v1, v2, 16, v1
	s_waitcnt vmcnt(2)
	v_perm_b32 v2, v24, v25, s0
	s_waitcnt vmcnt(0)
	v_perm_b32 v6, v26, v27, s0
	v_lshl_or_b32 v2, v6, 16, v2
	s_cbranch_execz .LBB21_4
	s_branch .LBB21_19
.LBB21_3:
                                        ; implicit-def: $vgpr1_vgpr2
                                        ; implicit-def: $sgpr21
.LBB21_4:
	s_add_i32 s21, s31, s30
	v_mov_b32_e32 v1, 0
	v_cmp_gt_u32_e32 vcc, s21, v0
	s_mov_b32 s6, 0
	v_mov_b32_e32 v2, v1
	s_and_saveexec_b64 s[2:3], vcc
	s_cbranch_execnz .LBB21_110
; %bb.5:
	s_or_b64 exec, exec, s[2:3]
	v_cmp_gt_u32_e32 vcc, s21, v5
	s_and_saveexec_b64 s[2:3], vcc
	s_cbranch_execnz .LBB21_111
.LBB21_6:
	s_or_b64 exec, exec, s[2:3]
	v_cmp_gt_u32_e32 vcc, s21, v4
	s_and_saveexec_b64 s[2:3], vcc
	s_cbranch_execz .LBB21_8
.LBB21_7:
	v_mov_b32_e32 v5, s7
	v_add_co_u32_e32 v7, vcc, s5, v4
	v_addc_co_u32_e32 v5, vcc, 0, v5, vcc
	v_subrev_co_u32_e32 v6, vcc, s30, v4
	v_mov_b32_e32 v8, s8
	v_add_co_u32_e64 v9, s[0:1], s4, v6
	v_addc_co_u32_e64 v6, s[0:1], 0, v8, s[0:1]
	v_cndmask_b32_e32 v6, v6, v5, vcc
	v_cndmask_b32_e32 v5, v9, v7, vcc
	global_load_ubyte v5, v[5:6], off
	s_mov_b32 s0, 0xc0c0304
	s_waitcnt vmcnt(0)
	v_perm_b32 v5, v5, v1, s0
	v_lshlrev_b32_e32 v5, 16, v5
	s_mov_b32 s0, 0xffff
	v_and_or_b32 v1, v1, s0, v5
.LBB21_8:
	s_or_b64 exec, exec, s[2:3]
	v_add_u32_e32 v4, v4, v3
	v_cmp_gt_u32_e32 vcc, s21, v4
	s_and_saveexec_b64 s[2:3], vcc
	s_cbranch_execz .LBB21_10
; %bb.9:
	v_mov_b32_e32 v5, s7
	v_add_co_u32_e32 v7, vcc, s5, v4
	v_addc_co_u32_e32 v5, vcc, 0, v5, vcc
	v_subrev_co_u32_e32 v6, vcc, s30, v4
	v_mov_b32_e32 v8, s8
	v_add_co_u32_e64 v9, s[0:1], s4, v6
	v_addc_co_u32_e64 v6, s[0:1], 0, v8, s[0:1]
	v_cndmask_b32_e32 v6, v6, v5, vcc
	v_cndmask_b32_e32 v5, v9, v7, vcc
	global_load_ubyte v5, v[5:6], off
	s_mov_b32 s0, 0xc0c0006
	s_waitcnt vmcnt(0)
	v_perm_b32 v5, v1, v5, s0
	v_lshlrev_b32_e32 v5, 16, v5
	s_mov_b32 s0, 0xffff
	v_and_or_b32 v1, v1, s0, v5
.LBB21_10:
	s_or_b64 exec, exec, s[2:3]
	v_add_u32_e32 v4, v4, v3
	v_cmp_gt_u32_e32 vcc, s21, v4
	s_and_saveexec_b64 s[2:3], vcc
	s_cbranch_execz .LBB21_12
; %bb.11:
	v_mov_b32_e32 v5, s7
	v_add_co_u32_e32 v7, vcc, s5, v4
	v_addc_co_u32_e32 v5, vcc, 0, v5, vcc
	v_subrev_co_u32_e32 v6, vcc, s30, v4
	v_mov_b32_e32 v8, s8
	v_add_co_u32_e64 v9, s[0:1], s4, v6
	v_addc_co_u32_e64 v6, s[0:1], 0, v8, s[0:1]
	v_cndmask_b32_e32 v6, v6, v5, vcc
	v_cndmask_b32_e32 v5, v9, v7, vcc
	global_load_ubyte v5, v[5:6], off
	s_mov_b32 s0, 0x3020104
	s_waitcnt vmcnt(0)
	v_perm_b32 v2, v5, v2, s0
.LBB21_12:
	s_or_b64 exec, exec, s[2:3]
	v_add_u32_e32 v4, v4, v3
	v_cmp_gt_u32_e32 vcc, s21, v4
	s_and_saveexec_b64 s[2:3], vcc
	s_cbranch_execz .LBB21_14
; %bb.13:
	v_mov_b32_e32 v5, s7
	v_add_co_u32_e32 v7, vcc, s5, v4
	v_addc_co_u32_e32 v5, vcc, 0, v5, vcc
	v_subrev_co_u32_e32 v6, vcc, s30, v4
	v_mov_b32_e32 v8, s8
	v_add_co_u32_e64 v9, s[0:1], s4, v6
	v_addc_co_u32_e64 v6, s[0:1], 0, v8, s[0:1]
	v_cndmask_b32_e32 v6, v6, v5, vcc
	v_cndmask_b32_e32 v5, v9, v7, vcc
	global_load_ubyte v5, v[5:6], off
	s_mov_b32 s0, 0x7060004
	s_waitcnt vmcnt(0)
	v_perm_b32 v2, v2, v5, s0
.LBB21_14:
	;; [unrolled: 20-line block ×4, first 2 shown]
	s_or_b64 exec, exec, s[2:3]
.LBB21_19:
	v_lshrrev_b32_e32 v3, 8, v1
	ds_write_b8 v0, v1
	ds_write_b8 v0, v3 offset:128
	ds_write_b8_d16_hi v0, v1 offset:256
	v_lshrrev_b32_e32 v3, 24, v1
	ds_write_b8 v0, v3 offset:384
	ds_write_b8 v0, v2 offset:512
	v_lshrrev_b32_e32 v3, 8, v2
	v_lshlrev_b32_e32 v7, 3, v0
	ds_write_b8 v0, v3 offset:640
	ds_write_b8_d16_hi v0, v2 offset:768
	v_lshrrev_b32_e32 v3, 24, v2
	v_min_u32_e32 v4, s21, v7
	ds_write_b8 v0, v3 offset:896
	v_sub_u32_e64 v3, v4, s31 clamp
	v_min_u32_e32 v5, s30, v4
	v_cmp_lt_u32_e32 vcc, v3, v5
	s_waitcnt lgkmcnt(0)
	s_barrier
	s_and_saveexec_b64 s[0:1], vcc
	s_cbranch_execz .LBB21_23
; %bb.20:
	v_add_u32_e32 v6, s30, v4
	s_mov_b64 s[2:3], 0
.LBB21_21:                              ; =>This Inner Loop Header: Depth=1
	v_add_u32_e32 v8, v5, v3
	v_lshrrev_b32_e32 v8, 1, v8
	v_xad_u32 v9, v8, -1, v6
	ds_read_u8 v10, v8
	ds_read_u8 v9, v9
	v_add_u32_e32 v11, 1, v8
	s_waitcnt lgkmcnt(1)
	v_and_b32_e32 v10, s23, v10
	s_waitcnt lgkmcnt(0)
	v_and_b32_e32 v9, s23, v9
	v_cmp_gt_u16_sdwa vcc, v10, v9 src0_sel:BYTE_0 src1_sel:BYTE_0
	v_cndmask_b32_e32 v5, v5, v8, vcc
	v_cndmask_b32_e32 v3, v11, v3, vcc
	v_cmp_ge_u32_e32 vcc, v3, v5
	s_or_b64 s[2:3], vcc, s[2:3]
	s_andn2_b64 exec, exec, s[2:3]
	s_cbranch_execnz .LBB21_21
; %bb.22:
	s_or_b64 exec, exec, s[2:3]
.LBB21_23:
	s_or_b64 exec, exec, s[0:1]
	v_sub_u32_e32 v4, v4, v3
	v_add_u32_e32 v4, s30, v4
	v_cmp_ge_u32_e32 vcc, s30, v3
	v_cmp_ge_u32_e64 s[0:1], s21, v4
	s_or_b64 s[0:1], vcc, s[0:1]
	v_mov_b32_e32 v8, 0
	v_mov_b32_e32 v9, 0
	;; [unrolled: 1-line block ×8, first 2 shown]
	s_and_saveexec_b64 s[12:13], s[0:1]
	s_cbranch_execz .LBB21_29
; %bb.24:
	v_cmp_gt_u32_e32 vcc, s30, v3
                                        ; implicit-def: $vgpr1
	s_and_saveexec_b64 s[0:1], vcc
; %bb.25:
	ds_read_u8 v1, v3
; %bb.26:
	s_or_b64 exec, exec, s[0:1]
	v_cmp_le_u32_e64 s[0:1], s21, v4
	v_cmp_gt_u32_e64 s[2:3], s21, v4
                                        ; implicit-def: $vgpr2
	s_and_saveexec_b64 s[4:5], s[2:3]
; %bb.27:
	ds_read_u8 v2, v4
; %bb.28:
	s_or_b64 exec, exec, s[4:5]
	s_waitcnt lgkmcnt(0)
	v_and_b32_e32 v5, s23, v2
	v_and_b32_e32 v6, s23, v1
	v_cmp_le_u16_sdwa s[2:3], v6, v5 src0_sel:BYTE_0 src1_sel:BYTE_0
	s_and_b64 s[2:3], vcc, s[2:3]
	s_or_b64 vcc, s[0:1], s[2:3]
	v_mov_b32_e32 v5, s21
	v_mov_b32_e32 v6, s30
	v_cndmask_b32_e32 v15, v4, v3, vcc
	v_cndmask_b32_e32 v8, v5, v6, vcc
	v_add_u32_e32 v9, 1, v15
	v_add_u32_e32 v8, -1, v8
	v_min_u32_e32 v8, v9, v8
	ds_read_u8 v8, v8
	v_cndmask_b32_e32 v4, v9, v4, vcc
	v_cndmask_b32_e32 v3, v3, v9, vcc
	v_cmp_gt_u32_e64 s[2:3], s30, v3
	v_cmp_le_u32_e64 s[0:1], s21, v4
	s_waitcnt lgkmcnt(0)
	v_cndmask_b32_e32 v16, v8, v2, vcc
	v_cndmask_b32_e32 v8, v1, v8, vcc
	v_and_b32_e32 v9, s23, v16
	v_and_b32_e32 v10, s23, v8
	v_cmp_le_u16_sdwa s[4:5], v10, v9 src0_sel:BYTE_0 src1_sel:BYTE_0
	s_and_b64 s[2:3], s[2:3], s[4:5]
	s_or_b64 s[0:1], s[0:1], s[2:3]
	v_cndmask_b32_e64 v14, v4, v3, s[0:1]
	v_cndmask_b32_e64 v9, v5, v6, s[0:1]
	v_add_u32_e32 v10, 1, v14
	v_add_u32_e32 v9, -1, v9
	v_min_u32_e32 v9, v10, v9
	ds_read_u8 v9, v9
	v_cndmask_b32_e64 v4, v10, v4, s[0:1]
	v_cndmask_b32_e64 v3, v3, v10, s[0:1]
	v_cmp_gt_u32_e64 s[4:5], s30, v3
	v_cmp_le_u32_e64 s[2:3], s21, v4
	s_waitcnt lgkmcnt(0)
	v_cndmask_b32_e64 v17, v9, v16, s[0:1]
	v_cndmask_b32_e64 v9, v8, v9, s[0:1]
	v_and_b32_e32 v10, s23, v17
	v_and_b32_e32 v11, s23, v9
	v_cmp_le_u16_sdwa s[6:7], v11, v10 src0_sel:BYTE_0 src1_sel:BYTE_0
	s_and_b64 s[4:5], s[4:5], s[6:7]
	s_or_b64 s[2:3], s[2:3], s[4:5]
	v_cndmask_b32_e64 v13, v4, v3, s[2:3]
	v_cndmask_b32_e64 v10, v5, v6, s[2:3]
	v_add_u32_e32 v11, 1, v13
	v_add_u32_e32 v10, -1, v10
	v_min_u32_e32 v10, v11, v10
	ds_read_u8 v10, v10
	v_cndmask_b32_e64 v4, v11, v4, s[2:3]
	v_cndmask_b32_e64 v3, v3, v11, s[2:3]
	v_cmp_gt_u32_e64 s[6:7], s30, v3
	v_cmp_le_u32_e64 s[4:5], s21, v4
	s_waitcnt lgkmcnt(0)
	v_cndmask_b32_e64 v18, v10, v17, s[2:3]
	v_cndmask_b32_e64 v19, v9, v10, s[2:3]
	;; [unrolled: 18-line block ×4, first 2 shown]
	v_and_b32_e32 v10, s23, v23
	v_and_b32_e32 v22, s23, v24
	v_cmp_le_u16_sdwa s[34:35], v22, v10 src0_sel:BYTE_0 src1_sel:BYTE_0
	s_and_b64 s[10:11], s[10:11], s[34:35]
	s_or_b64 s[8:9], s[8:9], s[10:11]
	v_cndmask_b32_e64 v10, v4, v3, s[8:9]
	v_cndmask_b32_e64 v22, v5, v6, s[8:9]
	v_add_u32_e32 v25, 1, v10
	v_add_u32_e32 v22, -1, v22
	v_min_u32_e32 v22, v25, v22
	ds_read_u8 v22, v22
	v_cndmask_b32_e32 v1, v2, v1, vcc
	v_cndmask_b32_e64 v16, v16, v8, s[0:1]
	v_cndmask_b32_e64 v17, v17, v9, s[2:3]
	;; [unrolled: 1-line block ×3, first 2 shown]
	s_waitcnt lgkmcnt(0)
	v_cndmask_b32_e64 v2, v22, v23, s[8:9]
	v_cndmask_b32_e64 v8, v24, v22, s[8:9]
	v_and_b32_e32 v9, s23, v2
	v_and_b32_e32 v22, s23, v8
	v_cndmask_b32_e64 v4, v25, v4, s[8:9]
	v_cmp_gt_u32_e64 s[0:1], s30, v3
	v_cmp_le_u16_sdwa s[2:3], v22, v9 src0_sel:BYTE_0 src1_sel:BYTE_0
	v_cmp_le_u32_e32 vcc, s21, v4
	s_and_b64 s[0:1], s[0:1], s[2:3]
	s_or_b64 vcc, vcc, s[0:1]
	v_cndmask_b32_e32 v9, v4, v3, vcc
	v_cndmask_b32_e32 v5, v5, v6, vcc
	v_add_u32_e32 v6, 1, v9
	v_add_u32_e32 v5, -1, v5
	v_min_u32_e32 v5, v6, v5
	ds_read_u8 v5, v5
	v_cndmask_b32_e64 v18, v18, v19, s[4:5]
	v_cndmask_b32_e64 v19, v20, v21, s[6:7]
	v_cndmask_b32_e32 v21, v2, v8, vcc
	v_cndmask_b32_e32 v4, v6, v4, vcc
	s_waitcnt lgkmcnt(0)
	v_cndmask_b32_e32 v2, v5, v2, vcc
	v_cndmask_b32_e32 v5, v8, v5, vcc
	;; [unrolled: 1-line block ×3, first 2 shown]
	v_and_b32_e32 v6, s23, v2
	v_and_b32_e32 v8, s23, v5
	v_cmp_gt_u32_e64 s[0:1], s30, v3
	v_cmp_le_u16_sdwa s[2:3], v8, v6 src0_sel:BYTE_0 src1_sel:BYTE_0
	v_cmp_le_u32_e32 vcc, s21, v4
	s_and_b64 s[0:1], s[0:1], s[2:3]
	s_or_b64 vcc, vcc, s[0:1]
	v_cndmask_b32_e64 v20, v23, v24, s[8:9]
	v_cndmask_b32_e32 v2, v2, v5, vcc
	v_cndmask_b32_e32 v8, v4, v3, vcc
	v_lshlrev_b16_e32 v2, 8, v2
	v_lshlrev_b16_e32 v3, 8, v20
	v_or_b32_sdwa v2, v21, v2 dst_sel:WORD_1 dst_unused:UNUSED_PAD src0_sel:BYTE_0 src1_sel:DWORD
	v_or_b32_sdwa v3, v19, v3 dst_sel:DWORD dst_unused:UNUSED_PAD src0_sel:BYTE_0 src1_sel:DWORD
	v_or_b32_sdwa v2, v3, v2 dst_sel:DWORD dst_unused:UNUSED_PAD src0_sel:WORD_0 src1_sel:DWORD
	v_lshlrev_b16_e32 v3, 8, v18
	v_lshlrev_b16_e32 v4, 8, v16
	v_or_b32_sdwa v3, v17, v3 dst_sel:WORD_1 dst_unused:UNUSED_PAD src0_sel:BYTE_0 src1_sel:DWORD
	v_or_b32_sdwa v1, v1, v4 dst_sel:DWORD dst_unused:UNUSED_PAD src0_sel:BYTE_0 src1_sel:DWORD
	v_or_b32_sdwa v1, v1, v3 dst_sel:DWORD dst_unused:UNUSED_PAD src0_sel:WORD_0 src1_sel:DWORD
.LBB21_29:
	s_or_b64 exec, exec, s[12:13]
	s_lshl_b64 s[0:1], s[26:27], 3
	s_add_u32 s8, s16, s0
	s_addc_u32 s9, s17, s1
	s_lshl_b64 s[0:1], s[28:29], 3
	s_add_u32 s6, s16, s0
	v_cndmask_b32_e64 v3, 0, 1, s[24:25]
	s_addc_u32 s7, s17, s1
	v_cmp_gt_u32_e64 s[4:5], s30, v0
	v_cmp_ne_u32_e64 s[0:1], 1, v3
	s_andn2_b64 vcc, exec, s[24:25]
	v_cmp_le_u32_e64 s[2:3], s30, v0
	s_barrier
	s_cbranch_vccnz .LBB21_31
; %bb.30:
	v_mov_b32_e32 v3, s9
	v_add_co_u32_e32 v5, vcc, s8, v7
	v_subrev_u32_e32 v4, s30, v0
	v_addc_co_u32_e32 v3, vcc, 0, v3, vcc
	v_lshlrev_b32_e32 v4, 3, v4
	v_mov_b32_e32 v6, s7
	v_add_co_u32_e32 v16, vcc, s6, v4
	v_addc_co_u32_e32 v4, vcc, 0, v6, vcc
	v_cndmask_b32_e64 v4, v4, v3, s[4:5]
	v_cndmask_b32_e64 v3, v16, v5, s[4:5]
	v_or_b32_e32 v5, 0x80, v0
	v_subrev_u32_e32 v6, s30, v5
	v_min_u32_e32 v6, v5, v6
	v_cmp_gt_u32_e32 vcc, s30, v5
	v_mov_b32_e32 v28, s6
	v_mov_b32_e32 v29, s8
	;; [unrolled: 1-line block ×4, first 2 shown]
	v_cndmask_b32_e32 v5, v28, v29, vcc
	v_lshlrev_b32_e32 v6, 3, v6
	v_cndmask_b32_e32 v16, v26, v27, vcc
	v_add_co_u32_e32 v5, vcc, v5, v6
	v_addc_co_u32_e32 v6, vcc, 0, v16, vcc
	v_or_b32_e32 v16, 0x100, v0
	v_subrev_u32_e32 v17, s30, v16
	v_min_u32_e32 v17, v16, v17
	v_cmp_gt_u32_e32 vcc, s30, v16
	v_cndmask_b32_e32 v16, v28, v29, vcc
	v_lshlrev_b32_e32 v17, 3, v17
	v_cndmask_b32_e32 v18, v26, v27, vcc
	v_add_co_u32_e32 v16, vcc, v16, v17
	v_addc_co_u32_e32 v17, vcc, 0, v18, vcc
	v_or_b32_e32 v18, 0x180, v0
	v_subrev_u32_e32 v19, s30, v18
	v_min_u32_e32 v19, v18, v19
	v_cmp_gt_u32_e32 vcc, s30, v18
	;; [unrolled: 9-line block ×5, first 2 shown]
	global_load_dwordx2 v[3:4], v[3:4], off
	v_cndmask_b32_e32 v24, v28, v29, vcc
	global_load_dwordx2 v[5:6], v[5:6], off
	v_lshlrev_b32_e32 v25, 3, v25
	global_load_dwordx2 v[16:17], v[16:17], off
	v_cndmask_b32_e32 v30, v26, v27, vcc
	global_load_dwordx2 v[18:19], v[18:19], off
	v_add_co_u32_e32 v24, vcc, v24, v25
	global_load_dwordx2 v[20:21], v[20:21], off
	v_addc_co_u32_e32 v25, vcc, 0, v30, vcc
	global_load_dwordx2 v[22:23], v[22:23], off
	s_nop 0
	global_load_dwordx2 v[24:25], v[24:25], off
	s_mov_b64 s[4:5], -1
	s_waitcnt vmcnt(5)
	ds_write2st64_b64 v7, v[3:4], v[5:6] offset1:2
	s_waitcnt vmcnt(3)
	ds_write2st64_b64 v7, v[16:17], v[18:19] offset0:4 offset1:6
	s_waitcnt vmcnt(1)
	ds_write2st64_b64 v7, v[20:21], v[22:23] offset0:8 offset1:10
	s_waitcnt vmcnt(0)
	ds_write_b64 v7, v[24:25] offset:6144
	v_or_b32_e32 v16, 0x380, v0
	v_subrev_u32_e32 v3, s30, v16
	v_cmp_gt_u32_e32 vcc, s30, v16
	v_min_u32_e32 v5, v16, v3
	v_cndmask_b32_e32 v4, v26, v27, vcc
	v_cndmask_b32_e32 v3, v28, v29, vcc
	s_cbranch_execz .LBB21_32
	s_branch .LBB21_65
.LBB21_31:
	s_mov_b64 s[4:5], 0
                                        ; implicit-def: $vgpr16
                                        ; implicit-def: $vgpr3_vgpr4
                                        ; implicit-def: $vgpr5
.LBB21_32:
	s_and_saveexec_b64 s[4:5], s[2:3]
	s_xor_b64 s[2:3], exec, s[4:5]
	s_cbranch_execz .LBB21_36
; %bb.33:
	v_subrev_u32_e32 v3, s30, v0
	v_cmp_gt_u32_e32 vcc, s31, v3
	s_and_saveexec_b64 s[4:5], vcc
	s_cbranch_execz .LBB21_35
; %bb.34:
	v_lshlrev_b32_e32 v3, 3, v3
	global_load_dwordx2 v[3:4], v3, s[6:7]
	s_waitcnt vmcnt(0)
	ds_write_b64 v7, v[3:4]
.LBB21_35:
	s_or_b64 exec, exec, s[4:5]
.LBB21_36:
	s_or_saveexec_b64 s[2:3], s[2:3]
	v_mad_u32_u24 v5, v0, 7, v0
	s_xor_b64 exec, exec, s[2:3]
	s_cbranch_execz .LBB21_38
; %bb.37:
	global_load_dwordx2 v[3:4], v7, s[8:9]
	s_waitcnt vmcnt(0)
	ds_write_b64 v5, v[3:4]
.LBB21_38:
	s_or_b64 exec, exec, s[2:3]
	v_or_b32_e32 v6, 0x80, v0
	v_mov_b32_e32 v3, s26
	v_cmp_le_u32_e32 vcc, s30, v6
	s_mov_b64 s[2:3], -1
	v_mov_b32_e32 v4, s27
	s_and_saveexec_b64 s[4:5], vcc
; %bb.39:
	v_subrev_u32_e32 v6, s30, v6
	v_cmp_gt_u32_e32 vcc, s31, v6
	v_mov_b32_e32 v3, s28
	v_mov_b32_e32 v4, s29
	s_orn2_b64 s[2:3], vcc, exec
; %bb.40:
	s_or_b64 exec, exec, s[4:5]
	s_and_saveexec_b64 s[4:5], s[2:3]
	s_cbranch_execz .LBB21_42
; %bb.41:
	v_lshlrev_b64 v[3:4], 3, v[3:4]
	v_mov_b32_e32 v16, s17
	v_add_co_u32_e32 v3, vcc, s16, v3
	v_addc_co_u32_e32 v4, vcc, v16, v4, vcc
	v_lshlrev_b32_e32 v6, 3, v6
	v_add_co_u32_e32 v3, vcc, v3, v6
	v_addc_co_u32_e32 v4, vcc, 0, v4, vcc
	global_load_dwordx2 v[3:4], v[3:4], off
	s_waitcnt vmcnt(0)
	ds_write_b64 v5, v[3:4] offset:1024
.LBB21_42:
	s_or_b64 exec, exec, s[4:5]
	v_or_b32_e32 v6, 0x100, v0
	v_mov_b32_e32 v3, s26
	v_cmp_le_u32_e32 vcc, s30, v6
	s_mov_b64 s[2:3], -1
	v_mov_b32_e32 v4, s27
	s_and_saveexec_b64 s[4:5], vcc
; %bb.43:
	v_subrev_u32_e32 v6, s30, v6
	v_cmp_gt_u32_e32 vcc, s31, v6
	v_mov_b32_e32 v3, s28
	v_mov_b32_e32 v4, s29
	s_orn2_b64 s[2:3], vcc, exec
; %bb.44:
	s_or_b64 exec, exec, s[4:5]
	s_and_saveexec_b64 s[4:5], s[2:3]
	s_cbranch_execz .LBB21_46
; %bb.45:
	v_lshlrev_b64 v[3:4], 3, v[3:4]
	v_mov_b32_e32 v16, s17
	v_add_co_u32_e32 v3, vcc, s16, v3
	v_addc_co_u32_e32 v4, vcc, v16, v4, vcc
	v_lshlrev_b32_e32 v6, 3, v6
	v_add_co_u32_e32 v3, vcc, v3, v6
	v_addc_co_u32_e32 v4, vcc, 0, v4, vcc
	global_load_dwordx2 v[3:4], v[3:4], off
	s_waitcnt vmcnt(0)
	ds_write_b64 v5, v[3:4] offset:2048
.LBB21_46:
	;; [unrolled: 29-line block ×6, first 2 shown]
	s_or_b64 exec, exec, s[4:5]
	v_or_b32_e32 v16, 0x380, v0
	v_mov_b32_e32 v3, s8
	v_cmp_le_u32_e32 vcc, s30, v16
	s_mov_b64 s[4:5], -1
	v_mov_b32_e32 v4, s9
	v_mov_b32_e32 v5, v16
	s_and_saveexec_b64 s[2:3], vcc
; %bb.63:
	v_subrev_u32_e32 v5, s30, v16
	v_cmp_gt_u32_e32 vcc, s31, v5
	v_mov_b32_e32 v3, s6
	v_mov_b32_e32 v4, s7
	s_orn2_b64 s[4:5], vcc, exec
; %bb.64:
	s_or_b64 exec, exec, s[2:3]
.LBB21_65:
	s_and_saveexec_b64 s[2:3], s[4:5]
	s_cbranch_execz .LBB21_67
; %bb.66:
	v_mov_b32_e32 v6, 0
	v_lshlrev_b64 v[5:6], 3, v[5:6]
	v_add_co_u32_e32 v3, vcc, v3, v5
	v_addc_co_u32_e32 v4, vcc, v4, v6, vcc
	global_load_dwordx2 v[3:4], v[3:4], off
	v_lshlrev_b32_e32 v5, 3, v16
	s_waitcnt vmcnt(0)
	ds_write_b64 v5, v[3:4]
.LBB21_67:
	s_or_b64 exec, exec, s[2:3]
	s_and_b64 vcc, exec, s[0:1]
	v_add_u32_e32 v3, s22, v7
	s_waitcnt lgkmcnt(0)
	s_barrier
	s_cbranch_vccnz .LBB21_69
; %bb.68:
	v_lshlrev_b32_e32 v16, 3, v15
	v_lshlrev_b32_e32 v18, 3, v14
	;; [unrolled: 1-line block ×7, first 2 shown]
	v_mov_b32_e32 v4, 0
	ds_read_b64 v[16:17], v16
	ds_read_b64 v[18:19], v18
	;; [unrolled: 1-line block ×7, first 2 shown]
	v_lshlrev_b64 v[5:6], 3, v[3:4]
	v_mov_b32_e32 v30, s19
	v_add_co_u32_e32 v5, vcc, s18, v5
	v_addc_co_u32_e32 v6, vcc, v30, v6, vcc
	s_mov_b64 s[0:1], -1
	s_waitcnt lgkmcnt(5)
	global_store_dwordx4 v[5:6], v[16:19], off
	s_waitcnt lgkmcnt(3)
	global_store_dwordx4 v[5:6], v[20:23], off offset:16
	s_waitcnt lgkmcnt(1)
	global_store_dwordx4 v[5:6], v[24:27], off offset:32
	s_waitcnt lgkmcnt(0)
	global_store_dwordx2 v[5:6], v[28:29], off offset:48
	s_cbranch_execz .LBB21_70
	s_branch .LBB21_87
.LBB21_69:
	s_mov_b64 s[0:1], 0
.LBB21_70:
	v_cmp_gt_u32_e32 vcc, s21, v7
	s_and_saveexec_b64 s[2:3], vcc
	s_cbranch_execz .LBB21_72
; %bb.71:
	v_lshlrev_b32_e32 v6, 3, v15
	v_mov_b32_e32 v4, 0
	ds_read_b64 v[15:16], v6
	v_lshlrev_b64 v[4:5], 3, v[3:4]
	v_mov_b32_e32 v17, s19
	v_add_co_u32_e32 v4, vcc, s18, v4
	v_addc_co_u32_e32 v5, vcc, v17, v5, vcc
	s_waitcnt lgkmcnt(0)
	global_store_dwordx2 v[4:5], v[15:16], off
.LBB21_72:
	s_or_b64 exec, exec, s[2:3]
	v_or_b32_e32 v4, 1, v7
	v_cmp_gt_u32_e32 vcc, s21, v4
	s_and_saveexec_b64 s[2:3], vcc
	s_cbranch_execz .LBB21_74
; %bb.73:
	v_lshlrev_b32_e32 v6, 3, v14
	v_mov_b32_e32 v4, 0
	ds_read_b64 v[14:15], v6
	v_lshlrev_b64 v[4:5], 3, v[3:4]
	v_mov_b32_e32 v16, s19
	v_add_co_u32_e32 v4, vcc, s18, v4
	v_addc_co_u32_e32 v5, vcc, v16, v5, vcc
	s_waitcnt lgkmcnt(0)
	global_store_dwordx2 v[4:5], v[14:15], off offset:8
.LBB21_74:
	s_or_b64 exec, exec, s[2:3]
	v_or_b32_e32 v4, 2, v7
	v_cmp_gt_u32_e32 vcc, s21, v4
	s_and_saveexec_b64 s[2:3], vcc
	s_cbranch_execz .LBB21_76
; %bb.75:
	v_lshlrev_b32_e32 v6, 3, v13
	v_mov_b32_e32 v4, 0
	ds_read_b64 v[13:14], v6
	v_lshlrev_b64 v[4:5], 3, v[3:4]
	v_mov_b32_e32 v15, s19
	v_add_co_u32_e32 v4, vcc, s18, v4
	v_addc_co_u32_e32 v5, vcc, v15, v5, vcc
	s_waitcnt lgkmcnt(0)
	global_store_dwordx2 v[4:5], v[13:14], off offset:16
.LBB21_76:
	;; [unrolled: 16-line block ×6, first 2 shown]
	s_or_b64 exec, exec, s[2:3]
	v_or_b32_e32 v4, 7, v7
	v_cmp_gt_u32_e32 vcc, s21, v4
	s_and_saveexec_b64 s[2:3], vcc
; %bb.85:
	v_mov_b32_e32 v4, 0
	s_or_b64 s[0:1], s[0:1], exec
; %bb.86:
	s_or_b64 exec, exec, s[2:3]
.LBB21_87:
	s_and_saveexec_b64 s[2:3], s[0:1]
	s_cbranch_execz .LBB21_89
; %bb.88:
	v_lshlrev_b32_e32 v5, 3, v8
	ds_read_b64 v[5:6], v5
	v_lshlrev_b64 v[3:4], 3, v[3:4]
	v_mov_b32_e32 v8, s19
	v_add_co_u32_e32 v3, vcc, s18, v3
	v_addc_co_u32_e32 v4, vcc, v8, v4, vcc
	s_waitcnt lgkmcnt(0)
	global_store_dwordx2 v[3:4], v[5:6], off offset:56
.LBB21_89:
	s_or_b64 exec, exec, s[2:3]
	v_lshrrev_b32_e32 v3, 2, v0
	s_add_u32 s0, s14, s22
	v_and_b32_e32 v3, 28, v3
	s_addc_u32 s1, s15, 0
	v_add_u32_e32 v3, v3, v7
	s_waitcnt vmcnt(0)
	s_barrier
	s_barrier
	ds_write2_b32 v3, v1, v2 offset1:1
	v_mov_b32_e32 v2, s1
	v_add_co_u32_e32 v1, vcc, s0, v0
	v_addc_co_u32_e32 v2, vcc, 0, v2, vcc
	s_and_b64 vcc, exec, s[24:25]
	v_add_u32_e32 v4, 4, v0
	v_add_u32_e32 v5, 8, v0
	;; [unrolled: 1-line block ×7, first 2 shown]
	s_waitcnt lgkmcnt(0)
	s_cbranch_vccz .LBB21_91
; %bb.90:
	s_barrier
	ds_read_u8 v11, v0
	ds_read_u8 v12, v4 offset:128
	ds_read_u8 v13, v5 offset:256
	;; [unrolled: 1-line block ×7, first 2 shown]
	s_waitcnt lgkmcnt(7)
	global_store_byte v[1:2], v11, off
	s_waitcnt lgkmcnt(6)
	global_store_byte v[1:2], v12, off offset:128
	s_waitcnt lgkmcnt(5)
	global_store_byte v[1:2], v13, off offset:256
	;; [unrolled: 2-line block ×6, first 2 shown]
	s_mov_b64 s[0:1], -1
	s_cbranch_execz .LBB21_92
	s_branch .LBB21_107
.LBB21_91:
	s_mov_b64 s[0:1], 0
                                        ; implicit-def: $vgpr3
.LBB21_92:
	s_waitcnt vmcnt(0) lgkmcnt(0)
	s_barrier
	ds_read_u8 v13, v4 offset:128
	ds_read_u8 v12, v5 offset:256
	;; [unrolled: 1-line block ×7, first 2 shown]
	s_sub_i32 s2, s20, s22
	v_or_b32_e32 v7, 0x80, v0
	v_cmp_gt_u32_e32 vcc, s2, v0
	s_and_saveexec_b64 s[0:1], vcc
	s_cbranch_execz .LBB21_94
; %bb.93:
	ds_read_u8 v8, v0
	s_waitcnt lgkmcnt(0)
	global_store_byte v[1:2], v8, off
.LBB21_94:
	s_or_b64 exec, exec, s[0:1]
	v_or_b32_e32 v8, 0x100, v0
	v_cmp_gt_u32_e32 vcc, s2, v7
	s_and_saveexec_b64 s[0:1], vcc
	s_cbranch_execz .LBB21_96
; %bb.95:
	s_waitcnt lgkmcnt(6)
	global_store_byte v[1:2], v13, off offset:128
.LBB21_96:
	s_or_b64 exec, exec, s[0:1]
	v_or_b32_e32 v7, 0x180, v0
	v_cmp_gt_u32_e32 vcc, s2, v8
	s_and_saveexec_b64 s[0:1], vcc
	s_cbranch_execz .LBB21_98
; %bb.97:
	s_waitcnt lgkmcnt(5)
	global_store_byte v[1:2], v12, off offset:256
.LBB21_98:
	;; [unrolled: 9-line block ×4, first 2 shown]
	s_or_b64 exec, exec, s[0:1]
	s_waitcnt lgkmcnt(3)
	v_or_b32_e32 v6, 0x300, v0
	v_cmp_gt_u32_e32 vcc, s2, v7
	s_and_saveexec_b64 s[0:1], vcc
	s_cbranch_execz .LBB21_104
; %bb.103:
	s_waitcnt lgkmcnt(2)
	global_store_byte v[1:2], v5, off offset:640
.LBB21_104:
	s_or_b64 exec, exec, s[0:1]
	v_or_b32_e32 v0, 0x380, v0
	v_cmp_gt_u32_e32 vcc, s2, v6
	s_and_saveexec_b64 s[0:1], vcc
	s_cbranch_execz .LBB21_106
; %bb.105:
	s_waitcnt lgkmcnt(1)
	global_store_byte v[1:2], v4, off offset:768
.LBB21_106:
	s_or_b64 exec, exec, s[0:1]
	v_cmp_gt_u32_e64 s[0:1], s2, v0
.LBB21_107:
	s_and_saveexec_b64 s[2:3], s[0:1]
	s_cbranch_execz .LBB21_109
; %bb.108:
	s_waitcnt lgkmcnt(0)
	global_store_byte v[1:2], v3, off offset:896
.LBB21_109:
	s_endpgm
.LBB21_110:
	v_mov_b32_e32 v1, s7
	v_add_co_u32_e32 v6, vcc, s5, v0
	v_addc_co_u32_e32 v1, vcc, 0, v1, vcc
	v_subrev_co_u32_e32 v2, vcc, s30, v0
	v_mov_b32_e32 v7, s8
	v_add_co_u32_e64 v8, s[0:1], s4, v2
	v_addc_co_u32_e64 v2, s[0:1], 0, v7, s[0:1]
	v_cndmask_b32_e32 v2, v2, v1, vcc
	v_cndmask_b32_e32 v1, v8, v6, vcc
	global_load_ubyte v1, v[1:2], off
	v_mov_b32_e32 v2, s6
	s_waitcnt vmcnt(0)
	v_and_b32_e32 v1, 0xffff, v1
	s_or_b64 exec, exec, s[2:3]
	v_cmp_gt_u32_e32 vcc, s21, v5
	s_and_saveexec_b64 s[2:3], vcc
	s_cbranch_execz .LBB21_6
.LBB21_111:
	v_mov_b32_e32 v6, s7
	v_add_co_u32_e32 v7, vcc, s5, v5
	v_addc_co_u32_e32 v6, vcc, 0, v6, vcc
	v_subrev_co_u32_e32 v5, vcc, s30, v5
	v_mov_b32_e32 v8, s8
	v_add_co_u32_e64 v5, s[0:1], s4, v5
	v_addc_co_u32_e64 v8, s[0:1], 0, v8, s[0:1]
	v_cndmask_b32_e32 v6, v8, v6, vcc
	v_cndmask_b32_e32 v5, v5, v7, vcc
	global_load_ubyte v5, v[5:6], off
	s_mov_b32 s0, 0x7060004
	s_waitcnt vmcnt(0)
	v_perm_b32 v1, v1, v5, s0
	s_or_b64 exec, exec, s[2:3]
	v_cmp_gt_u32_e32 vcc, s21, v4
	s_and_saveexec_b64 s[2:3], vcc
	s_cbranch_execnz .LBB21_7
	s_branch .LBB21_8
	.section	.rodata,"a",@progbits
	.p2align	6, 0x0
	.amdhsa_kernel _ZN7rocprim17ROCPRIM_304000_NS6detail35device_block_merge_mergepath_kernelINS1_37wrapped_merge_sort_block_merge_configINS0_14default_configEhN2at4cuda3cub6detail10OpaqueTypeILi8EEEEEPhSC_PSA_SD_jNS1_19radix_merge_compareILb0ELb1EhNS0_19identity_decomposerEEEEEvT0_T1_T2_T3_T4_SL_jT5_PKSL_NS1_7vsmem_tE
		.amdhsa_group_segment_fixed_size 8208
		.amdhsa_private_segment_fixed_size 0
		.amdhsa_kernarg_size 320
		.amdhsa_user_sgpr_count 6
		.amdhsa_user_sgpr_private_segment_buffer 1
		.amdhsa_user_sgpr_dispatch_ptr 0
		.amdhsa_user_sgpr_queue_ptr 0
		.amdhsa_user_sgpr_kernarg_segment_ptr 1
		.amdhsa_user_sgpr_dispatch_id 0
		.amdhsa_user_sgpr_flat_scratch_init 0
		.amdhsa_user_sgpr_private_segment_size 0
		.amdhsa_uses_dynamic_stack 0
		.amdhsa_system_sgpr_private_segment_wavefront_offset 0
		.amdhsa_system_sgpr_workgroup_id_x 1
		.amdhsa_system_sgpr_workgroup_id_y 1
		.amdhsa_system_sgpr_workgroup_id_z 1
		.amdhsa_system_sgpr_workgroup_info 0
		.amdhsa_system_vgpr_workitem_id 0
		.amdhsa_next_free_vgpr 49
		.amdhsa_next_free_sgpr 98
		.amdhsa_reserve_vcc 1
		.amdhsa_reserve_flat_scratch 0
		.amdhsa_float_round_mode_32 0
		.amdhsa_float_round_mode_16_64 0
		.amdhsa_float_denorm_mode_32 3
		.amdhsa_float_denorm_mode_16_64 3
		.amdhsa_dx10_clamp 1
		.amdhsa_ieee_mode 1
		.amdhsa_fp16_overflow 0
		.amdhsa_exception_fp_ieee_invalid_op 0
		.amdhsa_exception_fp_denorm_src 0
		.amdhsa_exception_fp_ieee_div_zero 0
		.amdhsa_exception_fp_ieee_overflow 0
		.amdhsa_exception_fp_ieee_underflow 0
		.amdhsa_exception_fp_ieee_inexact 0
		.amdhsa_exception_int_div_zero 0
	.end_amdhsa_kernel
	.section	.text._ZN7rocprim17ROCPRIM_304000_NS6detail35device_block_merge_mergepath_kernelINS1_37wrapped_merge_sort_block_merge_configINS0_14default_configEhN2at4cuda3cub6detail10OpaqueTypeILi8EEEEEPhSC_PSA_SD_jNS1_19radix_merge_compareILb0ELb1EhNS0_19identity_decomposerEEEEEvT0_T1_T2_T3_T4_SL_jT5_PKSL_NS1_7vsmem_tE,"axG",@progbits,_ZN7rocprim17ROCPRIM_304000_NS6detail35device_block_merge_mergepath_kernelINS1_37wrapped_merge_sort_block_merge_configINS0_14default_configEhN2at4cuda3cub6detail10OpaqueTypeILi8EEEEEPhSC_PSA_SD_jNS1_19radix_merge_compareILb0ELb1EhNS0_19identity_decomposerEEEEEvT0_T1_T2_T3_T4_SL_jT5_PKSL_NS1_7vsmem_tE,comdat
.Lfunc_end21:
	.size	_ZN7rocprim17ROCPRIM_304000_NS6detail35device_block_merge_mergepath_kernelINS1_37wrapped_merge_sort_block_merge_configINS0_14default_configEhN2at4cuda3cub6detail10OpaqueTypeILi8EEEEEPhSC_PSA_SD_jNS1_19radix_merge_compareILb0ELb1EhNS0_19identity_decomposerEEEEEvT0_T1_T2_T3_T4_SL_jT5_PKSL_NS1_7vsmem_tE, .Lfunc_end21-_ZN7rocprim17ROCPRIM_304000_NS6detail35device_block_merge_mergepath_kernelINS1_37wrapped_merge_sort_block_merge_configINS0_14default_configEhN2at4cuda3cub6detail10OpaqueTypeILi8EEEEEPhSC_PSA_SD_jNS1_19radix_merge_compareILb0ELb1EhNS0_19identity_decomposerEEEEEvT0_T1_T2_T3_T4_SL_jT5_PKSL_NS1_7vsmem_tE
                                        ; -- End function
	.set _ZN7rocprim17ROCPRIM_304000_NS6detail35device_block_merge_mergepath_kernelINS1_37wrapped_merge_sort_block_merge_configINS0_14default_configEhN2at4cuda3cub6detail10OpaqueTypeILi8EEEEEPhSC_PSA_SD_jNS1_19radix_merge_compareILb0ELb1EhNS0_19identity_decomposerEEEEEvT0_T1_T2_T3_T4_SL_jT5_PKSL_NS1_7vsmem_tE.num_vgpr, 31
	.set _ZN7rocprim17ROCPRIM_304000_NS6detail35device_block_merge_mergepath_kernelINS1_37wrapped_merge_sort_block_merge_configINS0_14default_configEhN2at4cuda3cub6detail10OpaqueTypeILi8EEEEEPhSC_PSA_SD_jNS1_19radix_merge_compareILb0ELb1EhNS0_19identity_decomposerEEEEEvT0_T1_T2_T3_T4_SL_jT5_PKSL_NS1_7vsmem_tE.num_agpr, 0
	.set _ZN7rocprim17ROCPRIM_304000_NS6detail35device_block_merge_mergepath_kernelINS1_37wrapped_merge_sort_block_merge_configINS0_14default_configEhN2at4cuda3cub6detail10OpaqueTypeILi8EEEEEPhSC_PSA_SD_jNS1_19radix_merge_compareILb0ELb1EhNS0_19identity_decomposerEEEEEvT0_T1_T2_T3_T4_SL_jT5_PKSL_NS1_7vsmem_tE.numbered_sgpr, 36
	.set _ZN7rocprim17ROCPRIM_304000_NS6detail35device_block_merge_mergepath_kernelINS1_37wrapped_merge_sort_block_merge_configINS0_14default_configEhN2at4cuda3cub6detail10OpaqueTypeILi8EEEEEPhSC_PSA_SD_jNS1_19radix_merge_compareILb0ELb1EhNS0_19identity_decomposerEEEEEvT0_T1_T2_T3_T4_SL_jT5_PKSL_NS1_7vsmem_tE.num_named_barrier, 0
	.set _ZN7rocprim17ROCPRIM_304000_NS6detail35device_block_merge_mergepath_kernelINS1_37wrapped_merge_sort_block_merge_configINS0_14default_configEhN2at4cuda3cub6detail10OpaqueTypeILi8EEEEEPhSC_PSA_SD_jNS1_19radix_merge_compareILb0ELb1EhNS0_19identity_decomposerEEEEEvT0_T1_T2_T3_T4_SL_jT5_PKSL_NS1_7vsmem_tE.private_seg_size, 0
	.set _ZN7rocprim17ROCPRIM_304000_NS6detail35device_block_merge_mergepath_kernelINS1_37wrapped_merge_sort_block_merge_configINS0_14default_configEhN2at4cuda3cub6detail10OpaqueTypeILi8EEEEEPhSC_PSA_SD_jNS1_19radix_merge_compareILb0ELb1EhNS0_19identity_decomposerEEEEEvT0_T1_T2_T3_T4_SL_jT5_PKSL_NS1_7vsmem_tE.uses_vcc, 1
	.set _ZN7rocprim17ROCPRIM_304000_NS6detail35device_block_merge_mergepath_kernelINS1_37wrapped_merge_sort_block_merge_configINS0_14default_configEhN2at4cuda3cub6detail10OpaqueTypeILi8EEEEEPhSC_PSA_SD_jNS1_19radix_merge_compareILb0ELb1EhNS0_19identity_decomposerEEEEEvT0_T1_T2_T3_T4_SL_jT5_PKSL_NS1_7vsmem_tE.uses_flat_scratch, 0
	.set _ZN7rocprim17ROCPRIM_304000_NS6detail35device_block_merge_mergepath_kernelINS1_37wrapped_merge_sort_block_merge_configINS0_14default_configEhN2at4cuda3cub6detail10OpaqueTypeILi8EEEEEPhSC_PSA_SD_jNS1_19radix_merge_compareILb0ELb1EhNS0_19identity_decomposerEEEEEvT0_T1_T2_T3_T4_SL_jT5_PKSL_NS1_7vsmem_tE.has_dyn_sized_stack, 0
	.set _ZN7rocprim17ROCPRIM_304000_NS6detail35device_block_merge_mergepath_kernelINS1_37wrapped_merge_sort_block_merge_configINS0_14default_configEhN2at4cuda3cub6detail10OpaqueTypeILi8EEEEEPhSC_PSA_SD_jNS1_19radix_merge_compareILb0ELb1EhNS0_19identity_decomposerEEEEEvT0_T1_T2_T3_T4_SL_jT5_PKSL_NS1_7vsmem_tE.has_recursion, 0
	.set _ZN7rocprim17ROCPRIM_304000_NS6detail35device_block_merge_mergepath_kernelINS1_37wrapped_merge_sort_block_merge_configINS0_14default_configEhN2at4cuda3cub6detail10OpaqueTypeILi8EEEEEPhSC_PSA_SD_jNS1_19radix_merge_compareILb0ELb1EhNS0_19identity_decomposerEEEEEvT0_T1_T2_T3_T4_SL_jT5_PKSL_NS1_7vsmem_tE.has_indirect_call, 0
	.section	.AMDGPU.csdata,"",@progbits
; Kernel info:
; codeLenInByte = 5680
; TotalNumSgprs: 40
; NumVgprs: 31
; ScratchSize: 0
; MemoryBound: 0
; FloatMode: 240
; IeeeMode: 1
; LDSByteSize: 8208 bytes/workgroup (compile time only)
; SGPRBlocks: 12
; VGPRBlocks: 12
; NumSGPRsForWavesPerEU: 102
; NumVGPRsForWavesPerEU: 49
; Occupancy: 4
; WaveLimiterHint : 1
; COMPUTE_PGM_RSRC2:SCRATCH_EN: 0
; COMPUTE_PGM_RSRC2:USER_SGPR: 6
; COMPUTE_PGM_RSRC2:TRAP_HANDLER: 0
; COMPUTE_PGM_RSRC2:TGID_X_EN: 1
; COMPUTE_PGM_RSRC2:TGID_Y_EN: 1
; COMPUTE_PGM_RSRC2:TGID_Z_EN: 1
; COMPUTE_PGM_RSRC2:TIDIG_COMP_CNT: 0
	.section	.text._ZN7rocprim17ROCPRIM_304000_NS6detail33device_block_merge_oddeven_kernelINS1_37wrapped_merge_sort_block_merge_configINS0_14default_configEhN2at4cuda3cub6detail10OpaqueTypeILi8EEEEEPhSC_PSA_SD_jNS1_19radix_merge_compareILb0ELb1EhNS0_19identity_decomposerEEEEEvT0_T1_T2_T3_T4_SL_T5_,"axG",@progbits,_ZN7rocprim17ROCPRIM_304000_NS6detail33device_block_merge_oddeven_kernelINS1_37wrapped_merge_sort_block_merge_configINS0_14default_configEhN2at4cuda3cub6detail10OpaqueTypeILi8EEEEEPhSC_PSA_SD_jNS1_19radix_merge_compareILb0ELb1EhNS0_19identity_decomposerEEEEEvT0_T1_T2_T3_T4_SL_T5_,comdat
	.protected	_ZN7rocprim17ROCPRIM_304000_NS6detail33device_block_merge_oddeven_kernelINS1_37wrapped_merge_sort_block_merge_configINS0_14default_configEhN2at4cuda3cub6detail10OpaqueTypeILi8EEEEEPhSC_PSA_SD_jNS1_19radix_merge_compareILb0ELb1EhNS0_19identity_decomposerEEEEEvT0_T1_T2_T3_T4_SL_T5_ ; -- Begin function _ZN7rocprim17ROCPRIM_304000_NS6detail33device_block_merge_oddeven_kernelINS1_37wrapped_merge_sort_block_merge_configINS0_14default_configEhN2at4cuda3cub6detail10OpaqueTypeILi8EEEEEPhSC_PSA_SD_jNS1_19radix_merge_compareILb0ELb1EhNS0_19identity_decomposerEEEEEvT0_T1_T2_T3_T4_SL_T5_
	.globl	_ZN7rocprim17ROCPRIM_304000_NS6detail33device_block_merge_oddeven_kernelINS1_37wrapped_merge_sort_block_merge_configINS0_14default_configEhN2at4cuda3cub6detail10OpaqueTypeILi8EEEEEPhSC_PSA_SD_jNS1_19radix_merge_compareILb0ELb1EhNS0_19identity_decomposerEEEEEvT0_T1_T2_T3_T4_SL_T5_
	.p2align	8
	.type	_ZN7rocprim17ROCPRIM_304000_NS6detail33device_block_merge_oddeven_kernelINS1_37wrapped_merge_sort_block_merge_configINS0_14default_configEhN2at4cuda3cub6detail10OpaqueTypeILi8EEEEEPhSC_PSA_SD_jNS1_19radix_merge_compareILb0ELb1EhNS0_19identity_decomposerEEEEEvT0_T1_T2_T3_T4_SL_T5_,@function
_ZN7rocprim17ROCPRIM_304000_NS6detail33device_block_merge_oddeven_kernelINS1_37wrapped_merge_sort_block_merge_configINS0_14default_configEhN2at4cuda3cub6detail10OpaqueTypeILi8EEEEEPhSC_PSA_SD_jNS1_19radix_merge_compareILb0ELb1EhNS0_19identity_decomposerEEEEEvT0_T1_T2_T3_T4_SL_T5_: ; @_ZN7rocprim17ROCPRIM_304000_NS6detail33device_block_merge_oddeven_kernelINS1_37wrapped_merge_sort_block_merge_configINS0_14default_configEhN2at4cuda3cub6detail10OpaqueTypeILi8EEEEEPhSC_PSA_SD_jNS1_19radix_merge_compareILb0ELb1EhNS0_19identity_decomposerEEEEEvT0_T1_T2_T3_T4_SL_T5_
; %bb.0:
	s_load_dwordx4 s[16:19], s[4:5], 0x20
	s_waitcnt lgkmcnt(0)
	s_lshr_b32 s0, s16, 8
	s_cmp_eq_u32 s6, s0
	s_cselect_b64 s[20:21], -1, 0
	s_cmp_lg_u32 s6, s0
	s_cselect_b64 s[0:1], -1, 0
	s_lshl_b32 s22, s6, 8
	s_sub_i32 s2, s16, s22
	v_cmp_gt_u32_e64 s[2:3], s2, v0
	s_or_b64 s[0:1], s[0:1], s[2:3]
	s_and_saveexec_b64 s[8:9], s[0:1]
	s_cbranch_execz .LBB22_24
; %bb.1:
	s_load_dwordx8 s[8:15], s[4:5], 0x0
	s_mov_b32 s23, 0
	v_lshlrev_b32_e32 v3, 3, v0
	s_waitcnt lgkmcnt(0)
	s_add_u32 s0, s8, s22
	s_addc_u32 s1, s9, 0
	s_lshl_b64 s[4:5], s[22:23], 3
	s_add_u32 s4, s12, s4
	s_addc_u32 s5, s13, s5
	global_load_dwordx2 v[1:2], v3, s[4:5]
	global_load_ubyte v5, v0, s[0:1]
	s_lshr_b32 s0, s17, 8
	s_sub_i32 s1, 0, s0
	s_and_b32 s1, s6, s1
	s_and_b32 s0, s1, s0
	s_lshl_b32 s13, s1, 8
	s_sub_i32 s6, 0, s17
	s_cmp_eq_u32 s0, 0
	s_cselect_b64 s[0:1], -1, 0
	s_and_b64 s[4:5], s[0:1], exec
	s_cselect_b32 s6, s17, s6
	s_add_i32 s6, s6, s13
	s_mov_b64 s[4:5], -1
	s_cmp_gt_u32 s16, s6
	v_add_u32_e32 v3, s22, v0
	s_cbranch_scc1 .LBB22_9
; %bb.2:
	s_and_b64 vcc, exec, s[20:21]
	s_cbranch_vccz .LBB22_6
; %bb.3:
	v_cmp_gt_u32_e32 vcc, s16, v3
	s_and_saveexec_b64 s[4:5], vcc
	s_cbranch_execz .LBB22_5
; %bb.4:
	v_mov_b32_e32 v4, 0
	v_lshlrev_b64 v[6:7], 3, v[3:4]
	v_mov_b32_e32 v0, s15
	v_add_co_u32_e32 v6, vcc, s14, v6
	v_addc_co_u32_e32 v7, vcc, v0, v7, vcc
	s_waitcnt vmcnt(0)
	global_store_byte v3, v5, s[10:11]
	global_store_dwordx2 v[6:7], v[1:2], off
.LBB22_5:
	s_or_b64 exec, exec, s[4:5]
	s_mov_b64 s[4:5], 0
.LBB22_6:
	s_andn2_b64 vcc, exec, s[4:5]
	s_cbranch_vccnz .LBB22_8
; %bb.7:
	v_mov_b32_e32 v4, 0
	v_lshlrev_b64 v[6:7], 3, v[3:4]
	v_mov_b32_e32 v0, s15
	v_add_co_u32_e32 v6, vcc, s14, v6
	v_addc_co_u32_e32 v7, vcc, v0, v7, vcc
	s_waitcnt vmcnt(0)
	global_store_byte v3, v5, s[10:11]
	global_store_dwordx2 v[6:7], v[1:2], off
.LBB22_8:
	s_mov_b64 s[4:5], 0
.LBB22_9:
	s_andn2_b64 vcc, exec, s[4:5]
	s_cbranch_vccnz .LBB22_24
; %bb.10:
	s_min_u32 s7, s6, s16
	s_add_i32 s4, s7, s17
	s_min_u32 s12, s4, s16
	s_min_u32 s4, s13, s7
	s_add_i32 s13, s13, s7
	v_subrev_u32_e32 v0, s13, v3
	v_add_u32_e32 v0, s4, v0
	s_waitcnt vmcnt(0)
	v_and_b32_e32 v3, s18, v5
	s_mov_b64 s[4:5], -1
	s_and_b64 vcc, exec, s[20:21]
	s_cbranch_vccz .LBB22_18
; %bb.11:
	s_and_saveexec_b64 s[4:5], s[2:3]
	s_cbranch_execz .LBB22_17
; %bb.12:
	s_cmp_ge_u32 s6, s12
	v_mov_b32_e32 v4, s7
	s_cbranch_scc1 .LBB22_16
; %bb.13:
	s_mov_b64 s[2:3], 0
	v_mov_b32_e32 v6, s12
	v_mov_b32_e32 v4, s7
	s_and_b32 s13, s18, 0xff
.LBB22_14:                              ; =>This Inner Loop Header: Depth=1
	v_add_u32_e32 v7, v4, v6
	v_lshrrev_b32_e32 v7, 1, v7
	global_load_ubyte v8, v7, s[8:9]
	v_add_u32_e32 v9, 1, v7
	s_waitcnt vmcnt(0)
	v_and_b32_e32 v8, s13, v8
	v_cmp_gt_u16_sdwa s[16:17], v3, v8 src0_sel:BYTE_0 src1_sel:DWORD
	v_cndmask_b32_e64 v10, 0, 1, s[16:17]
	v_cmp_le_u16_sdwa s[16:17], v8, v3 src0_sel:DWORD src1_sel:BYTE_0
	v_cndmask_b32_e64 v8, 0, 1, s[16:17]
	v_cndmask_b32_e64 v8, v8, v10, s[0:1]
	v_and_b32_e32 v8, 1, v8
	v_cmp_eq_u32_e32 vcc, 1, v8
	v_cndmask_b32_e32 v6, v7, v6, vcc
	v_cndmask_b32_e32 v4, v4, v9, vcc
	v_cmp_ge_u32_e32 vcc, v4, v6
	s_or_b64 s[2:3], vcc, s[2:3]
	s_andn2_b64 exec, exec, s[2:3]
	s_cbranch_execnz .LBB22_14
; %bb.15:
	s_or_b64 exec, exec, s[2:3]
.LBB22_16:
	v_add_u32_e32 v6, v4, v0
	v_mov_b32_e32 v7, 0
	global_store_byte v6, v5, s[10:11]
	v_lshlrev_b64 v[6:7], 3, v[6:7]
	v_mov_b32_e32 v4, s15
	v_add_co_u32_e32 v6, vcc, s14, v6
	v_addc_co_u32_e32 v7, vcc, v4, v7, vcc
	global_store_dwordx2 v[6:7], v[1:2], off
.LBB22_17:
	s_or_b64 exec, exec, s[4:5]
	s_mov_b64 s[4:5], 0
.LBB22_18:
	s_andn2_b64 vcc, exec, s[4:5]
	s_cbranch_vccnz .LBB22_24
; %bb.19:
	s_cmp_ge_u32 s6, s12
	v_mov_b32_e32 v4, s7
	s_cbranch_scc1 .LBB22_23
; %bb.20:
	s_mov_b64 s[2:3], 0
	v_mov_b32_e32 v6, s12
	v_mov_b32_e32 v4, s7
	s_and_b32 s4, s18, 0xff
.LBB22_21:                              ; =>This Inner Loop Header: Depth=1
	v_add_u32_e32 v7, v4, v6
	v_lshrrev_b32_e32 v7, 1, v7
	global_load_ubyte v8, v7, s[8:9]
	v_add_u32_e32 v9, 1, v7
	s_waitcnt vmcnt(0)
	v_and_b32_e32 v8, s4, v8
	v_cmp_gt_u16_sdwa s[6:7], v3, v8 src0_sel:BYTE_0 src1_sel:DWORD
	v_cndmask_b32_e64 v10, 0, 1, s[6:7]
	v_cmp_le_u16_sdwa s[6:7], v8, v3 src0_sel:DWORD src1_sel:BYTE_0
	v_cndmask_b32_e64 v8, 0, 1, s[6:7]
	v_cndmask_b32_e64 v8, v8, v10, s[0:1]
	v_and_b32_e32 v8, 1, v8
	v_cmp_eq_u32_e32 vcc, 1, v8
	v_cndmask_b32_e32 v6, v7, v6, vcc
	v_cndmask_b32_e32 v4, v4, v9, vcc
	v_cmp_ge_u32_e32 vcc, v4, v6
	s_or_b64 s[2:3], vcc, s[2:3]
	s_andn2_b64 exec, exec, s[2:3]
	s_cbranch_execnz .LBB22_21
; %bb.22:
	s_or_b64 exec, exec, s[2:3]
.LBB22_23:
	v_add_u32_e32 v3, v4, v0
	v_mov_b32_e32 v4, 0
	global_store_byte v3, v5, s[10:11]
	v_lshlrev_b64 v[3:4], 3, v[3:4]
	v_mov_b32_e32 v0, s15
	v_add_co_u32_e32 v3, vcc, s14, v3
	v_addc_co_u32_e32 v4, vcc, v0, v4, vcc
	global_store_dwordx2 v[3:4], v[1:2], off
.LBB22_24:
	s_endpgm
	.section	.rodata,"a",@progbits
	.p2align	6, 0x0
	.amdhsa_kernel _ZN7rocprim17ROCPRIM_304000_NS6detail33device_block_merge_oddeven_kernelINS1_37wrapped_merge_sort_block_merge_configINS0_14default_configEhN2at4cuda3cub6detail10OpaqueTypeILi8EEEEEPhSC_PSA_SD_jNS1_19radix_merge_compareILb0ELb1EhNS0_19identity_decomposerEEEEEvT0_T1_T2_T3_T4_SL_T5_
		.amdhsa_group_segment_fixed_size 0
		.amdhsa_private_segment_fixed_size 0
		.amdhsa_kernarg_size 44
		.amdhsa_user_sgpr_count 6
		.amdhsa_user_sgpr_private_segment_buffer 1
		.amdhsa_user_sgpr_dispatch_ptr 0
		.amdhsa_user_sgpr_queue_ptr 0
		.amdhsa_user_sgpr_kernarg_segment_ptr 1
		.amdhsa_user_sgpr_dispatch_id 0
		.amdhsa_user_sgpr_flat_scratch_init 0
		.amdhsa_user_sgpr_private_segment_size 0
		.amdhsa_uses_dynamic_stack 0
		.amdhsa_system_sgpr_private_segment_wavefront_offset 0
		.amdhsa_system_sgpr_workgroup_id_x 1
		.amdhsa_system_sgpr_workgroup_id_y 0
		.amdhsa_system_sgpr_workgroup_id_z 0
		.amdhsa_system_sgpr_workgroup_info 0
		.amdhsa_system_vgpr_workitem_id 0
		.amdhsa_next_free_vgpr 11
		.amdhsa_next_free_sgpr 24
		.amdhsa_reserve_vcc 1
		.amdhsa_reserve_flat_scratch 0
		.amdhsa_float_round_mode_32 0
		.amdhsa_float_round_mode_16_64 0
		.amdhsa_float_denorm_mode_32 3
		.amdhsa_float_denorm_mode_16_64 3
		.amdhsa_dx10_clamp 1
		.amdhsa_ieee_mode 1
		.amdhsa_fp16_overflow 0
		.amdhsa_exception_fp_ieee_invalid_op 0
		.amdhsa_exception_fp_denorm_src 0
		.amdhsa_exception_fp_ieee_div_zero 0
		.amdhsa_exception_fp_ieee_overflow 0
		.amdhsa_exception_fp_ieee_underflow 0
		.amdhsa_exception_fp_ieee_inexact 0
		.amdhsa_exception_int_div_zero 0
	.end_amdhsa_kernel
	.section	.text._ZN7rocprim17ROCPRIM_304000_NS6detail33device_block_merge_oddeven_kernelINS1_37wrapped_merge_sort_block_merge_configINS0_14default_configEhN2at4cuda3cub6detail10OpaqueTypeILi8EEEEEPhSC_PSA_SD_jNS1_19radix_merge_compareILb0ELb1EhNS0_19identity_decomposerEEEEEvT0_T1_T2_T3_T4_SL_T5_,"axG",@progbits,_ZN7rocprim17ROCPRIM_304000_NS6detail33device_block_merge_oddeven_kernelINS1_37wrapped_merge_sort_block_merge_configINS0_14default_configEhN2at4cuda3cub6detail10OpaqueTypeILi8EEEEEPhSC_PSA_SD_jNS1_19radix_merge_compareILb0ELb1EhNS0_19identity_decomposerEEEEEvT0_T1_T2_T3_T4_SL_T5_,comdat
.Lfunc_end22:
	.size	_ZN7rocprim17ROCPRIM_304000_NS6detail33device_block_merge_oddeven_kernelINS1_37wrapped_merge_sort_block_merge_configINS0_14default_configEhN2at4cuda3cub6detail10OpaqueTypeILi8EEEEEPhSC_PSA_SD_jNS1_19radix_merge_compareILb0ELb1EhNS0_19identity_decomposerEEEEEvT0_T1_T2_T3_T4_SL_T5_, .Lfunc_end22-_ZN7rocprim17ROCPRIM_304000_NS6detail33device_block_merge_oddeven_kernelINS1_37wrapped_merge_sort_block_merge_configINS0_14default_configEhN2at4cuda3cub6detail10OpaqueTypeILi8EEEEEPhSC_PSA_SD_jNS1_19radix_merge_compareILb0ELb1EhNS0_19identity_decomposerEEEEEvT0_T1_T2_T3_T4_SL_T5_
                                        ; -- End function
	.set _ZN7rocprim17ROCPRIM_304000_NS6detail33device_block_merge_oddeven_kernelINS1_37wrapped_merge_sort_block_merge_configINS0_14default_configEhN2at4cuda3cub6detail10OpaqueTypeILi8EEEEEPhSC_PSA_SD_jNS1_19radix_merge_compareILb0ELb1EhNS0_19identity_decomposerEEEEEvT0_T1_T2_T3_T4_SL_T5_.num_vgpr, 11
	.set _ZN7rocprim17ROCPRIM_304000_NS6detail33device_block_merge_oddeven_kernelINS1_37wrapped_merge_sort_block_merge_configINS0_14default_configEhN2at4cuda3cub6detail10OpaqueTypeILi8EEEEEPhSC_PSA_SD_jNS1_19radix_merge_compareILb0ELb1EhNS0_19identity_decomposerEEEEEvT0_T1_T2_T3_T4_SL_T5_.num_agpr, 0
	.set _ZN7rocprim17ROCPRIM_304000_NS6detail33device_block_merge_oddeven_kernelINS1_37wrapped_merge_sort_block_merge_configINS0_14default_configEhN2at4cuda3cub6detail10OpaqueTypeILi8EEEEEPhSC_PSA_SD_jNS1_19radix_merge_compareILb0ELb1EhNS0_19identity_decomposerEEEEEvT0_T1_T2_T3_T4_SL_T5_.numbered_sgpr, 24
	.set _ZN7rocprim17ROCPRIM_304000_NS6detail33device_block_merge_oddeven_kernelINS1_37wrapped_merge_sort_block_merge_configINS0_14default_configEhN2at4cuda3cub6detail10OpaqueTypeILi8EEEEEPhSC_PSA_SD_jNS1_19radix_merge_compareILb0ELb1EhNS0_19identity_decomposerEEEEEvT0_T1_T2_T3_T4_SL_T5_.num_named_barrier, 0
	.set _ZN7rocprim17ROCPRIM_304000_NS6detail33device_block_merge_oddeven_kernelINS1_37wrapped_merge_sort_block_merge_configINS0_14default_configEhN2at4cuda3cub6detail10OpaqueTypeILi8EEEEEPhSC_PSA_SD_jNS1_19radix_merge_compareILb0ELb1EhNS0_19identity_decomposerEEEEEvT0_T1_T2_T3_T4_SL_T5_.private_seg_size, 0
	.set _ZN7rocprim17ROCPRIM_304000_NS6detail33device_block_merge_oddeven_kernelINS1_37wrapped_merge_sort_block_merge_configINS0_14default_configEhN2at4cuda3cub6detail10OpaqueTypeILi8EEEEEPhSC_PSA_SD_jNS1_19radix_merge_compareILb0ELb1EhNS0_19identity_decomposerEEEEEvT0_T1_T2_T3_T4_SL_T5_.uses_vcc, 1
	.set _ZN7rocprim17ROCPRIM_304000_NS6detail33device_block_merge_oddeven_kernelINS1_37wrapped_merge_sort_block_merge_configINS0_14default_configEhN2at4cuda3cub6detail10OpaqueTypeILi8EEEEEPhSC_PSA_SD_jNS1_19radix_merge_compareILb0ELb1EhNS0_19identity_decomposerEEEEEvT0_T1_T2_T3_T4_SL_T5_.uses_flat_scratch, 0
	.set _ZN7rocprim17ROCPRIM_304000_NS6detail33device_block_merge_oddeven_kernelINS1_37wrapped_merge_sort_block_merge_configINS0_14default_configEhN2at4cuda3cub6detail10OpaqueTypeILi8EEEEEPhSC_PSA_SD_jNS1_19radix_merge_compareILb0ELb1EhNS0_19identity_decomposerEEEEEvT0_T1_T2_T3_T4_SL_T5_.has_dyn_sized_stack, 0
	.set _ZN7rocprim17ROCPRIM_304000_NS6detail33device_block_merge_oddeven_kernelINS1_37wrapped_merge_sort_block_merge_configINS0_14default_configEhN2at4cuda3cub6detail10OpaqueTypeILi8EEEEEPhSC_PSA_SD_jNS1_19radix_merge_compareILb0ELb1EhNS0_19identity_decomposerEEEEEvT0_T1_T2_T3_T4_SL_T5_.has_recursion, 0
	.set _ZN7rocprim17ROCPRIM_304000_NS6detail33device_block_merge_oddeven_kernelINS1_37wrapped_merge_sort_block_merge_configINS0_14default_configEhN2at4cuda3cub6detail10OpaqueTypeILi8EEEEEPhSC_PSA_SD_jNS1_19radix_merge_compareILb0ELb1EhNS0_19identity_decomposerEEEEEvT0_T1_T2_T3_T4_SL_T5_.has_indirect_call, 0
	.section	.AMDGPU.csdata,"",@progbits
; Kernel info:
; codeLenInByte = 748
; TotalNumSgprs: 28
; NumVgprs: 11
; ScratchSize: 0
; MemoryBound: 0
; FloatMode: 240
; IeeeMode: 1
; LDSByteSize: 0 bytes/workgroup (compile time only)
; SGPRBlocks: 3
; VGPRBlocks: 2
; NumSGPRsForWavesPerEU: 28
; NumVGPRsForWavesPerEU: 11
; Occupancy: 10
; WaveLimiterHint : 0
; COMPUTE_PGM_RSRC2:SCRATCH_EN: 0
; COMPUTE_PGM_RSRC2:USER_SGPR: 6
; COMPUTE_PGM_RSRC2:TRAP_HANDLER: 0
; COMPUTE_PGM_RSRC2:TGID_X_EN: 1
; COMPUTE_PGM_RSRC2:TGID_Y_EN: 0
; COMPUTE_PGM_RSRC2:TGID_Z_EN: 0
; COMPUTE_PGM_RSRC2:TIDIG_COMP_CNT: 0
	.section	.text._ZN7rocprim17ROCPRIM_304000_NS6detail26onesweep_histograms_kernelINS1_34wrapped_radix_sort_onesweep_configINS0_14default_configEhN2at4cuda3cub6detail10OpaqueTypeILi8EEEEELb0EPKhmNS0_19identity_decomposerEEEvT1_PT2_SG_SG_T3_jj,"axG",@progbits,_ZN7rocprim17ROCPRIM_304000_NS6detail26onesweep_histograms_kernelINS1_34wrapped_radix_sort_onesweep_configINS0_14default_configEhN2at4cuda3cub6detail10OpaqueTypeILi8EEEEELb0EPKhmNS0_19identity_decomposerEEEvT1_PT2_SG_SG_T3_jj,comdat
	.protected	_ZN7rocprim17ROCPRIM_304000_NS6detail26onesweep_histograms_kernelINS1_34wrapped_radix_sort_onesweep_configINS0_14default_configEhN2at4cuda3cub6detail10OpaqueTypeILi8EEEEELb0EPKhmNS0_19identity_decomposerEEEvT1_PT2_SG_SG_T3_jj ; -- Begin function _ZN7rocprim17ROCPRIM_304000_NS6detail26onesweep_histograms_kernelINS1_34wrapped_radix_sort_onesweep_configINS0_14default_configEhN2at4cuda3cub6detail10OpaqueTypeILi8EEEEELb0EPKhmNS0_19identity_decomposerEEEvT1_PT2_SG_SG_T3_jj
	.globl	_ZN7rocprim17ROCPRIM_304000_NS6detail26onesweep_histograms_kernelINS1_34wrapped_radix_sort_onesweep_configINS0_14default_configEhN2at4cuda3cub6detail10OpaqueTypeILi8EEEEELb0EPKhmNS0_19identity_decomposerEEEvT1_PT2_SG_SG_T3_jj
	.p2align	8
	.type	_ZN7rocprim17ROCPRIM_304000_NS6detail26onesweep_histograms_kernelINS1_34wrapped_radix_sort_onesweep_configINS0_14default_configEhN2at4cuda3cub6detail10OpaqueTypeILi8EEEEELb0EPKhmNS0_19identity_decomposerEEEvT1_PT2_SG_SG_T3_jj,@function
_ZN7rocprim17ROCPRIM_304000_NS6detail26onesweep_histograms_kernelINS1_34wrapped_radix_sort_onesweep_configINS0_14default_configEhN2at4cuda3cub6detail10OpaqueTypeILi8EEEEELb0EPKhmNS0_19identity_decomposerEEEvT1_PT2_SG_SG_T3_jj: ; @_ZN7rocprim17ROCPRIM_304000_NS6detail26onesweep_histograms_kernelINS1_34wrapped_radix_sort_onesweep_configINS0_14default_configEhN2at4cuda3cub6detail10OpaqueTypeILi8EEEEELb0EPKhmNS0_19identity_decomposerEEEvT1_PT2_SG_SG_T3_jj
; %bb.0:
	s_load_dwordx8 s[12:19], s[4:5], 0x0
	s_load_dwordx2 s[20:21], s[4:5], 0x24
	v_mov_b32_e32 v1, s6
	v_mov_b32_e32 v2, 0
	s_mul_hi_u32 s0, s6, 0xc00
	s_mulk_i32 s6, 0xc00
	s_waitcnt lgkmcnt(0)
	v_cmp_le_u64_e32 vcc, s[18:19], v[1:2]
	s_add_u32 s12, s12, s6
	s_addc_u32 s13, s13, s0
	s_mov_b64 s[0:1], -1
	s_cbranch_vccz .LBB23_46
; %bb.1:
	s_mul_i32 s0, s18, 0xfffff400
	s_add_i32 s16, s0, s16
	v_mov_b32_e32 v1, s13
	v_add_co_u32_e32 v3, vcc, s12, v0
	v_addc_co_u32_e32 v4, vcc, 0, v1, vcc
	v_cmp_gt_u32_e64 s[10:11], s16, v0
	v_mov_b32_e32 v8, 0
	s_and_saveexec_b64 s[0:1], s[10:11]
	s_cbranch_execz .LBB23_3
; %bb.2:
	global_load_ubyte v8, v[3:4], off
.LBB23_3:
	s_or_b64 exec, exec, s[0:1]
	v_or_b32_e32 v1, 0x200, v0
	v_cmp_gt_u32_e64 s[8:9], s16, v1
	s_and_saveexec_b64 s[0:1], s[8:9]
	s_cbranch_execz .LBB23_5
; %bb.4:
	global_load_ubyte v2, v[3:4], off offset:512
.LBB23_5:
	s_or_b64 exec, exec, s[0:1]
	v_or_b32_e32 v1, 0x400, v0
	v_cmp_gt_u32_e64 s[6:7], s16, v1
	v_mov_b32_e32 v6, 0
	v_mov_b32_e32 v7, 0
	s_and_saveexec_b64 s[0:1], s[6:7]
	s_cbranch_execz .LBB23_7
; %bb.6:
	global_load_ubyte v7, v[3:4], off offset:1024
.LBB23_7:
	s_or_b64 exec, exec, s[0:1]
	v_or_b32_e32 v1, 0x600, v0
	v_cmp_gt_u32_e64 s[4:5], s16, v1
	s_and_saveexec_b64 s[0:1], s[4:5]
	s_cbranch_execz .LBB23_9
; %bb.8:
	global_load_ubyte v6, v[3:4], off offset:1536
.LBB23_9:
	s_or_b64 exec, exec, s[0:1]
	v_or_b32_e32 v1, 0x800, v0
	v_cmp_gt_u32_e64 s[2:3], s16, v1
	v_mov_b32_e32 v1, 0
	v_mov_b32_e32 v5, 0
	s_and_saveexec_b64 s[0:1], s[2:3]
	s_cbranch_execz .LBB23_11
; %bb.10:
	global_load_ubyte v5, v[3:4], off offset:2048
.LBB23_11:
	s_or_b64 exec, exec, s[0:1]
	v_or_b32_e32 v9, 0xa00, v0
	v_cmp_gt_u32_e64 s[0:1], s16, v9
	s_and_saveexec_b64 s[16:17], s[0:1]
	s_cbranch_execz .LBB23_13
; %bb.12:
	global_load_ubyte v1, v[3:4], off offset:2560
.LBB23_13:
	s_or_b64 exec, exec, s[16:17]
	v_or_b32_e32 v3, 0xfffffe00, v0
	v_lshlrev_b32_e32 v4, 2, v0
	s_mov_b64 s[16:17], 0
	v_mov_b32_e32 v9, 0
.LBB23_14:                              ; =>This Inner Loop Header: Depth=1
	v_add_co_u32_e32 v3, vcc, 0x200, v3
	s_xor_b64 s[18:19], vcc, -1
	s_and_b64 s[18:19], exec, s[18:19]
	ds_write_b32 v4, v9
	s_or_b64 s[16:17], s[18:19], s[16:17]
	v_add_u32_e32 v4, 0x800, v4
	s_andn2_b64 exec, exec, s[16:17]
	s_cbranch_execnz .LBB23_14
; %bb.15:
	s_or_b64 exec, exec, s[16:17]
	s_cmp_gt_u32 s21, s20
	s_cselect_b64 s[16:17], -1, 0
	s_cmp_le_u32 s21, s20
	s_waitcnt vmcnt(0) lgkmcnt(0)
	s_barrier
	s_cbranch_scc1 .LBB23_40
; %bb.16:
	v_and_b32_e32 v3, 3, v0
	v_lshlrev_b32_e32 v3, 2, v3
	s_sub_i32 s22, s21, s20
	v_mov_b32_e32 v4, 1
	s_mov_b32 s23, s22
	v_mov_b32_e32 v9, v3
	s_mov_b32 s24, s20
	s_branch .LBB23_18
.LBB23_17:                              ;   in Loop: Header=BB23_18 Depth=1
	s_or_b64 exec, exec, s[18:19]
	s_add_i32 s24, s24, 8
	s_add_i32 s23, s23, -8
	s_cmp_lt_u32 s24, s21
	v_add_u32_e32 v9, 0x1000, v9
	s_cbranch_scc0 .LBB23_20
.LBB23_18:                              ; =>This Inner Loop Header: Depth=1
	s_and_saveexec_b64 s[18:19], s[10:11]
	s_cbranch_execz .LBB23_17
; %bb.19:                               ;   in Loop: Header=BB23_18 Depth=1
	s_min_u32 s25, s23, 8
	v_lshrrev_b32_e32 v10, s24, v8
	v_bfe_u32 v10, v10, 0, s25
	v_lshl_add_u32 v10, v10, 4, v9
	ds_add_u32 v10, v4
	s_branch .LBB23_17
.LBB23_20:
	v_mov_b32_e32 v4, 1
	s_mov_b32 s18, s22
	v_mov_b32_e32 v8, v3
	s_mov_b32 s19, s20
	s_branch .LBB23_22
.LBB23_21:                              ;   in Loop: Header=BB23_22 Depth=1
	s_or_b64 exec, exec, s[10:11]
	s_add_i32 s19, s19, 8
	s_add_i32 s18, s18, -8
	s_cmp_lt_u32 s19, s21
	v_add_u32_e32 v8, 0x1000, v8
	s_cbranch_scc0 .LBB23_24
.LBB23_22:                              ; =>This Inner Loop Header: Depth=1
	s_and_saveexec_b64 s[10:11], s[8:9]
	s_cbranch_execz .LBB23_21
; %bb.23:                               ;   in Loop: Header=BB23_22 Depth=1
	s_min_u32 s23, s18, 8
	v_lshrrev_b32_e32 v9, s19, v2
	v_bfe_u32 v9, v9, 0, s23
	v_lshl_add_u32 v9, v9, 4, v8
	ds_add_u32 v9, v4
	s_branch .LBB23_21
.LBB23_24:
	;; [unrolled: 23-line block ×5, first 2 shown]
	v_mov_b32_e32 v2, 1
	s_mov_b32 s4, s20
	s_branch .LBB23_38
.LBB23_37:                              ;   in Loop: Header=BB23_38 Depth=1
	s_or_b64 exec, exec, s[2:3]
	s_add_i32 s4, s4, 8
	s_add_i32 s22, s22, -8
	s_cmp_lt_u32 s4, s21
	v_add_u32_e32 v3, 0x1000, v3
	s_cbranch_scc0 .LBB23_40
.LBB23_38:                              ; =>This Inner Loop Header: Depth=1
	s_and_saveexec_b64 s[2:3], s[0:1]
	s_cbranch_execz .LBB23_37
; %bb.39:                               ;   in Loop: Header=BB23_38 Depth=1
	s_min_u32 s5, s22, 8
	v_lshrrev_b32_e32 v4, s4, v1
	v_bfe_u32 v4, v4, 0, s5
	v_lshl_add_u32 v4, v4, 4, v3
	ds_add_u32 v4, v2
	s_branch .LBB23_37
.LBB23_40:
	s_and_b64 vcc, exec, s[16:17]
	s_waitcnt lgkmcnt(0)
	s_barrier
	s_cbranch_vccz .LBB23_45
; %bb.41:
	s_movk_i32 s0, 0x100
	v_cmp_gt_u32_e32 vcc, s0, v0
	v_lshlrev_b32_e32 v3, 4, v0
	v_mov_b32_e32 v2, 0
	v_mov_b32_e32 v1, v0
	s_mov_b32 s4, s20
	s_branch .LBB23_43
.LBB23_42:                              ;   in Loop: Header=BB23_43 Depth=1
	s_or_b64 exec, exec, s[2:3]
	s_add_i32 s4, s4, 8
	v_add_u32_e32 v1, 0x100, v1
	s_cmp_lt_u32 s4, s21
	v_add_u32_e32 v3, 0x1000, v3
	s_cbranch_scc0 .LBB23_45
.LBB23_43:                              ; =>This Inner Loop Header: Depth=1
	s_and_saveexec_b64 s[2:3], vcc
	s_cbranch_execz .LBB23_42
; %bb.44:                               ;   in Loop: Header=BB23_43 Depth=1
	ds_read2_b32 v[4:5], v3 offset1:1
	ds_read2_b32 v[6:7], v3 offset0:2 offset1:3
	v_lshlrev_b64 v[8:9], 3, v[1:2]
	v_mov_b32_e32 v10, s15
	s_waitcnt lgkmcnt(1)
	v_add_u32_e32 v4, v5, v4
	s_waitcnt lgkmcnt(0)
	v_add3_u32 v4, v4, v6, v7
	v_add_co_u32_e64 v6, s[0:1], s14, v8
	v_addc_co_u32_e64 v7, s[0:1], v10, v9, s[0:1]
	v_mov_b32_e32 v5, v2
	global_atomic_add_x2 v[6:7], v[4:5], off
	s_branch .LBB23_42
.LBB23_45:
	s_mov_b64 s[0:1], 0
.LBB23_46:
	s_and_b64 vcc, exec, s[0:1]
	s_cbranch_vccz .LBB23_74
; %bb.47:
	global_load_ubyte v3, v0, s[12:13]
	global_load_ubyte v4, v0, s[12:13] offset:512
	global_load_ubyte v5, v0, s[12:13] offset:1024
	;; [unrolled: 1-line block ×5, first 2 shown]
	s_cmp_eq_u32 s20, 0
	s_cselect_b64 s[0:1], -1, 0
	s_cmp_eq_u32 s21, 8
	s_cselect_b64 s[2:3], -1, 0
	s_and_b64 s[2:3], s[0:1], s[2:3]
	v_mov_b32_e32 v1, 0
	s_mov_b64 s[0:1], -1
	s_and_b64 vcc, exec, s[2:3]
	v_lshlrev_b32_e32 v9, 2, v0
	s_cbranch_vccnz .LBB23_69
; %bb.48:
	v_or_b32_e32 v2, 0xfffffe00, v0
	v_lshlrev_b32_e32 v10, 2, v0
	s_mov_b64 s[0:1], 0
.LBB23_49:                              ; =>This Inner Loop Header: Depth=1
	v_add_co_u32_e32 v2, vcc, 0x200, v2
	s_xor_b64 s[2:3], vcc, -1
	s_and_b64 s[2:3], exec, s[2:3]
	ds_write_b32 v10, v1
	s_or_b64 s[0:1], s[2:3], s[0:1]
	v_add_u32_e32 v10, 0x800, v10
	s_andn2_b64 exec, exec, s[0:1]
	s_cbranch_execnz .LBB23_49
; %bb.50:
	s_or_b64 exec, exec, s[0:1]
	s_cmp_gt_u32 s21, s20
	s_cselect_b64 s[0:1], -1, 0
	s_cmp_le_u32 s21, s20
	s_waitcnt vmcnt(0) lgkmcnt(0)
	s_barrier
	s_cbranch_scc1 .LBB23_63
; %bb.51:
	v_and_b32_e32 v1, 3, v0
	v_lshlrev_b32_e32 v1, 2, v1
	s_sub_i32 s2, s21, s20
	v_mov_b32_e32 v2, 1
	s_mov_b32 s3, s2
	v_mov_b32_e32 v10, v1
	s_mov_b32 s4, s20
.LBB23_52:                              ; =>This Inner Loop Header: Depth=1
	s_min_u32 s5, s3, 8
	v_lshrrev_b32_sdwa v11, s4, v3 dst_sel:DWORD dst_unused:UNUSED_PAD src0_sel:DWORD src1_sel:BYTE_0
	v_bfe_u32 v11, v11, 0, s5
	v_lshl_add_u32 v11, v11, 4, v10
	ds_add_u32 v11, v2
	s_add_i32 s4, s4, 8
	s_add_i32 s3, s3, -8
	s_cmp_ge_u32 s4, s21
	v_add_u32_e32 v10, 0x1000, v10
	s_cbranch_scc0 .LBB23_52
; %bb.53:
	v_mov_b32_e32 v2, 1
	s_mov_b32 s3, s2
	v_mov_b32_e32 v10, v1
	s_mov_b32 s4, s20
.LBB23_54:                              ; =>This Inner Loop Header: Depth=1
	s_min_u32 s5, s3, 8
	v_lshrrev_b32_sdwa v11, s4, v4 dst_sel:DWORD dst_unused:UNUSED_PAD src0_sel:DWORD src1_sel:BYTE_0
	v_bfe_u32 v11, v11, 0, s5
	v_lshl_add_u32 v11, v11, 4, v10
	ds_add_u32 v11, v2
	s_add_i32 s4, s4, 8
	s_add_i32 s3, s3, -8
	s_cmp_lt_u32 s4, s21
	v_add_u32_e32 v10, 0x1000, v10
	s_cbranch_scc1 .LBB23_54
; %bb.55:
	v_mov_b32_e32 v2, 1
	s_mov_b32 s3, s2
	v_mov_b32_e32 v10, v1
	s_mov_b32 s4, s20
.LBB23_56:                              ; =>This Inner Loop Header: Depth=1
	s_min_u32 s5, s3, 8
	v_lshrrev_b32_sdwa v11, s4, v5 dst_sel:DWORD dst_unused:UNUSED_PAD src0_sel:DWORD src1_sel:BYTE_0
	v_bfe_u32 v11, v11, 0, s5
	v_lshl_add_u32 v11, v11, 4, v10
	ds_add_u32 v11, v2
	s_add_i32 s4, s4, 8
	s_add_i32 s3, s3, -8
	s_cmp_lt_u32 s4, s21
	v_add_u32_e32 v10, 0x1000, v10
	s_cbranch_scc1 .LBB23_56
	;; [unrolled: 16-line block ×4, first 2 shown]
; %bb.61:
	v_mov_b32_e32 v2, 1
	s_mov_b32 s3, s20
.LBB23_62:                              ; =>This Inner Loop Header: Depth=1
	s_min_u32 s4, s2, 8
	v_lshrrev_b32_sdwa v10, s3, v8 dst_sel:DWORD dst_unused:UNUSED_PAD src0_sel:DWORD src1_sel:BYTE_0
	v_bfe_u32 v10, v10, 0, s4
	v_lshl_add_u32 v10, v10, 4, v1
	ds_add_u32 v10, v2
	s_add_i32 s3, s3, 8
	s_add_i32 s2, s2, -8
	s_cmp_lt_u32 s3, s21
	v_add_u32_e32 v1, 0x1000, v1
	s_cbranch_scc1 .LBB23_62
.LBB23_63:
	s_and_b64 vcc, exec, s[0:1]
	s_waitcnt lgkmcnt(0)
	s_barrier
	s_cbranch_vccz .LBB23_68
; %bb.64:
	s_movk_i32 s0, 0x100
	v_cmp_gt_u32_e32 vcc, s0, v0
	v_lshlrev_b32_e32 v10, 4, v0
	v_mov_b32_e32 v2, 0
	v_mov_b32_e32 v1, v0
	s_branch .LBB23_66
.LBB23_65:                              ;   in Loop: Header=BB23_66 Depth=1
	s_or_b64 exec, exec, s[2:3]
	s_add_i32 s20, s20, 8
	v_add_u32_e32 v1, 0x100, v1
	s_cmp_ge_u32 s20, s21
	v_add_u32_e32 v10, 0x1000, v10
	s_cbranch_scc1 .LBB23_68
.LBB23_66:                              ; =>This Inner Loop Header: Depth=1
	s_and_saveexec_b64 s[2:3], vcc
	s_cbranch_execz .LBB23_65
; %bb.67:                               ;   in Loop: Header=BB23_66 Depth=1
	ds_read2_b32 v[11:12], v10 offset1:1
	ds_read2_b32 v[13:14], v10 offset0:2 offset1:3
	v_lshlrev_b64 v[15:16], 3, v[1:2]
	v_mov_b32_e32 v17, s15
	s_waitcnt lgkmcnt(1)
	v_add_u32_e32 v11, v12, v11
	s_waitcnt lgkmcnt(0)
	v_add3_u32 v11, v11, v13, v14
	v_add_co_u32_e64 v13, s[0:1], s14, v15
	v_addc_co_u32_e64 v14, s[0:1], v17, v16, s[0:1]
	v_mov_b32_e32 v12, v2
	global_atomic_add_x2 v[13:14], v[11:12], off
	s_branch .LBB23_65
.LBB23_68:
	s_mov_b64 s[0:1], 0
.LBB23_69:
	s_and_b64 vcc, exec, s[0:1]
	s_cbranch_vccz .LBB23_74
; %bb.70:
	v_or_b32_e32 v1, 0xfffffe00, v0
	s_mov_b64 s[0:1], 0
	v_mov_b32_e32 v2, 0
.LBB23_71:                              ; =>This Inner Loop Header: Depth=1
	v_add_co_u32_e32 v1, vcc, 0x200, v1
	s_xor_b64 s[2:3], vcc, -1
	s_and_b64 s[2:3], exec, s[2:3]
	ds_write_b32 v9, v2
	s_or_b64 s[0:1], s[2:3], s[0:1]
	v_add_u32_e32 v9, 0x800, v9
	s_andn2_b64 exec, exec, s[0:1]
	s_cbranch_execnz .LBB23_71
; %bb.72:
	s_or_b64 exec, exec, s[0:1]
	s_waitcnt vmcnt(5)
	v_and_b32_e32 v1, 0xff, v3
	s_waitcnt vmcnt(3)
	v_and_b32_e32 v3, 0xff, v5
	;; [unrolled: 2-line block ×3, first 2 shown]
	v_and_b32_e32 v7, 3, v0
	v_lshlrev_b32_e32 v7, 2, v7
	v_and_b32_e32 v2, 0xff, v4
	v_and_b32_e32 v4, 0xff, v6
	s_waitcnt vmcnt(0)
	v_and_b32_e32 v6, 0xff, v8
	v_lshl_or_b32 v1, v1, 4, v7
	v_mov_b32_e32 v8, 1
	s_waitcnt lgkmcnt(0)
	s_barrier
	ds_add_u32 v1, v8
	v_lshl_or_b32 v1, v2, 4, v7
	ds_add_u32 v1, v8
	v_lshl_or_b32 v1, v3, 4, v7
	;; [unrolled: 2-line block ×5, first 2 shown]
	ds_add_u32 v1, v8
	s_movk_i32 s0, 0x100
	v_cmp_gt_u32_e32 vcc, s0, v0
	s_waitcnt lgkmcnt(0)
	s_barrier
	s_and_saveexec_b64 s[0:1], vcc
	s_cbranch_execz .LBB23_74
; %bb.73:
	v_lshlrev_b32_e32 v3, 4, v0
	ds_read2_b32 v[1:2], v3 offset1:1
	ds_read2_b32 v[3:4], v3 offset0:2 offset1:3
	v_lshlrev_b32_e32 v5, 3, v0
	s_waitcnt lgkmcnt(1)
	v_add_u32_e32 v0, v2, v1
	s_waitcnt lgkmcnt(0)
	v_add3_u32 v0, v0, v3, v4
	v_mov_b32_e32 v1, 0
	global_atomic_add_x2 v5, v[0:1], s[14:15]
.LBB23_74:
	s_endpgm
	.section	.rodata,"a",@progbits
	.p2align	6, 0x0
	.amdhsa_kernel _ZN7rocprim17ROCPRIM_304000_NS6detail26onesweep_histograms_kernelINS1_34wrapped_radix_sort_onesweep_configINS0_14default_configEhN2at4cuda3cub6detail10OpaqueTypeILi8EEEEELb0EPKhmNS0_19identity_decomposerEEEvT1_PT2_SG_SG_T3_jj
		.amdhsa_group_segment_fixed_size 4096
		.amdhsa_private_segment_fixed_size 0
		.amdhsa_kernarg_size 44
		.amdhsa_user_sgpr_count 6
		.amdhsa_user_sgpr_private_segment_buffer 1
		.amdhsa_user_sgpr_dispatch_ptr 0
		.amdhsa_user_sgpr_queue_ptr 0
		.amdhsa_user_sgpr_kernarg_segment_ptr 1
		.amdhsa_user_sgpr_dispatch_id 0
		.amdhsa_user_sgpr_flat_scratch_init 0
		.amdhsa_user_sgpr_private_segment_size 0
		.amdhsa_uses_dynamic_stack 0
		.amdhsa_system_sgpr_private_segment_wavefront_offset 0
		.amdhsa_system_sgpr_workgroup_id_x 1
		.amdhsa_system_sgpr_workgroup_id_y 0
		.amdhsa_system_sgpr_workgroup_id_z 0
		.amdhsa_system_sgpr_workgroup_info 0
		.amdhsa_system_vgpr_workitem_id 0
		.amdhsa_next_free_vgpr 18
		.amdhsa_next_free_sgpr 26
		.amdhsa_reserve_vcc 1
		.amdhsa_reserve_flat_scratch 0
		.amdhsa_float_round_mode_32 0
		.amdhsa_float_round_mode_16_64 0
		.amdhsa_float_denorm_mode_32 3
		.amdhsa_float_denorm_mode_16_64 3
		.amdhsa_dx10_clamp 1
		.amdhsa_ieee_mode 1
		.amdhsa_fp16_overflow 0
		.amdhsa_exception_fp_ieee_invalid_op 0
		.amdhsa_exception_fp_denorm_src 0
		.amdhsa_exception_fp_ieee_div_zero 0
		.amdhsa_exception_fp_ieee_overflow 0
		.amdhsa_exception_fp_ieee_underflow 0
		.amdhsa_exception_fp_ieee_inexact 0
		.amdhsa_exception_int_div_zero 0
	.end_amdhsa_kernel
	.section	.text._ZN7rocprim17ROCPRIM_304000_NS6detail26onesweep_histograms_kernelINS1_34wrapped_radix_sort_onesweep_configINS0_14default_configEhN2at4cuda3cub6detail10OpaqueTypeILi8EEEEELb0EPKhmNS0_19identity_decomposerEEEvT1_PT2_SG_SG_T3_jj,"axG",@progbits,_ZN7rocprim17ROCPRIM_304000_NS6detail26onesweep_histograms_kernelINS1_34wrapped_radix_sort_onesweep_configINS0_14default_configEhN2at4cuda3cub6detail10OpaqueTypeILi8EEEEELb0EPKhmNS0_19identity_decomposerEEEvT1_PT2_SG_SG_T3_jj,comdat
.Lfunc_end23:
	.size	_ZN7rocprim17ROCPRIM_304000_NS6detail26onesweep_histograms_kernelINS1_34wrapped_radix_sort_onesweep_configINS0_14default_configEhN2at4cuda3cub6detail10OpaqueTypeILi8EEEEELb0EPKhmNS0_19identity_decomposerEEEvT1_PT2_SG_SG_T3_jj, .Lfunc_end23-_ZN7rocprim17ROCPRIM_304000_NS6detail26onesweep_histograms_kernelINS1_34wrapped_radix_sort_onesweep_configINS0_14default_configEhN2at4cuda3cub6detail10OpaqueTypeILi8EEEEELb0EPKhmNS0_19identity_decomposerEEEvT1_PT2_SG_SG_T3_jj
                                        ; -- End function
	.set _ZN7rocprim17ROCPRIM_304000_NS6detail26onesweep_histograms_kernelINS1_34wrapped_radix_sort_onesweep_configINS0_14default_configEhN2at4cuda3cub6detail10OpaqueTypeILi8EEEEELb0EPKhmNS0_19identity_decomposerEEEvT1_PT2_SG_SG_T3_jj.num_vgpr, 18
	.set _ZN7rocprim17ROCPRIM_304000_NS6detail26onesweep_histograms_kernelINS1_34wrapped_radix_sort_onesweep_configINS0_14default_configEhN2at4cuda3cub6detail10OpaqueTypeILi8EEEEELb0EPKhmNS0_19identity_decomposerEEEvT1_PT2_SG_SG_T3_jj.num_agpr, 0
	.set _ZN7rocprim17ROCPRIM_304000_NS6detail26onesweep_histograms_kernelINS1_34wrapped_radix_sort_onesweep_configINS0_14default_configEhN2at4cuda3cub6detail10OpaqueTypeILi8EEEEELb0EPKhmNS0_19identity_decomposerEEEvT1_PT2_SG_SG_T3_jj.numbered_sgpr, 26
	.set _ZN7rocprim17ROCPRIM_304000_NS6detail26onesweep_histograms_kernelINS1_34wrapped_radix_sort_onesweep_configINS0_14default_configEhN2at4cuda3cub6detail10OpaqueTypeILi8EEEEELb0EPKhmNS0_19identity_decomposerEEEvT1_PT2_SG_SG_T3_jj.num_named_barrier, 0
	.set _ZN7rocprim17ROCPRIM_304000_NS6detail26onesweep_histograms_kernelINS1_34wrapped_radix_sort_onesweep_configINS0_14default_configEhN2at4cuda3cub6detail10OpaqueTypeILi8EEEEELb0EPKhmNS0_19identity_decomposerEEEvT1_PT2_SG_SG_T3_jj.private_seg_size, 0
	.set _ZN7rocprim17ROCPRIM_304000_NS6detail26onesweep_histograms_kernelINS1_34wrapped_radix_sort_onesweep_configINS0_14default_configEhN2at4cuda3cub6detail10OpaqueTypeILi8EEEEELb0EPKhmNS0_19identity_decomposerEEEvT1_PT2_SG_SG_T3_jj.uses_vcc, 1
	.set _ZN7rocprim17ROCPRIM_304000_NS6detail26onesweep_histograms_kernelINS1_34wrapped_radix_sort_onesweep_configINS0_14default_configEhN2at4cuda3cub6detail10OpaqueTypeILi8EEEEELb0EPKhmNS0_19identity_decomposerEEEvT1_PT2_SG_SG_T3_jj.uses_flat_scratch, 0
	.set _ZN7rocprim17ROCPRIM_304000_NS6detail26onesweep_histograms_kernelINS1_34wrapped_radix_sort_onesweep_configINS0_14default_configEhN2at4cuda3cub6detail10OpaqueTypeILi8EEEEELb0EPKhmNS0_19identity_decomposerEEEvT1_PT2_SG_SG_T3_jj.has_dyn_sized_stack, 0
	.set _ZN7rocprim17ROCPRIM_304000_NS6detail26onesweep_histograms_kernelINS1_34wrapped_radix_sort_onesweep_configINS0_14default_configEhN2at4cuda3cub6detail10OpaqueTypeILi8EEEEELb0EPKhmNS0_19identity_decomposerEEEvT1_PT2_SG_SG_T3_jj.has_recursion, 0
	.set _ZN7rocprim17ROCPRIM_304000_NS6detail26onesweep_histograms_kernelINS1_34wrapped_radix_sort_onesweep_configINS0_14default_configEhN2at4cuda3cub6detail10OpaqueTypeILi8EEEEELb0EPKhmNS0_19identity_decomposerEEEvT1_PT2_SG_SG_T3_jj.has_indirect_call, 0
	.section	.AMDGPU.csdata,"",@progbits
; Kernel info:
; codeLenInByte = 2272
; TotalNumSgprs: 30
; NumVgprs: 18
; ScratchSize: 0
; MemoryBound: 0
; FloatMode: 240
; IeeeMode: 1
; LDSByteSize: 4096 bytes/workgroup (compile time only)
; SGPRBlocks: 3
; VGPRBlocks: 4
; NumSGPRsForWavesPerEU: 30
; NumVGPRsForWavesPerEU: 18
; Occupancy: 10
; WaveLimiterHint : 1
; COMPUTE_PGM_RSRC2:SCRATCH_EN: 0
; COMPUTE_PGM_RSRC2:USER_SGPR: 6
; COMPUTE_PGM_RSRC2:TRAP_HANDLER: 0
; COMPUTE_PGM_RSRC2:TGID_X_EN: 1
; COMPUTE_PGM_RSRC2:TGID_Y_EN: 0
; COMPUTE_PGM_RSRC2:TGID_Z_EN: 0
; COMPUTE_PGM_RSRC2:TIDIG_COMP_CNT: 0
	.section	.text._ZN7rocprim17ROCPRIM_304000_NS6detail25onesweep_iteration_kernelINS1_34wrapped_radix_sort_onesweep_configINS0_14default_configEhN2at4cuda3cub6detail10OpaqueTypeILi8EEEEELb0EPKhPhPKSA_PSA_mNS0_19identity_decomposerEEEvT1_T2_T3_T4_jPT5_SO_PNS1_23onesweep_lookback_stateET6_jjj,"axG",@progbits,_ZN7rocprim17ROCPRIM_304000_NS6detail25onesweep_iteration_kernelINS1_34wrapped_radix_sort_onesweep_configINS0_14default_configEhN2at4cuda3cub6detail10OpaqueTypeILi8EEEEELb0EPKhPhPKSA_PSA_mNS0_19identity_decomposerEEEvT1_T2_T3_T4_jPT5_SO_PNS1_23onesweep_lookback_stateET6_jjj,comdat
	.protected	_ZN7rocprim17ROCPRIM_304000_NS6detail25onesweep_iteration_kernelINS1_34wrapped_radix_sort_onesweep_configINS0_14default_configEhN2at4cuda3cub6detail10OpaqueTypeILi8EEEEELb0EPKhPhPKSA_PSA_mNS0_19identity_decomposerEEEvT1_T2_T3_T4_jPT5_SO_PNS1_23onesweep_lookback_stateET6_jjj ; -- Begin function _ZN7rocprim17ROCPRIM_304000_NS6detail25onesweep_iteration_kernelINS1_34wrapped_radix_sort_onesweep_configINS0_14default_configEhN2at4cuda3cub6detail10OpaqueTypeILi8EEEEELb0EPKhPhPKSA_PSA_mNS0_19identity_decomposerEEEvT1_T2_T3_T4_jPT5_SO_PNS1_23onesweep_lookback_stateET6_jjj
	.globl	_ZN7rocprim17ROCPRIM_304000_NS6detail25onesweep_iteration_kernelINS1_34wrapped_radix_sort_onesweep_configINS0_14default_configEhN2at4cuda3cub6detail10OpaqueTypeILi8EEEEELb0EPKhPhPKSA_PSA_mNS0_19identity_decomposerEEEvT1_T2_T3_T4_jPT5_SO_PNS1_23onesweep_lookback_stateET6_jjj
	.p2align	8
	.type	_ZN7rocprim17ROCPRIM_304000_NS6detail25onesweep_iteration_kernelINS1_34wrapped_radix_sort_onesweep_configINS0_14default_configEhN2at4cuda3cub6detail10OpaqueTypeILi8EEEEELb0EPKhPhPKSA_PSA_mNS0_19identity_decomposerEEEvT1_T2_T3_T4_jPT5_SO_PNS1_23onesweep_lookback_stateET6_jjj,@function
_ZN7rocprim17ROCPRIM_304000_NS6detail25onesweep_iteration_kernelINS1_34wrapped_radix_sort_onesweep_configINS0_14default_configEhN2at4cuda3cub6detail10OpaqueTypeILi8EEEEELb0EPKhPhPKSA_PSA_mNS0_19identity_decomposerEEEvT1_T2_T3_T4_jPT5_SO_PNS1_23onesweep_lookback_stateET6_jjj: ; @_ZN7rocprim17ROCPRIM_304000_NS6detail25onesweep_iteration_kernelINS1_34wrapped_radix_sort_onesweep_configINS0_14default_configEhN2at4cuda3cub6detail10OpaqueTypeILi8EEEEELb0EPKhPhPKSA_PSA_mNS0_19identity_decomposerEEEvT1_T2_T3_T4_jPT5_SO_PNS1_23onesweep_lookback_stateET6_jjj
; %bb.0:
	s_load_dwordx4 s[48:51], s[4:5], 0x44
	s_load_dwordx8 s[36:43], s[4:5], 0x0
	s_load_dwordx4 s[44:47], s[4:5], 0x28
	s_load_dwordx2 s[34:35], s[4:5], 0x38
	s_mov_b64 s[0:1], -1
	s_waitcnt lgkmcnt(0)
	s_cmp_ge_u32 s6, s50
	s_mul_i32 s30, s6, 0xc00
	v_mbcnt_lo_u32_b32 v19, -1, 0
	s_cbranch_scc0 .LBB24_96
; %bb.1:
	s_load_dword s0, s[4:5], 0x20
	s_mulk_i32 s50, 0xf400
	v_mbcnt_hi_u32_b32 v12, -1, v19
	v_and_b32_e32 v15, 0x1c0, v0
	v_mul_u32_u24_e32 v11, 6, v15
	s_waitcnt lgkmcnt(0)
	s_add_i32 s50, s50, s0
	s_add_u32 s0, s36, s30
	s_addc_u32 s1, s37, 0
	v_mov_b32_e32 v3, s1
	v_add_co_u32_e32 v4, vcc, s0, v12
	v_addc_co_u32_e32 v5, vcc, 0, v3, vcc
	v_add_co_u32_e32 v3, vcc, v4, v11
	v_addc_co_u32_e32 v4, vcc, 0, v5, vcc
	v_or_b32_e32 v6, v12, v11
	s_mov_b32 s31, 0
	v_cmp_gt_u32_e32 vcc, s50, v6
	v_mov_b32_e32 v5, 0xff
	v_mov_b32_e32 v7, 0xff
	;; [unrolled: 1-line block ×3, first 2 shown]
	s_and_saveexec_b64 s[0:1], vcc
	s_cbranch_execz .LBB24_3
; %bb.2:
	global_load_ubyte v8, v[3:4], off
	s_waitcnt vmcnt(0)
	v_and_b32_e32 v5, 0xff, v8
.LBB24_3:
	s_or_b64 exec, exec, s[0:1]
	v_add_u32_e32 v9, 64, v6
	v_cmp_gt_u32_e64 s[0:1], s50, v9
	v_mov_b32_e32 v18, 0xff
	s_and_saveexec_b64 s[2:3], s[0:1]
	s_cbranch_execz .LBB24_5
; %bb.4:
	global_load_ubyte v7, v[3:4], off offset:64
	s_waitcnt vmcnt(0)
	v_and_b32_e32 v18, 0xff, v7
.LBB24_5:
	s_or_b64 exec, exec, s[2:3]
	v_add_u32_e32 v9, 0x80, v6
	v_cmp_gt_u32_e64 s[2:3], s50, v9
	v_mov_b32_e32 v22, 0xff
	v_mov_b32_e32 v9, 0xff
	v_mov_b32_e32 v10, 0xff
	s_and_saveexec_b64 s[8:9], s[2:3]
	s_cbranch_execz .LBB24_7
; %bb.6:
	global_load_ubyte v10, v[3:4], off offset:128
	s_waitcnt vmcnt(0)
	v_and_b32_e32 v22, 0xff, v10
.LBB24_7:
	s_or_b64 exec, exec, s[8:9]
	v_add_u32_e32 v13, 0xc0, v6
	v_cmp_gt_u32_e64 s[26:27], s50, v13
	v_mov_b32_e32 v27, 0xff
	s_and_saveexec_b64 s[8:9], s[26:27]
	s_cbranch_execz .LBB24_9
; %bb.8:
	global_load_ubyte v9, v[3:4], off offset:192
	s_waitcnt vmcnt(0)
	v_and_b32_e32 v27, 0xff, v9
.LBB24_9:
	s_or_b64 exec, exec, s[8:9]
	v_add_u32_e32 v13, 0x100, v6
	v_cmp_gt_u32_e64 s[8:9], s50, v13
	v_mov_b32_e32 v23, 0xff
	v_mov_b32_e32 v13, 0xff
	;; [unrolled: 1-line block ×3, first 2 shown]
	s_and_saveexec_b64 s[10:11], s[8:9]
	s_cbranch_execz .LBB24_11
; %bb.10:
	global_load_ubyte v14, v[3:4], off offset:256
	s_waitcnt vmcnt(0)
	v_and_b32_e32 v23, 0xff, v14
.LBB24_11:
	s_or_b64 exec, exec, s[10:11]
	v_add_u32_e32 v6, 0x140, v6
	v_cmp_gt_u32_e64 s[10:11], s50, v6
	v_mov_b32_e32 v6, 0xff
	s_and_saveexec_b64 s[12:13], s[10:11]
	s_cbranch_execz .LBB24_13
; %bb.12:
	global_load_ubyte v13, v[3:4], off offset:320
	s_waitcnt vmcnt(0)
	v_and_b32_e32 v6, 0xff, v13
.LBB24_13:
	s_or_b64 exec, exec, s[12:13]
	s_load_dword s12, s[4:5], 0x5c
	s_load_dword s7, s[4:5], 0x50
	s_add_u32 s13, s4, 0x50
	s_addc_u32 s14, s5, 0
	v_mov_b32_e32 v3, 0
	s_waitcnt lgkmcnt(0)
	s_lshr_b32 s15, s12, 16
	s_cmp_lt_u32 s6, s7
	s_cselect_b32 s12, 12, 18
	s_add_u32 s12, s13, s12
	s_addc_u32 s13, s14, 0
	global_load_ushort v17, v3, s[12:13]
	s_lshl_b32 s12, -1, s49
	v_lshrrev_b32_e32 v4, s48, v5
	s_not_b32 s33, s12
	v_and_b32_e32 v20, s33, v4
	v_and_b32_e32 v21, 1, v20
	v_add_co_u32_e64 v25, s[12:13], -1, v21
	v_lshlrev_b32_e32 v4, 30, v20
	v_addc_co_u32_e64 v26, s[12:13], 0, -1, s[12:13]
	v_mad_u32_u24 v5, v2, s15, v1
	v_cmp_ne_u32_e64 s[12:13], 0, v21
	v_cmp_gt_i64_e64 s[14:15], 0, v[3:4]
	v_not_b32_e32 v21, v4
	v_lshlrev_b32_e32 v4, 29, v20
	v_xor_b32_e32 v26, s13, v26
	v_xor_b32_e32 v25, s12, v25
	v_ashrrev_i32_e32 v21, 31, v21
	v_cmp_gt_i64_e64 s[12:13], 0, v[3:4]
	v_not_b32_e32 v28, v4
	v_lshlrev_b32_e32 v4, 28, v20
	v_and_b32_e32 v26, exec_hi, v26
	v_and_b32_e32 v25, exec_lo, v25
	v_xor_b32_e32 v29, s15, v21
	v_xor_b32_e32 v21, s14, v21
	v_ashrrev_i32_e32 v28, 31, v28
	v_cmp_gt_i64_e64 s[14:15], 0, v[3:4]
	v_not_b32_e32 v30, v4
	v_lshlrev_b32_e32 v4, 27, v20
	v_and_b32_e32 v26, v26, v29
	v_and_b32_e32 v21, v25, v21
	v_xor_b32_e32 v25, s13, v28
	v_xor_b32_e32 v28, s12, v28
	v_ashrrev_i32_e32 v29, 31, v30
	v_cmp_gt_i64_e64 s[12:13], 0, v[3:4]
	v_not_b32_e32 v30, v4
	v_lshlrev_b32_e32 v4, 26, v20
	v_and_b32_e32 v25, v26, v25
	v_and_b32_e32 v21, v21, v28
	;; [unrolled: 8-line block ×3, first 2 shown]
	v_xor_b32_e32 v26, s13, v29
	v_xor_b32_e32 v28, s12, v29
	v_ashrrev_i32_e32 v29, 31, v30
	v_cmp_gt_i64_e64 s[12:13], 0, v[3:4]
	v_not_b32_e32 v30, v4
	v_mul_u32_u24_e32 v24, 36, v20
	v_lshlrev_b32_e32 v4, 24, v20
	v_and_b32_e32 v20, v25, v26
	v_and_b32_e32 v21, v21, v28
	v_xor_b32_e32 v25, s15, v29
	v_xor_b32_e32 v26, s14, v29
	v_ashrrev_i32_e32 v28, 31, v30
	v_and_b32_e32 v20, v20, v25
	v_and_b32_e32 v21, v21, v26
	v_xor_b32_e32 v25, s13, v28
	v_xor_b32_e32 v26, s12, v28
	v_and_b32_e32 v25, v20, v25
	v_and_b32_e32 v26, v21, v26
	v_cmp_gt_i64_e64 s[14:15], 0, v[3:4]
	v_not_b32_e32 v4, v4
	v_ashrrev_i32_e32 v4, 31, v4
	v_xor_b32_e32 v28, s15, v4
	v_xor_b32_e32 v4, s14, v4
	v_and_b32_e32 v4, v26, v4
	v_mul_u32_u24_e32 v16, 20, v0
	ds_write2_b32 v16, v3, v3 offset0:8 offset1:9
	ds_write2_b32 v16, v3, v3 offset0:10 offset1:11
	ds_write_b32 v16, v3 offset:48
	s_waitcnt vmcnt(0) lgkmcnt(0)
	s_barrier
	; wave barrier
	v_mad_u64_u32 v[20:21], s[12:13], v5, v17, v[0:1]
	v_and_b32_e32 v5, v25, v28
	v_cmp_ne_u64_e64 s[12:13], 0, v[4:5]
	v_lshrrev_b32_e32 v17, 4, v20
	v_and_b32_e32 v25, 0xffffffc, v17
	v_mbcnt_lo_u32_b32 v17, v4, 0
	v_mbcnt_hi_u32_b32 v17, v5, v17
	v_cmp_eq_u32_e64 s[14:15], 0, v17
	s_and_b64 s[14:15], s[12:13], s[14:15]
	v_add_u32_e32 v20, v25, v24
	s_and_saveexec_b64 s[12:13], s[14:15]
; %bb.14:
	v_bcnt_u32_b32 v4, v4, 0
	v_bcnt_u32_b32 v4, v5, v4
	ds_write_b32 v20, v4 offset:32
; %bb.15:
	s_or_b64 exec, exec, s[12:13]
	v_lshrrev_b32_e32 v4, s48, v18
	v_and_b32_e32 v5, s33, v4
	v_mad_u32_u24 v4, v5, 36, v25
	; wave barrier
	ds_read_b32 v18, v4 offset:32
	v_and_b32_e32 v4, 1, v5
	v_add_co_u32_e64 v21, s[12:13], -1, v4
	v_addc_co_u32_e64 v26, s[12:13], 0, -1, s[12:13]
	v_cmp_ne_u32_e64 s[12:13], 0, v4
	v_xor_b32_e32 v4, s13, v26
	v_and_b32_e32 v26, exec_hi, v4
	v_lshlrev_b32_e32 v4, 30, v5
	v_xor_b32_e32 v21, s12, v21
	v_cmp_gt_i64_e64 s[12:13], 0, v[3:4]
	v_not_b32_e32 v4, v4
	v_ashrrev_i32_e32 v4, 31, v4
	v_and_b32_e32 v21, exec_lo, v21
	v_xor_b32_e32 v28, s13, v4
	v_xor_b32_e32 v4, s12, v4
	v_and_b32_e32 v21, v21, v4
	v_lshlrev_b32_e32 v4, 29, v5
	v_cmp_gt_i64_e64 s[12:13], 0, v[3:4]
	v_not_b32_e32 v4, v4
	v_ashrrev_i32_e32 v4, 31, v4
	v_and_b32_e32 v26, v26, v28
	v_xor_b32_e32 v28, s13, v4
	v_xor_b32_e32 v4, s12, v4
	v_and_b32_e32 v21, v21, v4
	v_lshlrev_b32_e32 v4, 28, v5
	v_cmp_gt_i64_e64 s[12:13], 0, v[3:4]
	v_not_b32_e32 v4, v4
	v_ashrrev_i32_e32 v4, 31, v4
	v_and_b32_e32 v26, v26, v28
	v_xor_b32_e32 v28, s13, v4
	v_xor_b32_e32 v4, s12, v4
	v_and_b32_e32 v21, v21, v4
	v_lshlrev_b32_e32 v4, 27, v5
	v_cmp_gt_i64_e64 s[12:13], 0, v[3:4]
	v_not_b32_e32 v4, v4
	v_ashrrev_i32_e32 v4, 31, v4
	v_and_b32_e32 v26, v26, v28
	v_xor_b32_e32 v28, s13, v4
	v_xor_b32_e32 v4, s12, v4
	v_and_b32_e32 v21, v21, v4
	v_lshlrev_b32_e32 v4, 26, v5
	v_cmp_gt_i64_e64 s[12:13], 0, v[3:4]
	v_not_b32_e32 v4, v4
	v_ashrrev_i32_e32 v4, 31, v4
	v_and_b32_e32 v26, v26, v28
	v_xor_b32_e32 v28, s13, v4
	v_xor_b32_e32 v4, s12, v4
	v_and_b32_e32 v21, v21, v4
	v_lshlrev_b32_e32 v4, 25, v5
	v_cmp_gt_i64_e64 s[12:13], 0, v[3:4]
	v_not_b32_e32 v4, v4
	v_ashrrev_i32_e32 v4, 31, v4
	v_and_b32_e32 v26, v26, v28
	v_xor_b32_e32 v28, s13, v4
	v_xor_b32_e32 v4, s12, v4
	v_and_b32_e32 v21, v21, v4
	v_lshlrev_b32_e32 v4, 24, v5
	v_cmp_gt_i64_e64 s[12:13], 0, v[3:4]
	v_not_b32_e32 v3, v4
	v_ashrrev_i32_e32 v3, 31, v3
	v_xor_b32_e32 v4, s13, v3
	v_xor_b32_e32 v3, s12, v3
	v_and_b32_e32 v26, v26, v28
	v_and_b32_e32 v3, v21, v3
	v_mul_u32_u24_e32 v24, 36, v5
	v_and_b32_e32 v4, v26, v4
	v_mbcnt_lo_u32_b32 v5, v3, 0
	v_mbcnt_hi_u32_b32 v21, v4, v5
	v_cmp_ne_u64_e64 s[12:13], 0, v[3:4]
	v_cmp_eq_u32_e64 s[14:15], 0, v21
	s_and_b64 s[14:15], s[12:13], s[14:15]
	v_add_u32_e32 v24, v25, v24
	; wave barrier
	s_and_saveexec_b64 s[12:13], s[14:15]
	s_cbranch_execz .LBB24_17
; %bb.16:
	v_bcnt_u32_b32 v3, v3, 0
	v_bcnt_u32_b32 v3, v4, v3
	s_waitcnt lgkmcnt(0)
	v_add_u32_e32 v3, v18, v3
	ds_write_b32 v24, v3 offset:32
.LBB24_17:
	s_or_b64 exec, exec, s[12:13]
	v_lshrrev_b32_e32 v3, s48, v22
	v_and_b32_e32 v5, s33, v3
	v_and_b32_e32 v4, 1, v5
	v_add_co_u32_e64 v26, s[12:13], -1, v4
	v_addc_co_u32_e64 v29, s[12:13], 0, -1, s[12:13]
	v_cmp_ne_u32_e64 s[12:13], 0, v4
	v_mad_u32_u24 v3, v5, 36, v25
	v_xor_b32_e32 v4, s13, v29
	; wave barrier
	ds_read_b32 v22, v3 offset:32
	v_mov_b32_e32 v3, 0
	v_and_b32_e32 v29, exec_hi, v4
	v_lshlrev_b32_e32 v4, 30, v5
	v_xor_b32_e32 v26, s12, v26
	v_cmp_gt_i64_e64 s[12:13], 0, v[3:4]
	v_not_b32_e32 v4, v4
	v_ashrrev_i32_e32 v4, 31, v4
	v_and_b32_e32 v26, exec_lo, v26
	v_xor_b32_e32 v30, s13, v4
	v_xor_b32_e32 v4, s12, v4
	v_and_b32_e32 v26, v26, v4
	v_lshlrev_b32_e32 v4, 29, v5
	v_cmp_gt_i64_e64 s[12:13], 0, v[3:4]
	v_not_b32_e32 v4, v4
	v_ashrrev_i32_e32 v4, 31, v4
	v_and_b32_e32 v29, v29, v30
	v_xor_b32_e32 v30, s13, v4
	v_xor_b32_e32 v4, s12, v4
	v_and_b32_e32 v26, v26, v4
	v_lshlrev_b32_e32 v4, 28, v5
	v_cmp_gt_i64_e64 s[12:13], 0, v[3:4]
	v_not_b32_e32 v4, v4
	v_ashrrev_i32_e32 v4, 31, v4
	v_and_b32_e32 v29, v29, v30
	;; [unrolled: 8-line block ×5, first 2 shown]
	v_xor_b32_e32 v30, s13, v4
	v_xor_b32_e32 v4, s12, v4
	v_and_b32_e32 v26, v26, v4
	v_lshlrev_b32_e32 v4, 24, v5
	v_cmp_gt_i64_e64 s[12:13], 0, v[3:4]
	v_not_b32_e32 v4, v4
	v_ashrrev_i32_e32 v4, 31, v4
	v_mul_u32_u24_e32 v28, 36, v5
	v_xor_b32_e32 v5, s13, v4
	v_xor_b32_e32 v4, s12, v4
	v_and_b32_e32 v29, v29, v30
	v_and_b32_e32 v4, v26, v4
	;; [unrolled: 1-line block ×3, first 2 shown]
	v_mbcnt_lo_u32_b32 v26, v4, 0
	v_mbcnt_hi_u32_b32 v26, v5, v26
	v_cmp_ne_u64_e64 s[12:13], 0, v[4:5]
	v_cmp_eq_u32_e64 s[14:15], 0, v26
	s_and_b64 s[14:15], s[12:13], s[14:15]
	v_add_u32_e32 v28, v25, v28
	; wave barrier
	s_and_saveexec_b64 s[12:13], s[14:15]
	s_cbranch_execz .LBB24_19
; %bb.18:
	v_bcnt_u32_b32 v4, v4, 0
	v_bcnt_u32_b32 v4, v5, v4
	s_waitcnt lgkmcnt(0)
	v_add_u32_e32 v4, v22, v4
	ds_write_b32 v28, v4 offset:32
.LBB24_19:
	s_or_b64 exec, exec, s[12:13]
	v_lshrrev_b32_e32 v4, s48, v27
	v_and_b32_e32 v5, s33, v4
	v_mad_u32_u24 v4, v5, 36, v25
	; wave barrier
	ds_read_b32 v27, v4 offset:32
	v_and_b32_e32 v4, 1, v5
	v_add_co_u32_e64 v30, s[12:13], -1, v4
	v_addc_co_u32_e64 v31, s[12:13], 0, -1, s[12:13]
	v_cmp_ne_u32_e64 s[12:13], 0, v4
	v_xor_b32_e32 v4, s13, v31
	v_and_b32_e32 v31, exec_hi, v4
	v_lshlrev_b32_e32 v4, 30, v5
	v_xor_b32_e32 v30, s12, v30
	v_cmp_gt_i64_e64 s[12:13], 0, v[3:4]
	v_not_b32_e32 v4, v4
	v_ashrrev_i32_e32 v4, 31, v4
	v_and_b32_e32 v30, exec_lo, v30
	v_xor_b32_e32 v32, s13, v4
	v_xor_b32_e32 v4, s12, v4
	v_and_b32_e32 v30, v30, v4
	v_lshlrev_b32_e32 v4, 29, v5
	v_cmp_gt_i64_e64 s[12:13], 0, v[3:4]
	v_not_b32_e32 v4, v4
	v_ashrrev_i32_e32 v4, 31, v4
	v_and_b32_e32 v31, v31, v32
	v_xor_b32_e32 v32, s13, v4
	v_xor_b32_e32 v4, s12, v4
	v_and_b32_e32 v30, v30, v4
	v_lshlrev_b32_e32 v4, 28, v5
	v_cmp_gt_i64_e64 s[12:13], 0, v[3:4]
	v_not_b32_e32 v4, v4
	v_ashrrev_i32_e32 v4, 31, v4
	v_and_b32_e32 v31, v31, v32
	;; [unrolled: 8-line block ×5, first 2 shown]
	v_xor_b32_e32 v32, s13, v4
	v_xor_b32_e32 v4, s12, v4
	v_and_b32_e32 v30, v30, v4
	v_lshlrev_b32_e32 v4, 24, v5
	v_cmp_gt_i64_e64 s[12:13], 0, v[3:4]
	v_not_b32_e32 v3, v4
	v_ashrrev_i32_e32 v3, 31, v3
	v_xor_b32_e32 v4, s13, v3
	v_xor_b32_e32 v3, s12, v3
	v_and_b32_e32 v31, v31, v32
	v_and_b32_e32 v3, v30, v3
	v_mul_u32_u24_e32 v29, 36, v5
	v_and_b32_e32 v4, v31, v4
	v_mbcnt_lo_u32_b32 v5, v3, 0
	v_mbcnt_hi_u32_b32 v30, v4, v5
	v_cmp_ne_u64_e64 s[12:13], 0, v[3:4]
	v_cmp_eq_u32_e64 s[14:15], 0, v30
	s_and_b64 s[14:15], s[12:13], s[14:15]
	v_add_u32_e32 v29, v25, v29
	; wave barrier
	s_and_saveexec_b64 s[12:13], s[14:15]
	s_cbranch_execz .LBB24_21
; %bb.20:
	v_bcnt_u32_b32 v3, v3, 0
	v_bcnt_u32_b32 v3, v4, v3
	s_waitcnt lgkmcnt(0)
	v_add_u32_e32 v3, v27, v3
	ds_write_b32 v29, v3 offset:32
.LBB24_21:
	s_or_b64 exec, exec, s[12:13]
	v_lshrrev_b32_e32 v3, s48, v23
	v_and_b32_e32 v5, s33, v3
	v_and_b32_e32 v4, 1, v5
	v_add_co_u32_e64 v31, s[12:13], -1, v4
	v_addc_co_u32_e64 v33, s[12:13], 0, -1, s[12:13]
	v_cmp_ne_u32_e64 s[12:13], 0, v4
	v_mad_u32_u24 v3, v5, 36, v25
	v_xor_b32_e32 v4, s13, v33
	; wave barrier
	ds_read_b32 v23, v3 offset:32
	v_mov_b32_e32 v3, 0
	v_and_b32_e32 v33, exec_hi, v4
	v_lshlrev_b32_e32 v4, 30, v5
	v_xor_b32_e32 v31, s12, v31
	v_cmp_gt_i64_e64 s[12:13], 0, v[3:4]
	v_not_b32_e32 v4, v4
	v_ashrrev_i32_e32 v4, 31, v4
	v_and_b32_e32 v31, exec_lo, v31
	v_xor_b32_e32 v34, s13, v4
	v_xor_b32_e32 v4, s12, v4
	v_and_b32_e32 v31, v31, v4
	v_lshlrev_b32_e32 v4, 29, v5
	v_cmp_gt_i64_e64 s[12:13], 0, v[3:4]
	v_not_b32_e32 v4, v4
	v_ashrrev_i32_e32 v4, 31, v4
	v_and_b32_e32 v33, v33, v34
	v_xor_b32_e32 v34, s13, v4
	v_xor_b32_e32 v4, s12, v4
	v_and_b32_e32 v31, v31, v4
	v_lshlrev_b32_e32 v4, 28, v5
	v_cmp_gt_i64_e64 s[12:13], 0, v[3:4]
	v_not_b32_e32 v4, v4
	v_ashrrev_i32_e32 v4, 31, v4
	v_and_b32_e32 v33, v33, v34
	;; [unrolled: 8-line block ×5, first 2 shown]
	v_xor_b32_e32 v34, s13, v4
	v_xor_b32_e32 v4, s12, v4
	v_and_b32_e32 v31, v31, v4
	v_lshlrev_b32_e32 v4, 24, v5
	v_cmp_gt_i64_e64 s[12:13], 0, v[3:4]
	v_not_b32_e32 v4, v4
	v_ashrrev_i32_e32 v4, 31, v4
	v_mul_u32_u24_e32 v32, 36, v5
	v_xor_b32_e32 v5, s13, v4
	v_xor_b32_e32 v4, s12, v4
	v_and_b32_e32 v33, v33, v34
	v_and_b32_e32 v4, v31, v4
	;; [unrolled: 1-line block ×3, first 2 shown]
	v_mbcnt_lo_u32_b32 v31, v4, 0
	v_mbcnt_hi_u32_b32 v31, v5, v31
	v_cmp_ne_u64_e64 s[12:13], 0, v[4:5]
	v_cmp_eq_u32_e64 s[14:15], 0, v31
	s_and_b64 s[14:15], s[12:13], s[14:15]
	v_add_u32_e32 v33, v25, v32
	; wave barrier
	s_and_saveexec_b64 s[12:13], s[14:15]
	s_cbranch_execz .LBB24_23
; %bb.22:
	v_bcnt_u32_b32 v4, v4, 0
	v_bcnt_u32_b32 v4, v5, v4
	s_waitcnt lgkmcnt(0)
	v_add_u32_e32 v4, v23, v4
	ds_write_b32 v33, v4 offset:32
.LBB24_23:
	s_or_b64 exec, exec, s[12:13]
	v_lshrrev_b32_e32 v4, s48, v6
	v_and_b32_e32 v5, s33, v4
	v_mad_u32_u24 v4, v5, 36, v25
	; wave barrier
	ds_read_b32 v32, v4 offset:32
	v_and_b32_e32 v4, 1, v5
	v_add_co_u32_e64 v34, s[12:13], -1, v4
	v_addc_co_u32_e64 v35, s[12:13], 0, -1, s[12:13]
	v_cmp_ne_u32_e64 s[12:13], 0, v4
	v_xor_b32_e32 v4, s13, v35
	v_and_b32_e32 v35, exec_hi, v4
	v_lshlrev_b32_e32 v4, 30, v5
	v_xor_b32_e32 v34, s12, v34
	v_cmp_gt_i64_e64 s[12:13], 0, v[3:4]
	v_not_b32_e32 v4, v4
	v_ashrrev_i32_e32 v4, 31, v4
	v_and_b32_e32 v34, exec_lo, v34
	v_xor_b32_e32 v36, s13, v4
	v_xor_b32_e32 v4, s12, v4
	v_and_b32_e32 v34, v34, v4
	v_lshlrev_b32_e32 v4, 29, v5
	v_cmp_gt_i64_e64 s[12:13], 0, v[3:4]
	v_not_b32_e32 v4, v4
	v_ashrrev_i32_e32 v4, 31, v4
	v_and_b32_e32 v35, v35, v36
	v_xor_b32_e32 v36, s13, v4
	v_xor_b32_e32 v4, s12, v4
	v_and_b32_e32 v34, v34, v4
	v_lshlrev_b32_e32 v4, 28, v5
	v_cmp_gt_i64_e64 s[12:13], 0, v[3:4]
	v_not_b32_e32 v4, v4
	v_ashrrev_i32_e32 v4, 31, v4
	v_and_b32_e32 v35, v35, v36
	;; [unrolled: 8-line block ×5, first 2 shown]
	v_xor_b32_e32 v36, s13, v4
	v_xor_b32_e32 v4, s12, v4
	v_and_b32_e32 v34, v34, v4
	v_lshlrev_b32_e32 v4, 24, v5
	v_cmp_gt_i64_e64 s[12:13], 0, v[3:4]
	v_not_b32_e32 v3, v4
	v_ashrrev_i32_e32 v3, 31, v3
	v_xor_b32_e32 v4, s13, v3
	v_xor_b32_e32 v3, s12, v3
	v_and_b32_e32 v35, v35, v36
	v_and_b32_e32 v3, v34, v3
	v_mul_u32_u24_e32 v6, 36, v5
	v_and_b32_e32 v4, v35, v4
	v_mbcnt_lo_u32_b32 v5, v3, 0
	v_mbcnt_hi_u32_b32 v34, v4, v5
	v_cmp_ne_u64_e64 s[12:13], 0, v[3:4]
	v_cmp_eq_u32_e64 s[14:15], 0, v34
	s_and_b64 s[14:15], s[12:13], s[14:15]
	v_add_u32_e32 v25, v25, v6
	; wave barrier
	s_and_saveexec_b64 s[12:13], s[14:15]
	s_cbranch_execz .LBB24_25
; %bb.24:
	v_bcnt_u32_b32 v3, v3, 0
	v_bcnt_u32_b32 v3, v4, v3
	s_waitcnt lgkmcnt(0)
	v_add_u32_e32 v3, v32, v3
	ds_write_b32 v25, v3 offset:32
.LBB24_25:
	s_or_b64 exec, exec, s[12:13]
	; wave barrier
	s_waitcnt lgkmcnt(0)
	s_barrier
	ds_read2_b32 v[5:6], v16 offset0:8 offset1:9
	ds_read2_b32 v[3:4], v16 offset0:10 offset1:11
	ds_read_b32 v35, v16 offset:48
	v_min_u32_e32 v15, 0x1c0, v15
	v_or_b32_e32 v15, 63, v15
	s_waitcnt lgkmcnt(1)
	v_add3_u32 v36, v6, v5, v3
	s_waitcnt lgkmcnt(0)
	v_add3_u32 v35, v36, v4, v35
	v_and_b32_e32 v36, 15, v12
	v_cmp_ne_u32_e64 s[12:13], 0, v36
	v_mov_b32_dpp v37, v35 row_shr:1 row_mask:0xf bank_mask:0xf
	v_cndmask_b32_e64 v37, 0, v37, s[12:13]
	v_add_u32_e32 v35, v37, v35
	v_cmp_lt_u32_e64 s[12:13], 1, v36
	s_nop 0
	v_mov_b32_dpp v37, v35 row_shr:2 row_mask:0xf bank_mask:0xf
	v_cndmask_b32_e64 v37, 0, v37, s[12:13]
	v_add_u32_e32 v35, v35, v37
	v_cmp_lt_u32_e64 s[12:13], 3, v36
	s_nop 0
	;; [unrolled: 5-line block ×3, first 2 shown]
	v_mov_b32_dpp v37, v35 row_shr:8 row_mask:0xf bank_mask:0xf
	v_cndmask_b32_e64 v36, 0, v37, s[12:13]
	v_add_u32_e32 v35, v35, v36
	v_bfe_i32 v37, v12, 4, 1
	v_cmp_lt_u32_e64 s[12:13], 31, v12
	v_mov_b32_dpp v36, v35 row_bcast:15 row_mask:0xf bank_mask:0xf
	v_and_b32_e32 v36, v37, v36
	v_add_u32_e32 v35, v35, v36
	s_nop 1
	v_mov_b32_dpp v36, v35 row_bcast:31 row_mask:0xf bank_mask:0xf
	v_cndmask_b32_e64 v36, 0, v36, s[12:13]
	v_add_u32_e32 v35, v35, v36
	v_lshrrev_b32_e32 v36, 6, v0
	v_cmp_eq_u32_e64 s[12:13], v0, v15
	s_and_saveexec_b64 s[14:15], s[12:13]
; %bb.26:
	v_lshlrev_b32_e32 v15, 2, v36
	ds_write_b32 v15, v35
; %bb.27:
	s_or_b64 exec, exec, s[14:15]
	v_cmp_gt_u32_e64 s[12:13], 8, v0
	s_waitcnt lgkmcnt(0)
	s_barrier
	s_and_saveexec_b64 s[14:15], s[12:13]
	s_cbranch_execz .LBB24_29
; %bb.28:
	v_lshlrev_b32_e32 v15, 2, v0
	ds_read_b32 v37, v15
	v_and_b32_e32 v38, 7, v12
	v_cmp_ne_u32_e64 s[12:13], 0, v38
	s_waitcnt lgkmcnt(0)
	v_mov_b32_dpp v39, v37 row_shr:1 row_mask:0xf bank_mask:0xf
	v_cndmask_b32_e64 v39, 0, v39, s[12:13]
	v_add_u32_e32 v37, v39, v37
	v_cmp_lt_u32_e64 s[12:13], 1, v38
	s_nop 0
	v_mov_b32_dpp v39, v37 row_shr:2 row_mask:0xf bank_mask:0xf
	v_cndmask_b32_e64 v39, 0, v39, s[12:13]
	v_add_u32_e32 v37, v37, v39
	v_cmp_lt_u32_e64 s[12:13], 3, v38
	s_nop 0
	v_mov_b32_dpp v39, v37 row_shr:4 row_mask:0xf bank_mask:0xf
	v_cndmask_b32_e64 v38, 0, v39, s[12:13]
	v_add_u32_e32 v37, v37, v38
	ds_write_b32 v15, v37
.LBB24_29:
	s_or_b64 exec, exec, s[14:15]
	v_cmp_lt_u32_e64 s[12:13], 63, v0
	v_mov_b32_e32 v15, 0
	s_waitcnt lgkmcnt(0)
	s_barrier
	s_and_saveexec_b64 s[14:15], s[12:13]
; %bb.30:
	v_lshl_add_u32 v15, v36, 2, -4
	ds_read_b32 v15, v15
; %bb.31:
	s_or_b64 exec, exec, s[14:15]
	v_add_u32_e32 v36, -1, v12
	v_and_b32_e32 v37, 64, v12
	v_cmp_lt_i32_e64 s[12:13], v36, v37
	v_cndmask_b32_e64 v36, v36, v12, s[12:13]
	s_waitcnt lgkmcnt(0)
	v_add_u32_e32 v35, v15, v35
	v_lshlrev_b32_e32 v36, 2, v36
	ds_bpermute_b32 v35, v36, v35
	v_cmp_eq_u32_e64 s[12:13], 0, v12
	s_movk_i32 s16, 0x100
	v_cmp_gt_u32_e64 s[14:15], s16, v0
	s_waitcnt lgkmcnt(0)
	v_cndmask_b32_e64 v15, v35, v15, s[12:13]
	v_cmp_ne_u32_e64 s[12:13], 0, v0
	v_cndmask_b32_e64 v15, 0, v15, s[12:13]
	v_add_u32_e32 v5, v15, v5
	v_add_u32_e32 v6, v5, v6
	v_add_u32_e32 v3, v6, v3
	v_add_u32_e32 v4, v3, v4
	ds_write2_b32 v16, v15, v5 offset0:8 offset1:9
	ds_write2_b32 v16, v6, v3 offset0:10 offset1:11
	ds_write_b32 v16, v4 offset:48
	s_waitcnt lgkmcnt(0)
	s_barrier
	ds_read_b32 v5, v20 offset:32
	ds_read_b32 v6, v24 offset:32
	;; [unrolled: 1-line block ×6, first 2 shown]
	s_movk_i32 s12, 0xff
	v_mov_b32_e32 v3, 0
	v_cmp_lt_u32_e64 s[12:13], s12, v0
	v_mov_b32_e32 v4, 0
                                        ; implicit-def: $vgpr20
	s_and_saveexec_b64 s[18:19], s[14:15]
	s_cbranch_execz .LBB24_35
; %bb.32:
	v_mul_u32_u24_e32 v3, 36, v0
	ds_read_b32 v3, v3 offset:32
	v_add_u32_e32 v20, 1, v0
	v_cmp_ne_u32_e64 s[16:17], s16, v20
	v_mov_b32_e32 v4, 0xc00
	s_and_saveexec_b64 s[20:21], s[16:17]
; %bb.33:
	v_mul_u32_u24_e32 v4, 36, v20
	ds_read_b32 v4, v4 offset:32
; %bb.34:
	s_or_b64 exec, exec, s[20:21]
	s_waitcnt lgkmcnt(0)
	v_sub_u32_e32 v20, v4, v3
	v_mov_b32_e32 v4, 0
.LBB24_35:
	s_or_b64 exec, exec, s[18:19]
	s_waitcnt lgkmcnt(5)
	v_add_u32_e32 v29, v5, v17
	s_waitcnt lgkmcnt(4)
	v_add3_u32 v28, v21, v18, v6
	s_waitcnt lgkmcnt(3)
	v_add3_u32 v25, v26, v22, v15
	s_waitcnt lgkmcnt(2)
	v_add3_u32 v24, v30, v27, v16
	s_waitcnt lgkmcnt(1)
	v_add3_u32 v23, v31, v23, v33
	s_waitcnt lgkmcnt(0)
	v_add3_u32 v22, v34, v32, v35
	v_mov_b32_e32 v6, 0
	v_lshlrev_b32_e32 v21, 3, v0
	s_barrier
	ds_write_b8 v29, v8 offset:2048
	ds_write_b8 v28, v7 offset:2048
	;; [unrolled: 1-line block ×6, first 2 shown]
	s_waitcnt lgkmcnt(0)
	s_barrier
	s_and_saveexec_b64 s[16:17], s[14:15]
	s_cbranch_execz .LBB24_45
; %bb.36:
	v_lshl_add_u32 v5, s6, 8, v0
	v_lshlrev_b64 v[7:8], 2, v[5:6]
	v_mov_b32_e32 v13, s35
	v_add_co_u32_e64 v7, s[14:15], s34, v7
	v_addc_co_u32_e64 v8, s[14:15], v13, v8, s[14:15]
	v_or_b32_e32 v5, 2.0, v20
	s_mov_b64 s[18:19], 0
	s_brev_b32 s24, -4
	s_mov_b32 s25, s6
	v_mov_b32_e32 v14, 0
	global_store_dword v[7:8], v5, off
                                        ; implicit-def: $sgpr14_sgpr15
	s_branch .LBB24_39
.LBB24_37:                              ;   in Loop: Header=BB24_39 Depth=1
	s_or_b64 exec, exec, s[22:23]
.LBB24_38:                              ;   in Loop: Header=BB24_39 Depth=1
	s_or_b64 exec, exec, s[20:21]
	v_and_b32_e32 v9, 0x3fffffff, v5
	v_add_u32_e32 v14, v9, v14
	v_cmp_gt_i32_e64 s[14:15], -2.0, v5
	s_and_b64 s[20:21], exec, s[14:15]
	s_or_b64 s[18:19], s[20:21], s[18:19]
	s_andn2_b64 exec, exec, s[18:19]
	s_cbranch_execz .LBB24_44
.LBB24_39:                              ; =>This Loop Header: Depth=1
                                        ;     Child Loop BB24_42 Depth 2
	s_or_b64 s[14:15], s[14:15], exec
	s_cmp_eq_u32 s25, 0
	s_cbranch_scc1 .LBB24_43
; %bb.40:                               ;   in Loop: Header=BB24_39 Depth=1
	s_add_i32 s25, s25, -1
	v_lshl_or_b32 v5, s25, 8, v0
	v_lshlrev_b64 v[9:10], 2, v[5:6]
	v_add_co_u32_e64 v9, s[14:15], s34, v9
	v_addc_co_u32_e64 v10, s[14:15], v13, v10, s[14:15]
	global_load_dword v5, v[9:10], off glc
	s_waitcnt vmcnt(0)
	v_cmp_gt_u32_e64 s[14:15], 2.0, v5
	s_and_saveexec_b64 s[20:21], s[14:15]
	s_cbranch_execz .LBB24_38
; %bb.41:                               ;   in Loop: Header=BB24_39 Depth=1
	s_mov_b64 s[22:23], 0
.LBB24_42:                              ;   Parent Loop BB24_39 Depth=1
                                        ; =>  This Inner Loop Header: Depth=2
	global_load_dword v5, v[9:10], off glc
	s_waitcnt vmcnt(0)
	v_cmp_lt_u32_e64 s[14:15], s24, v5
	s_or_b64 s[22:23], s[14:15], s[22:23]
	s_andn2_b64 exec, exec, s[22:23]
	s_cbranch_execnz .LBB24_42
	s_branch .LBB24_37
.LBB24_43:                              ;   in Loop: Header=BB24_39 Depth=1
                                        ; implicit-def: $sgpr25
	s_and_b64 s[20:21], exec, s[14:15]
	s_or_b64 s[18:19], s[20:21], s[18:19]
	s_andn2_b64 exec, exec, s[18:19]
	s_cbranch_execnz .LBB24_39
.LBB24_44:
	s_or_b64 exec, exec, s[18:19]
	v_add_u32_e32 v5, v14, v20
	v_or_b32_e32 v5, 0x80000000, v5
	global_store_dword v[7:8], v5, off
	global_load_dwordx2 v[5:6], v21, s[44:45]
	v_sub_co_u32_e64 v7, s[14:15], v14, v3
	v_subb_co_u32_e64 v8, s[14:15], 0, v4, s[14:15]
	s_waitcnt vmcnt(0)
	v_add_co_u32_e64 v5, s[14:15], v7, v5
	v_addc_co_u32_e64 v6, s[14:15], v8, v6, s[14:15]
	ds_write_b64 v21, v[5:6]
.LBB24_45:
	s_or_b64 exec, exec, s[16:17]
	v_cmp_gt_u32_e64 s[14:15], s50, v0
	s_waitcnt lgkmcnt(0)
	s_barrier
	s_and_saveexec_b64 s[18:19], s[14:15]
	s_cbranch_execz .LBB24_47
; %bb.46:
	ds_read_u8 v7, v0 offset:2048
	v_mov_b32_e32 v8, s39
	s_waitcnt lgkmcnt(0)
	v_lshrrev_b32_sdwa v5, s48, v7 dst_sel:DWORD dst_unused:UNUSED_PAD src0_sel:DWORD src1_sel:BYTE_0
	v_and_b32_e32 v5, s33, v5
	v_lshlrev_b32_e32 v5, 3, v5
	ds_read_b64 v[5:6], v5
	s_waitcnt lgkmcnt(0)
	v_add_co_u32_e64 v5, s[16:17], s38, v5
	v_addc_co_u32_e64 v6, s[16:17], v8, v6, s[16:17]
	v_add_co_u32_e64 v5, s[16:17], v5, v0
	v_addc_co_u32_e64 v6, s[16:17], 0, v6, s[16:17]
	global_store_byte v[5:6], v7, off
.LBB24_47:
	s_or_b64 exec, exec, s[18:19]
	v_or_b32_e32 v26, 0x200, v0
	v_cmp_gt_u32_e64 s[16:17], s50, v26
	s_and_saveexec_b64 s[20:21], s[16:17]
	s_cbranch_execz .LBB24_49
; %bb.48:
	ds_read_u8 v7, v0 offset:2560
	v_mov_b32_e32 v8, s39
	s_waitcnt lgkmcnt(0)
	v_lshrrev_b32_sdwa v5, s48, v7 dst_sel:DWORD dst_unused:UNUSED_PAD src0_sel:DWORD src1_sel:BYTE_0
	v_and_b32_e32 v5, s33, v5
	v_lshlrev_b32_e32 v5, 3, v5
	ds_read_b64 v[5:6], v5
	s_waitcnt lgkmcnt(0)
	v_add_co_u32_e64 v5, s[18:19], s38, v5
	v_addc_co_u32_e64 v6, s[18:19], v8, v6, s[18:19]
	v_add_co_u32_e64 v5, s[18:19], v5, v0
	v_addc_co_u32_e64 v6, s[18:19], 0, v6, s[18:19]
	global_store_byte v[5:6], v7, off offset:512
.LBB24_49:
	s_or_b64 exec, exec, s[20:21]
	v_or_b32_e32 v27, 0x400, v0
	v_cmp_gt_u32_e64 s[18:19], s50, v27
	s_and_saveexec_b64 s[22:23], s[18:19]
	s_cbranch_execz .LBB24_51
; %bb.50:
	ds_read_u8 v7, v0 offset:3072
	v_mov_b32_e32 v8, s39
	s_waitcnt lgkmcnt(0)
	v_lshrrev_b32_sdwa v5, s48, v7 dst_sel:DWORD dst_unused:UNUSED_PAD src0_sel:DWORD src1_sel:BYTE_0
	v_and_b32_e32 v5, s33, v5
	v_lshlrev_b32_e32 v5, 3, v5
	ds_read_b64 v[5:6], v5
	s_waitcnt lgkmcnt(0)
	v_add_co_u32_e64 v5, s[20:21], s38, v5
	v_addc_co_u32_e64 v6, s[20:21], v8, v6, s[20:21]
	v_add_co_u32_e64 v5, s[20:21], v5, v0
	v_addc_co_u32_e64 v6, s[20:21], 0, v6, s[20:21]
	global_store_byte v[5:6], v7, off offset:1024
.LBB24_51:
	s_or_b64 exec, exec, s[22:23]
	v_or_b32_e32 v30, 0x600, v0
	v_cmp_gt_u32_e64 s[20:21], s50, v30
	s_and_saveexec_b64 s[24:25], s[20:21]
	s_cbranch_execz .LBB24_53
; %bb.52:
	ds_read_u8 v7, v0 offset:3584
	v_mov_b32_e32 v8, s39
	s_waitcnt lgkmcnt(0)
	v_lshrrev_b32_sdwa v5, s48, v7 dst_sel:DWORD dst_unused:UNUSED_PAD src0_sel:DWORD src1_sel:BYTE_0
	v_and_b32_e32 v5, s33, v5
	v_lshlrev_b32_e32 v5, 3, v5
	ds_read_b64 v[5:6], v5
	s_waitcnt lgkmcnt(0)
	v_add_co_u32_e64 v5, s[22:23], s38, v5
	v_addc_co_u32_e64 v6, s[22:23], v8, v6, s[22:23]
	v_add_co_u32_e64 v5, s[22:23], v5, v0
	v_addc_co_u32_e64 v6, s[22:23], 0, v6, s[22:23]
	global_store_byte v[5:6], v7, off offset:1536
.LBB24_53:
	s_or_b64 exec, exec, s[24:25]
	v_or_b32_e32 v31, 0x800, v0
	v_cmp_gt_u32_e64 s[22:23], s50, v31
	s_and_saveexec_b64 s[28:29], s[22:23]
	s_cbranch_execz .LBB24_55
; %bb.54:
	ds_read_u8 v7, v0 offset:4096
	v_mov_b32_e32 v8, s39
	s_waitcnt lgkmcnt(0)
	v_lshrrev_b32_sdwa v5, s48, v7 dst_sel:DWORD dst_unused:UNUSED_PAD src0_sel:DWORD src1_sel:BYTE_0
	v_and_b32_e32 v5, s33, v5
	v_lshlrev_b32_e32 v5, 3, v5
	ds_read_b64 v[5:6], v5
	s_waitcnt lgkmcnt(0)
	v_add_co_u32_e64 v5, s[24:25], s38, v5
	v_addc_co_u32_e64 v6, s[24:25], v8, v6, s[24:25]
	v_add_co_u32_e64 v5, s[24:25], v5, v0
	v_addc_co_u32_e64 v6, s[24:25], 0, v6, s[24:25]
	global_store_byte v[5:6], v7, off offset:2048
.LBB24_55:
	s_or_b64 exec, exec, s[28:29]
	v_or_b32_e32 v32, 0xa00, v0
	v_cmp_gt_u32_e64 s[24:25], s50, v32
	s_and_saveexec_b64 s[50:51], s[24:25]
	s_cbranch_execz .LBB24_57
; %bb.56:
	ds_read_u8 v7, v0 offset:4608
	v_mov_b32_e32 v8, s39
	s_waitcnt lgkmcnt(0)
	v_lshrrev_b32_sdwa v5, s48, v7 dst_sel:DWORD dst_unused:UNUSED_PAD src0_sel:DWORD src1_sel:BYTE_0
	v_and_b32_e32 v5, s33, v5
	v_lshlrev_b32_e32 v5, 3, v5
	ds_read_b64 v[5:6], v5
	s_waitcnt lgkmcnt(0)
	v_add_co_u32_e64 v5, s[28:29], s38, v5
	v_addc_co_u32_e64 v6, s[28:29], v8, v6, s[28:29]
	v_add_co_u32_e64 v5, s[28:29], v5, v0
	v_addc_co_u32_e64 v6, s[28:29], 0, v6, s[28:29]
	global_store_byte v[5:6], v7, off offset:2560
.LBB24_57:
	s_or_b64 exec, exec, s[50:51]
	s_lshl_b64 s[28:29], s[30:31], 3
	s_add_u32 s28, s40, s28
	s_addc_u32 s29, s41, s29
	v_lshlrev_b32_e32 v5, 3, v12
	v_mov_b32_e32 v6, s29
	v_add_co_u32_e64 v5, s[28:29], s28, v5
	v_addc_co_u32_e64 v6, s[28:29], 0, v6, s[28:29]
	v_lshlrev_b32_e32 v7, 3, v11
	v_add_co_u32_e64 v17, s[28:29], v5, v7
	v_addc_co_u32_e64 v18, s[28:29], 0, v6, s[28:29]
                                        ; implicit-def: $vgpr5_vgpr6
	s_and_saveexec_b64 s[28:29], vcc
	s_xor_b64 s[28:29], exec, s[28:29]
	s_cbranch_execz .LBB24_63
; %bb.58:
	global_load_dwordx2 v[5:6], v[17:18], off
	s_or_b64 exec, exec, s[28:29]
                                        ; implicit-def: $vgpr7_vgpr8
	s_and_saveexec_b64 s[28:29], s[0:1]
	s_cbranch_execnz .LBB24_64
.LBB24_59:
	s_or_b64 exec, exec, s[28:29]
                                        ; implicit-def: $vgpr9_vgpr10
	s_and_saveexec_b64 s[0:1], s[2:3]
	s_cbranch_execz .LBB24_65
.LBB24_60:
	global_load_dwordx2 v[9:10], v[17:18], off offset:1024
	s_or_b64 exec, exec, s[0:1]
                                        ; implicit-def: $vgpr11_vgpr12
	s_and_saveexec_b64 s[0:1], s[26:27]
	s_cbranch_execnz .LBB24_66
.LBB24_61:
	s_or_b64 exec, exec, s[0:1]
                                        ; implicit-def: $vgpr13_vgpr14
	s_and_saveexec_b64 s[0:1], s[8:9]
	s_cbranch_execz .LBB24_67
.LBB24_62:
	global_load_dwordx2 v[13:14], v[17:18], off offset:2048
	s_or_b64 exec, exec, s[0:1]
                                        ; implicit-def: $vgpr15_vgpr16
	s_and_saveexec_b64 s[0:1], s[10:11]
	s_cbranch_execnz .LBB24_68
	s_branch .LBB24_69
.LBB24_63:
	s_or_b64 exec, exec, s[28:29]
                                        ; implicit-def: $vgpr7_vgpr8
	s_and_saveexec_b64 s[28:29], s[0:1]
	s_cbranch_execz .LBB24_59
.LBB24_64:
	global_load_dwordx2 v[7:8], v[17:18], off offset:512
	s_or_b64 exec, exec, s[28:29]
                                        ; implicit-def: $vgpr9_vgpr10
	s_and_saveexec_b64 s[0:1], s[2:3]
	s_cbranch_execnz .LBB24_60
.LBB24_65:
	s_or_b64 exec, exec, s[0:1]
                                        ; implicit-def: $vgpr11_vgpr12
	s_and_saveexec_b64 s[0:1], s[26:27]
	s_cbranch_execz .LBB24_61
.LBB24_66:
	global_load_dwordx2 v[11:12], v[17:18], off offset:1536
	s_or_b64 exec, exec, s[0:1]
                                        ; implicit-def: $vgpr13_vgpr14
	s_and_saveexec_b64 s[0:1], s[8:9]
	s_cbranch_execnz .LBB24_62
.LBB24_67:
	s_or_b64 exec, exec, s[0:1]
                                        ; implicit-def: $vgpr15_vgpr16
	s_and_saveexec_b64 s[0:1], s[10:11]
	s_cbranch_execz .LBB24_69
.LBB24_68:
	global_load_dwordx2 v[15:16], v[17:18], off offset:2560
.LBB24_69:
	s_or_b64 exec, exec, s[0:1]
	v_mov_b32_e32 v34, 0
	v_mov_b32_e32 v36, 0
	s_and_saveexec_b64 s[0:1], s[14:15]
	s_cbranch_execz .LBB24_71
; %bb.70:
	ds_read_u8 v17, v0 offset:2048
	s_waitcnt lgkmcnt(0)
	v_lshrrev_b32_e32 v17, s48, v17
	v_and_b32_e32 v36, s33, v17
.LBB24_71:
	s_or_b64 exec, exec, s[0:1]
	s_and_saveexec_b64 s[0:1], s[16:17]
	s_cbranch_execz .LBB24_73
; %bb.72:
	ds_read_u8 v17, v0 offset:2560
	s_waitcnt lgkmcnt(0)
	v_lshrrev_b32_e32 v17, s48, v17
	v_and_b32_e32 v34, s33, v17
.LBB24_73:
	s_or_b64 exec, exec, s[0:1]
	v_mov_b32_e32 v18, 0
	v_mov_b32_e32 v35, 0
	s_and_saveexec_b64 s[0:1], s[18:19]
	s_cbranch_execz .LBB24_75
; %bb.74:
	ds_read_u8 v17, v0 offset:3072
	s_waitcnt lgkmcnt(0)
	v_lshrrev_b32_e32 v17, s48, v17
	v_and_b32_e32 v35, s33, v17
.LBB24_75:
	s_or_b64 exec, exec, s[0:1]
	s_and_saveexec_b64 s[0:1], s[20:21]
	s_cbranch_execz .LBB24_77
; %bb.76:
	ds_read_u8 v17, v0 offset:3584
	s_waitcnt lgkmcnt(0)
	v_lshrrev_b32_e32 v17, s48, v17
	v_and_b32_e32 v18, s33, v17
.LBB24_77:
	;; [unrolled: 20-line block ×3, first 2 shown]
	s_or_b64 exec, exec, s[0:1]
	v_lshlrev_b32_e32 v29, 3, v29
	s_waitcnt vmcnt(0)
	s_barrier
	ds_write_b64 v29, v[5:6] offset:2048
	v_lshlrev_b32_e32 v5, 3, v28
	ds_write_b64 v5, v[7:8] offset:2048
	v_lshlrev_b32_e32 v5, 3, v25
	;; [unrolled: 2-line block ×5, first 2 shown]
	ds_write_b64 v5, v[15:16] offset:2048
	s_waitcnt lgkmcnt(0)
	s_barrier
	s_and_saveexec_b64 s[0:1], s[14:15]
	s_cbranch_execz .LBB24_87
; %bb.82:
	v_lshlrev_b32_e32 v5, 3, v36
	ds_read_b64 v[5:6], v5
	ds_read_b64 v[7:8], v21 offset:2048
	v_mov_b32_e32 v9, s43
	s_waitcnt lgkmcnt(1)
	v_lshlrev_b64 v[5:6], 3, v[5:6]
	v_add_co_u32_e32 v5, vcc, s42, v5
	v_addc_co_u32_e32 v6, vcc, v9, v6, vcc
	v_add_co_u32_e32 v5, vcc, v5, v21
	v_addc_co_u32_e32 v6, vcc, 0, v6, vcc
	s_waitcnt lgkmcnt(0)
	global_store_dwordx2 v[5:6], v[7:8], off
	s_or_b64 exec, exec, s[0:1]
	s_and_saveexec_b64 s[0:1], s[16:17]
	s_cbranch_execnz .LBB24_88
.LBB24_83:
	s_or_b64 exec, exec, s[0:1]
	s_and_saveexec_b64 s[0:1], s[18:19]
	s_cbranch_execz .LBB24_89
.LBB24_84:
	v_lshlrev_b32_e32 v5, 3, v35
	ds_read_b64 v[5:6], v5
	ds_read_b64 v[7:8], v21 offset:10240
	v_mov_b32_e32 v9, s43
	s_waitcnt lgkmcnt(1)
	v_lshlrev_b64 v[5:6], 3, v[5:6]
	v_add_co_u32_e32 v5, vcc, s42, v5
	v_addc_co_u32_e32 v6, vcc, v9, v6, vcc
	v_lshlrev_b32_e32 v9, 3, v27
	v_add_co_u32_e32 v5, vcc, v5, v9
	v_addc_co_u32_e32 v6, vcc, 0, v6, vcc
	s_waitcnt lgkmcnt(0)
	global_store_dwordx2 v[5:6], v[7:8], off
	s_or_b64 exec, exec, s[0:1]
	s_and_saveexec_b64 s[0:1], s[20:21]
	s_cbranch_execnz .LBB24_90
.LBB24_85:
	s_or_b64 exec, exec, s[0:1]
	s_and_saveexec_b64 s[0:1], s[22:23]
	s_cbranch_execz .LBB24_91
.LBB24_86:
	v_lshlrev_b32_e32 v5, 3, v33
	ds_read_b64 v[5:6], v5
	ds_read_b64 v[7:8], v21 offset:18432
	v_mov_b32_e32 v9, s43
	s_waitcnt lgkmcnt(1)
	v_lshlrev_b64 v[5:6], 3, v[5:6]
	v_add_co_u32_e32 v5, vcc, s42, v5
	v_addc_co_u32_e32 v6, vcc, v9, v6, vcc
	v_lshlrev_b32_e32 v9, 3, v31
	v_add_co_u32_e32 v5, vcc, v5, v9
	v_addc_co_u32_e32 v6, vcc, 0, v6, vcc
	s_waitcnt lgkmcnt(0)
	global_store_dwordx2 v[5:6], v[7:8], off
	s_or_b64 exec, exec, s[0:1]
	s_and_saveexec_b64 s[0:1], s[24:25]
	s_cbranch_execnz .LBB24_92
	s_branch .LBB24_93
.LBB24_87:
	s_or_b64 exec, exec, s[0:1]
	s_and_saveexec_b64 s[0:1], s[16:17]
	s_cbranch_execz .LBB24_83
.LBB24_88:
	v_lshlrev_b32_e32 v5, 3, v34
	ds_read_b64 v[5:6], v5
	ds_read_b64 v[7:8], v21 offset:6144
	v_mov_b32_e32 v9, s43
	s_waitcnt lgkmcnt(1)
	v_lshlrev_b64 v[5:6], 3, v[5:6]
	v_add_co_u32_e32 v5, vcc, s42, v5
	v_addc_co_u32_e32 v6, vcc, v9, v6, vcc
	v_lshlrev_b32_e32 v9, 3, v26
	v_add_co_u32_e32 v5, vcc, v5, v9
	v_addc_co_u32_e32 v6, vcc, 0, v6, vcc
	s_waitcnt lgkmcnt(0)
	global_store_dwordx2 v[5:6], v[7:8], off
	s_or_b64 exec, exec, s[0:1]
	s_and_saveexec_b64 s[0:1], s[18:19]
	s_cbranch_execnz .LBB24_84
.LBB24_89:
	s_or_b64 exec, exec, s[0:1]
	s_and_saveexec_b64 s[0:1], s[20:21]
	s_cbranch_execz .LBB24_85
.LBB24_90:
	v_lshlrev_b32_e32 v5, 3, v18
	ds_read_b64 v[5:6], v5
	ds_read_b64 v[7:8], v21 offset:14336
	v_mov_b32_e32 v9, s43
	s_waitcnt lgkmcnt(1)
	v_lshlrev_b64 v[5:6], 3, v[5:6]
	v_add_co_u32_e32 v5, vcc, s42, v5
	v_addc_co_u32_e32 v6, vcc, v9, v6, vcc
	v_lshlrev_b32_e32 v9, 3, v30
	v_add_co_u32_e32 v5, vcc, v5, v9
	v_addc_co_u32_e32 v6, vcc, 0, v6, vcc
	s_waitcnt lgkmcnt(0)
	global_store_dwordx2 v[5:6], v[7:8], off
	s_or_b64 exec, exec, s[0:1]
	s_and_saveexec_b64 s[0:1], s[22:23]
	s_cbranch_execnz .LBB24_86
.LBB24_91:
	s_or_b64 exec, exec, s[0:1]
	s_and_saveexec_b64 s[0:1], s[24:25]
	s_cbranch_execz .LBB24_93
.LBB24_92:
	v_lshlrev_b32_e32 v5, 3, v17
	ds_read_b64 v[5:6], v5
	ds_read_b64 v[7:8], v21 offset:22528
	v_mov_b32_e32 v9, s43
	s_waitcnt lgkmcnt(1)
	v_lshlrev_b64 v[5:6], 3, v[5:6]
	v_add_co_u32_e32 v5, vcc, s42, v5
	v_addc_co_u32_e32 v6, vcc, v9, v6, vcc
	v_lshlrev_b32_e32 v9, 3, v32
	v_add_co_u32_e32 v5, vcc, v5, v9
	v_addc_co_u32_e32 v6, vcc, 0, v6, vcc
	s_waitcnt lgkmcnt(0)
	global_store_dwordx2 v[5:6], v[7:8], off
.LBB24_93:
	s_or_b64 exec, exec, s[0:1]
	s_add_i32 s7, s7, -1
	s_cmp_eq_u32 s6, s7
	s_cselect_b64 s[0:1], -1, 0
	s_xor_b64 s[2:3], s[12:13], -1
	s_and_b64 s[2:3], s[2:3], s[0:1]
	s_and_saveexec_b64 s[0:1], s[2:3]
	s_cbranch_execz .LBB24_95
; %bb.94:
	ds_read_b64 v[5:6], v21
	v_add_co_u32_e32 v3, vcc, v3, v20
	v_addc_co_u32_e32 v4, vcc, 0, v4, vcc
	s_waitcnt lgkmcnt(0)
	v_add_co_u32_e32 v3, vcc, v3, v5
	v_addc_co_u32_e32 v4, vcc, v4, v6, vcc
	global_store_dwordx2 v21, v[3:4], s[46:47]
.LBB24_95:
	s_or_b64 exec, exec, s[0:1]
	s_mov_b64 s[0:1], 0
.LBB24_96:
	s_and_b64 vcc, exec, s[0:1]
	s_cbranch_vccz .LBB24_131
; %bb.97:
	s_add_u32 s0, s36, s30
	s_addc_u32 s1, s37, 0
	v_mbcnt_hi_u32_b32 v10, -1, v19
	v_and_b32_e32 v14, 0x1c0, v0
	v_mov_b32_e32 v3, s1
	v_add_co_u32_e32 v4, vcc, s0, v10
	v_mul_u32_u24_e32 v9, 6, v14
	v_addc_co_u32_e32 v3, vcc, 0, v3, vcc
	v_add_co_u32_e32 v15, vcc, v4, v9
	v_addc_co_u32_e32 v16, vcc, 0, v3, vcc
	global_load_ubyte v5, v[15:16], off
	s_load_dword s0, s[4:5], 0x5c
	s_load_dword s7, s[4:5], 0x50
	s_add_u32 s1, s4, 0x50
	s_addc_u32 s2, s5, 0
	v_mov_b32_e32 v3, 0
	s_waitcnt lgkmcnt(0)
	s_lshr_b32 s3, s0, 16
	s_cmp_lt_u32 s6, s7
	s_cselect_b32 s0, 12, 18
	s_add_u32 s0, s1, s0
	s_addc_u32 s1, s2, 0
	global_load_ushort v17, v3, s[0:1]
	v_mul_u32_u24_e32 v13, 20, v0
	ds_write2_b32 v13, v3, v3 offset0:8 offset1:9
	ds_write2_b32 v13, v3, v3 offset0:10 offset1:11
	ds_write_b32 v13, v3 offset:48
	global_load_ubyte v6, v[15:16], off offset:64
	global_load_ubyte v7, v[15:16], off offset:128
	;; [unrolled: 1-line block ×5, first 2 shown]
	s_lshl_b32 s0, -1, s49
	v_mad_u32_u24 v1, v2, s3, v1
	s_not_b32 s12, s0
	s_mov_b32 s31, 0
	s_waitcnt vmcnt(0) lgkmcnt(0)
	s_barrier
	; wave barrier
	v_lshrrev_b32_sdwa v2, s48, v5 dst_sel:DWORD dst_unused:UNUSED_PAD src0_sel:DWORD src1_sel:BYTE_0
	v_and_b32_e32 v15, s12, v2
	v_and_b32_e32 v2, 1, v15
	v_add_co_u32_e32 v18, vcc, -1, v2
	v_lshlrev_b32_e32 v4, 30, v15
	v_addc_co_u32_e64 v19, s[0:1], 0, -1, vcc
	v_cmp_ne_u32_e32 vcc, 0, v2
	v_cmp_gt_i64_e64 s[0:1], 0, v[3:4]
	v_not_b32_e32 v2, v4
	v_lshlrev_b32_e32 v4, 29, v15
	v_xor_b32_e32 v19, vcc_hi, v19
	v_xor_b32_e32 v18, vcc_lo, v18
	v_ashrrev_i32_e32 v20, 31, v2
	v_cmp_gt_i64_e32 vcc, 0, v[3:4]
	v_not_b32_e32 v21, v4
	v_lshlrev_b32_e32 v4, 28, v15
	v_mad_u64_u32 v[1:2], s[2:3], v1, v17, v[0:1]
	v_and_b32_e32 v2, exec_hi, v19
	v_and_b32_e32 v17, exec_lo, v18
	v_xor_b32_e32 v18, s1, v20
	v_xor_b32_e32 v19, s0, v20
	v_ashrrev_i32_e32 v20, 31, v21
	v_cmp_gt_i64_e64 s[0:1], 0, v[3:4]
	v_not_b32_e32 v21, v4
	v_lshlrev_b32_e32 v4, 27, v15
	v_and_b32_e32 v2, v2, v18
	v_and_b32_e32 v17, v17, v19
	v_xor_b32_e32 v18, vcc_hi, v20
	v_xor_b32_e32 v19, vcc_lo, v20
	v_ashrrev_i32_e32 v20, 31, v21
	v_cmp_gt_i64_e32 vcc, 0, v[3:4]
	v_not_b32_e32 v21, v4
	v_lshlrev_b32_e32 v4, 26, v15
	v_and_b32_e32 v2, v2, v18
	v_and_b32_e32 v17, v17, v19
	v_xor_b32_e32 v18, s1, v20
	v_xor_b32_e32 v19, s0, v20
	v_ashrrev_i32_e32 v20, 31, v21
	v_cmp_gt_i64_e64 s[0:1], 0, v[3:4]
	v_not_b32_e32 v4, v4
	v_and_b32_e32 v2, v2, v18
	v_xor_b32_e32 v18, vcc_hi, v20
	v_ashrrev_i32_e32 v4, 31, v4
	v_lshrrev_b32_e32 v1, 4, v1
	v_and_b32_e32 v17, v17, v19
	v_xor_b32_e32 v19, vcc_lo, v20
	v_and_b32_e32 v2, v2, v18
	v_xor_b32_e32 v18, s1, v4
	v_and_b32_e32 v20, 0xffffffc, v1
	v_xor_b32_e32 v1, s0, v4
	v_lshlrev_b32_e32 v4, 25, v15
	v_cmp_gt_i64_e32 vcc, 0, v[3:4]
	v_not_b32_e32 v4, v4
	v_and_b32_e32 v17, v17, v19
	v_ashrrev_i32_e32 v4, 31, v4
	v_and_b32_e32 v1, v17, v1
	v_xor_b32_e32 v17, vcc_hi, v4
	v_xor_b32_e32 v4, vcc_lo, v4
	v_and_b32_e32 v1, v1, v4
	v_lshlrev_b32_e32 v4, 24, v15
	v_cmp_gt_i64_e32 vcc, 0, v[3:4]
	v_not_b32_e32 v4, v4
	v_ashrrev_i32_e32 v4, 31, v4
	v_mul_u32_u24_e32 v16, 36, v15
	v_and_b32_e32 v2, v2, v18
	v_xor_b32_e32 v15, vcc_hi, v4
	v_xor_b32_e32 v4, vcc_lo, v4
	v_and_b32_e32 v2, v2, v17
	v_and_b32_e32 v1, v1, v4
	;; [unrolled: 1-line block ×3, first 2 shown]
	v_mbcnt_lo_u32_b32 v4, v1, 0
	v_mbcnt_hi_u32_b32 v15, v2, v4
	v_cmp_ne_u64_e32 vcc, 0, v[1:2]
	v_cmp_eq_u32_e64 s[0:1], 0, v15
	s_and_b64 s[2:3], vcc, s[0:1]
	v_add_u32_e32 v17, v20, v16
	s_and_saveexec_b64 s[0:1], s[2:3]
; %bb.98:
	v_bcnt_u32_b32 v1, v1, 0
	v_bcnt_u32_b32 v1, v2, v1
	ds_write_b32 v17, v1 offset:32
; %bb.99:
	s_or_b64 exec, exec, s[0:1]
	v_lshrrev_b32_sdwa v1, s48, v6 dst_sel:DWORD dst_unused:UNUSED_PAD src0_sel:DWORD src1_sel:BYTE_0
	v_and_b32_e32 v1, s12, v1
	v_mad_u32_u24 v2, v1, 36, v20
	; wave barrier
	ds_read_b32 v16, v2 offset:32
	v_and_b32_e32 v2, 1, v1
	v_add_co_u32_e32 v4, vcc, -1, v2
	v_addc_co_u32_e64 v18, s[0:1], 0, -1, vcc
	v_cmp_ne_u32_e32 vcc, 0, v2
	v_xor_b32_e32 v4, vcc_lo, v4
	v_xor_b32_e32 v2, vcc_hi, v18
	v_and_b32_e32 v18, exec_lo, v4
	v_lshlrev_b32_e32 v4, 30, v1
	v_cmp_gt_i64_e32 vcc, 0, v[3:4]
	v_not_b32_e32 v4, v4
	v_ashrrev_i32_e32 v4, 31, v4
	v_xor_b32_e32 v21, vcc_hi, v4
	v_xor_b32_e32 v4, vcc_lo, v4
	v_and_b32_e32 v18, v18, v4
	v_lshlrev_b32_e32 v4, 29, v1
	v_cmp_gt_i64_e32 vcc, 0, v[3:4]
	v_not_b32_e32 v4, v4
	v_and_b32_e32 v2, exec_hi, v2
	v_ashrrev_i32_e32 v4, 31, v4
	v_and_b32_e32 v2, v2, v21
	v_xor_b32_e32 v21, vcc_hi, v4
	v_xor_b32_e32 v4, vcc_lo, v4
	v_and_b32_e32 v18, v18, v4
	v_lshlrev_b32_e32 v4, 28, v1
	v_cmp_gt_i64_e32 vcc, 0, v[3:4]
	v_not_b32_e32 v4, v4
	v_ashrrev_i32_e32 v4, 31, v4
	v_and_b32_e32 v2, v2, v21
	v_xor_b32_e32 v21, vcc_hi, v4
	v_xor_b32_e32 v4, vcc_lo, v4
	v_and_b32_e32 v18, v18, v4
	v_lshlrev_b32_e32 v4, 27, v1
	v_cmp_gt_i64_e32 vcc, 0, v[3:4]
	v_not_b32_e32 v4, v4
	;; [unrolled: 8-line block ×4, first 2 shown]
	v_ashrrev_i32_e32 v4, 31, v4
	v_and_b32_e32 v2, v2, v21
	v_xor_b32_e32 v21, vcc_hi, v4
	v_xor_b32_e32 v4, vcc_lo, v4
	v_and_b32_e32 v18, v18, v4
	v_lshlrev_b32_e32 v4, 24, v1
	v_mul_u32_u24_e32 v19, 36, v1
	v_cmp_gt_i64_e32 vcc, 0, v[3:4]
	v_not_b32_e32 v1, v4
	v_ashrrev_i32_e32 v1, 31, v1
	v_xor_b32_e32 v3, vcc_hi, v1
	v_xor_b32_e32 v1, vcc_lo, v1
	v_and_b32_e32 v2, v2, v21
	v_and_b32_e32 v1, v18, v1
	;; [unrolled: 1-line block ×3, first 2 shown]
	v_mbcnt_lo_u32_b32 v3, v1, 0
	v_mbcnt_hi_u32_b32 v18, v2, v3
	v_cmp_ne_u64_e32 vcc, 0, v[1:2]
	v_cmp_eq_u32_e64 s[0:1], 0, v18
	s_and_b64 s[2:3], vcc, s[0:1]
	v_add_u32_e32 v21, v20, v19
	; wave barrier
	s_and_saveexec_b64 s[0:1], s[2:3]
	s_cbranch_execz .LBB24_101
; %bb.100:
	v_bcnt_u32_b32 v1, v1, 0
	v_bcnt_u32_b32 v1, v2, v1
	s_waitcnt lgkmcnt(0)
	v_add_u32_e32 v1, v16, v1
	ds_write_b32 v21, v1 offset:32
.LBB24_101:
	s_or_b64 exec, exec, s[0:1]
	v_lshrrev_b32_sdwa v1, s48, v7 dst_sel:DWORD dst_unused:UNUSED_PAD src0_sel:DWORD src1_sel:BYTE_0
	v_and_b32_e32 v3, s12, v1
	v_and_b32_e32 v2, 1, v3
	v_add_co_u32_e32 v22, vcc, -1, v2
	v_addc_co_u32_e64 v23, s[0:1], 0, -1, vcc
	v_cmp_ne_u32_e32 vcc, 0, v2
	v_mad_u32_u24 v1, v3, 36, v20
	v_xor_b32_e32 v2, vcc_hi, v23
	; wave barrier
	ds_read_b32 v19, v1 offset:32
	v_mov_b32_e32 v1, 0
	v_and_b32_e32 v23, exec_hi, v2
	v_lshlrev_b32_e32 v2, 30, v3
	v_xor_b32_e32 v22, vcc_lo, v22
	v_cmp_gt_i64_e32 vcc, 0, v[1:2]
	v_not_b32_e32 v2, v2
	v_ashrrev_i32_e32 v2, 31, v2
	v_and_b32_e32 v22, exec_lo, v22
	v_xor_b32_e32 v24, vcc_hi, v2
	v_xor_b32_e32 v2, vcc_lo, v2
	v_and_b32_e32 v22, v22, v2
	v_lshlrev_b32_e32 v2, 29, v3
	v_cmp_gt_i64_e32 vcc, 0, v[1:2]
	v_not_b32_e32 v2, v2
	v_ashrrev_i32_e32 v2, 31, v2
	v_and_b32_e32 v23, v23, v24
	v_xor_b32_e32 v24, vcc_hi, v2
	v_xor_b32_e32 v2, vcc_lo, v2
	v_and_b32_e32 v22, v22, v2
	v_lshlrev_b32_e32 v2, 28, v3
	v_cmp_gt_i64_e32 vcc, 0, v[1:2]
	v_not_b32_e32 v2, v2
	v_ashrrev_i32_e32 v2, 31, v2
	v_and_b32_e32 v23, v23, v24
	;; [unrolled: 8-line block ×5, first 2 shown]
	v_xor_b32_e32 v24, vcc_hi, v2
	v_xor_b32_e32 v2, vcc_lo, v2
	v_and_b32_e32 v22, v22, v2
	v_lshlrev_b32_e32 v2, 24, v3
	v_cmp_gt_i64_e32 vcc, 0, v[1:2]
	v_not_b32_e32 v2, v2
	v_ashrrev_i32_e32 v2, 31, v2
	v_mul_u32_u24_e32 v4, 36, v3
	v_xor_b32_e32 v3, vcc_hi, v2
	v_xor_b32_e32 v2, vcc_lo, v2
	v_and_b32_e32 v23, v23, v24
	v_and_b32_e32 v2, v22, v2
	;; [unrolled: 1-line block ×3, first 2 shown]
	v_mbcnt_lo_u32_b32 v22, v2, 0
	v_mbcnt_hi_u32_b32 v22, v3, v22
	v_cmp_ne_u64_e32 vcc, 0, v[2:3]
	v_cmp_eq_u32_e64 s[0:1], 0, v22
	s_and_b64 s[2:3], vcc, s[0:1]
	v_add_u32_e32 v24, v20, v4
	; wave barrier
	s_and_saveexec_b64 s[0:1], s[2:3]
	s_cbranch_execz .LBB24_103
; %bb.102:
	v_bcnt_u32_b32 v2, v2, 0
	v_bcnt_u32_b32 v2, v3, v2
	s_waitcnt lgkmcnt(0)
	v_add_u32_e32 v2, v19, v2
	ds_write_b32 v24, v2 offset:32
.LBB24_103:
	s_or_b64 exec, exec, s[0:1]
	v_lshrrev_b32_sdwa v2, s48, v8 dst_sel:DWORD dst_unused:UNUSED_PAD src0_sel:DWORD src1_sel:BYTE_0
	v_and_b32_e32 v3, s12, v2
	v_mad_u32_u24 v2, v3, 36, v20
	; wave barrier
	ds_read_b32 v23, v2 offset:32
	v_and_b32_e32 v2, 1, v3
	v_add_co_u32_e32 v25, vcc, -1, v2
	v_addc_co_u32_e64 v26, s[0:1], 0, -1, vcc
	v_cmp_ne_u32_e32 vcc, 0, v2
	v_xor_b32_e32 v2, vcc_hi, v26
	v_and_b32_e32 v26, exec_hi, v2
	v_lshlrev_b32_e32 v2, 30, v3
	v_xor_b32_e32 v25, vcc_lo, v25
	v_cmp_gt_i64_e32 vcc, 0, v[1:2]
	v_not_b32_e32 v2, v2
	v_ashrrev_i32_e32 v2, 31, v2
	v_and_b32_e32 v25, exec_lo, v25
	v_xor_b32_e32 v27, vcc_hi, v2
	v_xor_b32_e32 v2, vcc_lo, v2
	v_and_b32_e32 v25, v25, v2
	v_lshlrev_b32_e32 v2, 29, v3
	v_cmp_gt_i64_e32 vcc, 0, v[1:2]
	v_not_b32_e32 v2, v2
	v_ashrrev_i32_e32 v2, 31, v2
	v_and_b32_e32 v26, v26, v27
	v_xor_b32_e32 v27, vcc_hi, v2
	v_xor_b32_e32 v2, vcc_lo, v2
	v_and_b32_e32 v25, v25, v2
	v_lshlrev_b32_e32 v2, 28, v3
	v_cmp_gt_i64_e32 vcc, 0, v[1:2]
	v_not_b32_e32 v2, v2
	v_ashrrev_i32_e32 v2, 31, v2
	v_and_b32_e32 v26, v26, v27
	;; [unrolled: 8-line block ×5, first 2 shown]
	v_xor_b32_e32 v27, vcc_hi, v2
	v_xor_b32_e32 v2, vcc_lo, v2
	v_and_b32_e32 v25, v25, v2
	v_lshlrev_b32_e32 v2, 24, v3
	v_cmp_gt_i64_e32 vcc, 0, v[1:2]
	v_not_b32_e32 v1, v2
	v_ashrrev_i32_e32 v1, 31, v1
	v_xor_b32_e32 v2, vcc_hi, v1
	v_xor_b32_e32 v1, vcc_lo, v1
	v_and_b32_e32 v26, v26, v27
	v_and_b32_e32 v1, v25, v1
	v_mul_u32_u24_e32 v4, 36, v3
	v_and_b32_e32 v2, v26, v2
	v_mbcnt_lo_u32_b32 v3, v1, 0
	v_mbcnt_hi_u32_b32 v25, v2, v3
	v_cmp_ne_u64_e32 vcc, 0, v[1:2]
	v_cmp_eq_u32_e64 s[0:1], 0, v25
	s_and_b64 s[2:3], vcc, s[0:1]
	v_add_u32_e32 v27, v20, v4
	; wave barrier
	s_and_saveexec_b64 s[0:1], s[2:3]
	s_cbranch_execz .LBB24_105
; %bb.104:
	v_bcnt_u32_b32 v1, v1, 0
	v_bcnt_u32_b32 v1, v2, v1
	s_waitcnt lgkmcnt(0)
	v_add_u32_e32 v1, v23, v1
	ds_write_b32 v27, v1 offset:32
.LBB24_105:
	s_or_b64 exec, exec, s[0:1]
	v_lshrrev_b32_sdwa v1, s48, v11 dst_sel:DWORD dst_unused:UNUSED_PAD src0_sel:DWORD src1_sel:BYTE_0
	v_and_b32_e32 v3, s12, v1
	v_and_b32_e32 v2, 1, v3
	v_add_co_u32_e32 v28, vcc, -1, v2
	v_addc_co_u32_e64 v29, s[0:1], 0, -1, vcc
	v_cmp_ne_u32_e32 vcc, 0, v2
	v_mad_u32_u24 v1, v3, 36, v20
	v_xor_b32_e32 v2, vcc_hi, v29
	; wave barrier
	ds_read_b32 v26, v1 offset:32
	v_mov_b32_e32 v1, 0
	v_and_b32_e32 v29, exec_hi, v2
	v_lshlrev_b32_e32 v2, 30, v3
	v_xor_b32_e32 v28, vcc_lo, v28
	v_cmp_gt_i64_e32 vcc, 0, v[1:2]
	v_not_b32_e32 v2, v2
	v_ashrrev_i32_e32 v2, 31, v2
	v_and_b32_e32 v28, exec_lo, v28
	v_xor_b32_e32 v30, vcc_hi, v2
	v_xor_b32_e32 v2, vcc_lo, v2
	v_and_b32_e32 v28, v28, v2
	v_lshlrev_b32_e32 v2, 29, v3
	v_cmp_gt_i64_e32 vcc, 0, v[1:2]
	v_not_b32_e32 v2, v2
	v_ashrrev_i32_e32 v2, 31, v2
	v_and_b32_e32 v29, v29, v30
	v_xor_b32_e32 v30, vcc_hi, v2
	v_xor_b32_e32 v2, vcc_lo, v2
	v_and_b32_e32 v28, v28, v2
	v_lshlrev_b32_e32 v2, 28, v3
	v_cmp_gt_i64_e32 vcc, 0, v[1:2]
	v_not_b32_e32 v2, v2
	v_ashrrev_i32_e32 v2, 31, v2
	v_and_b32_e32 v29, v29, v30
	;; [unrolled: 8-line block ×5, first 2 shown]
	v_xor_b32_e32 v30, vcc_hi, v2
	v_xor_b32_e32 v2, vcc_lo, v2
	v_and_b32_e32 v28, v28, v2
	v_lshlrev_b32_e32 v2, 24, v3
	v_cmp_gt_i64_e32 vcc, 0, v[1:2]
	v_not_b32_e32 v2, v2
	v_ashrrev_i32_e32 v2, 31, v2
	v_mul_u32_u24_e32 v4, 36, v3
	v_xor_b32_e32 v3, vcc_hi, v2
	v_xor_b32_e32 v2, vcc_lo, v2
	v_and_b32_e32 v29, v29, v30
	v_and_b32_e32 v2, v28, v2
	;; [unrolled: 1-line block ×3, first 2 shown]
	v_mbcnt_lo_u32_b32 v28, v2, 0
	v_mbcnt_hi_u32_b32 v28, v3, v28
	v_cmp_ne_u64_e32 vcc, 0, v[2:3]
	v_cmp_eq_u32_e64 s[0:1], 0, v28
	s_and_b64 s[2:3], vcc, s[0:1]
	v_add_u32_e32 v30, v20, v4
	; wave barrier
	s_and_saveexec_b64 s[0:1], s[2:3]
	s_cbranch_execz .LBB24_107
; %bb.106:
	v_bcnt_u32_b32 v2, v2, 0
	v_bcnt_u32_b32 v2, v3, v2
	s_waitcnt lgkmcnt(0)
	v_add_u32_e32 v2, v26, v2
	ds_write_b32 v30, v2 offset:32
.LBB24_107:
	s_or_b64 exec, exec, s[0:1]
	v_lshrrev_b32_sdwa v2, s48, v12 dst_sel:DWORD dst_unused:UNUSED_PAD src0_sel:DWORD src1_sel:BYTE_0
	v_and_b32_e32 v3, s12, v2
	v_mad_u32_u24 v2, v3, 36, v20
	; wave barrier
	ds_read_b32 v29, v2 offset:32
	v_and_b32_e32 v2, 1, v3
	v_add_co_u32_e32 v31, vcc, -1, v2
	v_addc_co_u32_e64 v32, s[0:1], 0, -1, vcc
	v_cmp_ne_u32_e32 vcc, 0, v2
	v_xor_b32_e32 v2, vcc_hi, v32
	v_and_b32_e32 v32, exec_hi, v2
	v_lshlrev_b32_e32 v2, 30, v3
	v_xor_b32_e32 v31, vcc_lo, v31
	v_cmp_gt_i64_e32 vcc, 0, v[1:2]
	v_not_b32_e32 v2, v2
	v_ashrrev_i32_e32 v2, 31, v2
	v_and_b32_e32 v31, exec_lo, v31
	v_xor_b32_e32 v33, vcc_hi, v2
	v_xor_b32_e32 v2, vcc_lo, v2
	v_and_b32_e32 v31, v31, v2
	v_lshlrev_b32_e32 v2, 29, v3
	v_cmp_gt_i64_e32 vcc, 0, v[1:2]
	v_not_b32_e32 v2, v2
	v_ashrrev_i32_e32 v2, 31, v2
	v_and_b32_e32 v32, v32, v33
	v_xor_b32_e32 v33, vcc_hi, v2
	v_xor_b32_e32 v2, vcc_lo, v2
	v_and_b32_e32 v31, v31, v2
	v_lshlrev_b32_e32 v2, 28, v3
	v_cmp_gt_i64_e32 vcc, 0, v[1:2]
	v_not_b32_e32 v2, v2
	v_ashrrev_i32_e32 v2, 31, v2
	v_and_b32_e32 v32, v32, v33
	;; [unrolled: 8-line block ×5, first 2 shown]
	v_xor_b32_e32 v33, vcc_hi, v2
	v_xor_b32_e32 v2, vcc_lo, v2
	v_and_b32_e32 v31, v31, v2
	v_lshlrev_b32_e32 v2, 24, v3
	v_cmp_gt_i64_e32 vcc, 0, v[1:2]
	v_not_b32_e32 v1, v2
	v_ashrrev_i32_e32 v1, 31, v1
	v_xor_b32_e32 v2, vcc_hi, v1
	v_xor_b32_e32 v1, vcc_lo, v1
	v_and_b32_e32 v32, v32, v33
	v_and_b32_e32 v1, v31, v1
	v_mul_u32_u24_e32 v4, 36, v3
	v_and_b32_e32 v2, v32, v2
	v_mbcnt_lo_u32_b32 v3, v1, 0
	v_mbcnt_hi_u32_b32 v31, v2, v3
	v_cmp_ne_u64_e32 vcc, 0, v[1:2]
	v_cmp_eq_u32_e64 s[0:1], 0, v31
	s_and_b64 s[2:3], vcc, s[0:1]
	v_add_u32_e32 v20, v20, v4
	; wave barrier
	s_and_saveexec_b64 s[0:1], s[2:3]
	s_cbranch_execz .LBB24_109
; %bb.108:
	v_bcnt_u32_b32 v1, v1, 0
	v_bcnt_u32_b32 v1, v2, v1
	s_waitcnt lgkmcnt(0)
	v_add_u32_e32 v1, v29, v1
	ds_write_b32 v20, v1 offset:32
.LBB24_109:
	s_or_b64 exec, exec, s[0:1]
	; wave barrier
	s_waitcnt lgkmcnt(0)
	s_barrier
	ds_read2_b32 v[3:4], v13 offset0:8 offset1:9
	ds_read2_b32 v[1:2], v13 offset0:10 offset1:11
	ds_read_b32 v32, v13 offset:48
	v_min_u32_e32 v14, 0x1c0, v14
	v_or_b32_e32 v14, 63, v14
	s_waitcnt lgkmcnt(1)
	v_add3_u32 v33, v4, v3, v1
	s_waitcnt lgkmcnt(0)
	v_add3_u32 v32, v33, v2, v32
	v_and_b32_e32 v33, 15, v10
	v_cmp_ne_u32_e32 vcc, 0, v33
	v_mov_b32_dpp v34, v32 row_shr:1 row_mask:0xf bank_mask:0xf
	v_cndmask_b32_e32 v34, 0, v34, vcc
	v_add_u32_e32 v32, v34, v32
	v_cmp_lt_u32_e32 vcc, 1, v33
	s_nop 0
	v_mov_b32_dpp v34, v32 row_shr:2 row_mask:0xf bank_mask:0xf
	v_cndmask_b32_e32 v34, 0, v34, vcc
	v_add_u32_e32 v32, v32, v34
	v_cmp_lt_u32_e32 vcc, 3, v33
	s_nop 0
	;; [unrolled: 5-line block ×3, first 2 shown]
	v_mov_b32_dpp v34, v32 row_shr:8 row_mask:0xf bank_mask:0xf
	v_cndmask_b32_e32 v33, 0, v34, vcc
	v_add_u32_e32 v32, v32, v33
	v_bfe_i32 v34, v10, 4, 1
	v_cmp_lt_u32_e32 vcc, 31, v10
	v_mov_b32_dpp v33, v32 row_bcast:15 row_mask:0xf bank_mask:0xf
	v_and_b32_e32 v33, v34, v33
	v_add_u32_e32 v32, v32, v33
	s_nop 1
	v_mov_b32_dpp v33, v32 row_bcast:31 row_mask:0xf bank_mask:0xf
	v_cndmask_b32_e32 v33, 0, v33, vcc
	v_add_u32_e32 v32, v32, v33
	v_lshrrev_b32_e32 v33, 6, v0
	v_cmp_eq_u32_e32 vcc, v0, v14
	s_and_saveexec_b64 s[0:1], vcc
; %bb.110:
	v_lshlrev_b32_e32 v14, 2, v33
	ds_write_b32 v14, v32
; %bb.111:
	s_or_b64 exec, exec, s[0:1]
	v_cmp_gt_u32_e32 vcc, 8, v0
	s_waitcnt lgkmcnt(0)
	s_barrier
	s_and_saveexec_b64 s[0:1], vcc
	s_cbranch_execz .LBB24_113
; %bb.112:
	v_lshlrev_b32_e32 v14, 2, v0
	ds_read_b32 v34, v14
	v_and_b32_e32 v35, 7, v10
	v_cmp_ne_u32_e32 vcc, 0, v35
	s_waitcnt lgkmcnt(0)
	v_mov_b32_dpp v36, v34 row_shr:1 row_mask:0xf bank_mask:0xf
	v_cndmask_b32_e32 v36, 0, v36, vcc
	v_add_u32_e32 v34, v36, v34
	v_cmp_lt_u32_e32 vcc, 1, v35
	s_nop 0
	v_mov_b32_dpp v36, v34 row_shr:2 row_mask:0xf bank_mask:0xf
	v_cndmask_b32_e32 v36, 0, v36, vcc
	v_add_u32_e32 v34, v34, v36
	v_cmp_lt_u32_e32 vcc, 3, v35
	s_nop 0
	v_mov_b32_dpp v36, v34 row_shr:4 row_mask:0xf bank_mask:0xf
	v_cndmask_b32_e32 v35, 0, v36, vcc
	v_add_u32_e32 v34, v34, v35
	ds_write_b32 v14, v34
.LBB24_113:
	s_or_b64 exec, exec, s[0:1]
	v_cmp_lt_u32_e32 vcc, 63, v0
	v_mov_b32_e32 v14, 0
	s_waitcnt lgkmcnt(0)
	s_barrier
	s_and_saveexec_b64 s[0:1], vcc
; %bb.114:
	v_lshl_add_u32 v14, v33, 2, -4
	ds_read_b32 v14, v14
; %bb.115:
	s_or_b64 exec, exec, s[0:1]
	v_add_u32_e32 v33, -1, v10
	v_and_b32_e32 v34, 64, v10
	v_cmp_lt_i32_e32 vcc, v33, v34
	v_cndmask_b32_e32 v33, v33, v10, vcc
	s_waitcnt lgkmcnt(0)
	v_add_u32_e32 v32, v14, v32
	v_lshlrev_b32_e32 v33, 2, v33
	ds_bpermute_b32 v32, v33, v32
	v_cmp_eq_u32_e32 vcc, 0, v10
	s_movk_i32 s0, 0xff
	s_movk_i32 s2, 0x100
	s_waitcnt lgkmcnt(0)
	v_cndmask_b32_e32 v14, v32, v14, vcc
	v_cmp_ne_u32_e32 vcc, 0, v0
	v_cndmask_b32_e32 v14, 0, v14, vcc
	v_add_u32_e32 v3, v14, v3
	v_add_u32_e32 v4, v3, v4
	;; [unrolled: 1-line block ×4, first 2 shown]
	ds_write2_b32 v13, v14, v3 offset0:8 offset1:9
	ds_write2_b32 v13, v4, v1 offset0:10 offset1:11
	ds_write_b32 v13, v2 offset:48
	s_waitcnt lgkmcnt(0)
	s_barrier
	ds_read_b32 v3, v17 offset:32
	ds_read_b32 v4, v21 offset:32
	ds_read_b32 v14, v24 offset:32
	ds_read_b32 v21, v27 offset:32
	ds_read_b32 v24, v30 offset:32
	ds_read_b32 v27, v20 offset:32
	v_mov_b32_e32 v1, 0
	v_cmp_lt_u32_e32 vcc, s0, v0
	v_mov_b32_e32 v2, 0
	v_cmp_gt_u32_e64 s[0:1], s2, v0
                                        ; implicit-def: $vgpr13
	s_and_saveexec_b64 s[4:5], s[0:1]
	s_cbranch_execz .LBB24_119
; %bb.116:
	v_mul_u32_u24_e32 v1, 36, v0
	ds_read_b32 v1, v1 offset:32
	v_add_u32_e32 v13, 1, v0
	v_cmp_ne_u32_e64 s[2:3], s2, v13
	v_mov_b32_e32 v2, 0xc00
	s_and_saveexec_b64 s[8:9], s[2:3]
; %bb.117:
	v_mul_u32_u24_e32 v2, 36, v13
	ds_read_b32 v2, v2 offset:32
; %bb.118:
	s_or_b64 exec, exec, s[8:9]
	s_waitcnt lgkmcnt(0)
	v_sub_u32_e32 v13, v2, v1
	v_mov_b32_e32 v2, 0
.LBB24_119:
	s_or_b64 exec, exec, s[4:5]
	s_waitcnt lgkmcnt(5)
	v_add_u32_e32 v20, v3, v15
	s_waitcnt lgkmcnt(4)
	v_add3_u32 v18, v18, v16, v4
	s_waitcnt lgkmcnt(3)
	v_add3_u32 v17, v22, v19, v14
	;; [unrolled: 2-line block ×5, first 2 shown]
	s_barrier
	ds_write_b8 v20, v5 offset:2048
	ds_write_b8 v18, v6 offset:2048
	;; [unrolled: 1-line block ×6, first 2 shown]
	v_mov_b32_e32 v4, 0
	v_lshlrev_b32_e32 v11, 3, v0
	s_waitcnt lgkmcnt(0)
	s_barrier
	s_and_saveexec_b64 s[2:3], s[0:1]
	s_cbranch_execz .LBB24_129
; %bb.120:
	v_lshl_add_u32 v3, s6, 8, v0
	v_lshlrev_b64 v[5:6], 2, v[3:4]
	v_mov_b32_e32 v12, s35
	v_add_co_u32_e64 v5, s[0:1], s34, v5
	v_addc_co_u32_e64 v6, s[0:1], v12, v6, s[0:1]
	v_or_b32_e32 v3, 2.0, v13
	s_mov_b64 s[4:5], 0
	s_brev_b32 s13, -4
	s_mov_b32 s14, s6
	v_mov_b32_e32 v19, 0
	global_store_dword v[5:6], v3, off
                                        ; implicit-def: $sgpr0_sgpr1
	s_branch .LBB24_123
.LBB24_121:                             ;   in Loop: Header=BB24_123 Depth=1
	s_or_b64 exec, exec, s[10:11]
.LBB24_122:                             ;   in Loop: Header=BB24_123 Depth=1
	s_or_b64 exec, exec, s[8:9]
	v_and_b32_e32 v7, 0x3fffffff, v3
	v_add_u32_e32 v19, v7, v19
	v_cmp_gt_i32_e64 s[0:1], -2.0, v3
	s_and_b64 s[8:9], exec, s[0:1]
	s_or_b64 s[4:5], s[8:9], s[4:5]
	s_andn2_b64 exec, exec, s[4:5]
	s_cbranch_execz .LBB24_128
.LBB24_123:                             ; =>This Loop Header: Depth=1
                                        ;     Child Loop BB24_126 Depth 2
	s_or_b64 s[0:1], s[0:1], exec
	s_cmp_eq_u32 s14, 0
	s_cbranch_scc1 .LBB24_127
; %bb.124:                              ;   in Loop: Header=BB24_123 Depth=1
	s_add_i32 s14, s14, -1
	v_lshl_or_b32 v3, s14, 8, v0
	v_lshlrev_b64 v[7:8], 2, v[3:4]
	v_add_co_u32_e64 v7, s[0:1], s34, v7
	v_addc_co_u32_e64 v8, s[0:1], v12, v8, s[0:1]
	global_load_dword v3, v[7:8], off glc
	s_waitcnt vmcnt(0)
	v_cmp_gt_u32_e64 s[0:1], 2.0, v3
	s_and_saveexec_b64 s[8:9], s[0:1]
	s_cbranch_execz .LBB24_122
; %bb.125:                              ;   in Loop: Header=BB24_123 Depth=1
	s_mov_b64 s[10:11], 0
.LBB24_126:                             ;   Parent Loop BB24_123 Depth=1
                                        ; =>  This Inner Loop Header: Depth=2
	global_load_dword v3, v[7:8], off glc
	s_waitcnt vmcnt(0)
	v_cmp_lt_u32_e64 s[0:1], s13, v3
	s_or_b64 s[10:11], s[0:1], s[10:11]
	s_andn2_b64 exec, exec, s[10:11]
	s_cbranch_execnz .LBB24_126
	s_branch .LBB24_121
.LBB24_127:                             ;   in Loop: Header=BB24_123 Depth=1
                                        ; implicit-def: $sgpr14
	s_and_b64 s[8:9], exec, s[0:1]
	s_or_b64 s[4:5], s[8:9], s[4:5]
	s_andn2_b64 exec, exec, s[4:5]
	s_cbranch_execnz .LBB24_123
.LBB24_128:
	s_or_b64 exec, exec, s[4:5]
	v_add_u32_e32 v3, v19, v13
	v_or_b32_e32 v3, 0x80000000, v3
	global_store_dword v[5:6], v3, off
	global_load_dwordx2 v[3:4], v11, s[44:45]
	v_sub_co_u32_e64 v5, s[0:1], v19, v1
	v_subb_co_u32_e64 v6, s[0:1], 0, v2, s[0:1]
	s_waitcnt vmcnt(0)
	v_add_co_u32_e64 v3, s[0:1], v5, v3
	v_addc_co_u32_e64 v4, s[0:1], v6, v4, s[0:1]
	ds_write_b64 v11, v[3:4]
.LBB24_129:
	s_or_b64 exec, exec, s[2:3]
	s_waitcnt lgkmcnt(0)
	s_barrier
	ds_read_u8 v12, v0 offset:4096
	ds_read_u8 v19, v0 offset:3072
	;; [unrolled: 1-line block ×5, first 2 shown]
	s_waitcnt lgkmcnt(4)
	v_lshrrev_b32_sdwa v3, s48, v12 dst_sel:DWORD dst_unused:UNUSED_PAD src0_sel:DWORD src1_sel:BYTE_0
	v_and_b32_e32 v3, s12, v3
	v_lshlrev_b32_e32 v30, 3, v3
	s_waitcnt lgkmcnt(1)
	v_lshrrev_b32_sdwa v3, s48, v28 dst_sel:DWORD dst_unused:UNUSED_PAD src0_sel:DWORD src1_sel:BYTE_0
	v_and_b32_e32 v3, s12, v3
	v_lshlrev_b32_e32 v31, 3, v3
	ds_read_u8 v32, v0 offset:2560
	ds_read_b64 v[3:4], v30
	ds_read_b64 v[5:6], v31
	s_waitcnt lgkmcnt(3)
	v_lshrrev_b32_sdwa v7, s48, v29 dst_sel:DWORD dst_unused:UNUSED_PAD src0_sel:DWORD src1_sel:BYTE_0
	v_and_b32_e32 v7, s12, v7
	v_lshlrev_b32_e32 v33, 3, v7
	s_waitcnt lgkmcnt(2)
	v_lshrrev_b32_sdwa v7, s48, v32 dst_sel:DWORD dst_unused:UNUSED_PAD src0_sel:DWORD src1_sel:BYTE_0
	v_and_b32_e32 v7, s12, v7
	v_lshlrev_b32_e32 v35, 3, v7
	v_lshrrev_b32_sdwa v7, s48, v19 dst_sel:DWORD dst_unused:UNUSED_PAD src0_sel:DWORD src1_sel:BYTE_0
	v_and_b32_e32 v7, s12, v7
	v_lshlrev_b32_e32 v36, 3, v7
	;; [unrolled: 3-line block ×3, first 2 shown]
	ds_read_b64 v[7:8], v33
	ds_read_b64 v[21:22], v35
	;; [unrolled: 1-line block ×4, first 2 shown]
	v_mov_b32_e32 v34, s39
	s_waitcnt lgkmcnt(3)
	v_add_co_u32_e64 v7, s[0:1], s38, v7
	v_addc_co_u32_e64 v8, s[0:1], v34, v8, s[0:1]
	v_add_co_u32_e64 v7, s[0:1], v7, v0
	v_addc_co_u32_e64 v8, s[0:1], 0, v8, s[0:1]
	global_store_byte v[7:8], v29, off
	v_mov_b32_e32 v7, s39
	s_waitcnt lgkmcnt(2)
	v_add_co_u32_e64 v8, s[0:1], s38, v21
	v_addc_co_u32_e64 v21, s[0:1], v7, v22, s[0:1]
	v_add_co_u32_e64 v7, s[0:1], v8, v0
	v_addc_co_u32_e64 v8, s[0:1], 0, v21, s[0:1]
	global_store_byte v[7:8], v32, off offset:512
	v_mov_b32_e32 v7, s39
	s_waitcnt lgkmcnt(1)
	v_add_co_u32_e64 v8, s[0:1], s38, v23
	v_addc_co_u32_e64 v21, s[0:1], v7, v24, s[0:1]
	v_add_co_u32_e64 v7, s[0:1], v8, v0
	v_addc_co_u32_e64 v8, s[0:1], 0, v21, s[0:1]
	global_store_byte v[7:8], v19, off offset:1024
	;; [unrolled: 7-line block ×3, first 2 shown]
	v_mov_b32_e32 v7, s39
	v_add_co_u32_e64 v3, s[0:1], s38, v3
	v_addc_co_u32_e64 v4, s[0:1], v7, v4, s[0:1]
	v_add_co_u32_e64 v3, s[0:1], v3, v0
	v_addc_co_u32_e64 v4, s[0:1], 0, v4, s[0:1]
	global_store_byte v[3:4], v12, off offset:2048
	v_mov_b32_e32 v3, s39
	v_add_co_u32_e64 v4, s[0:1], s38, v5
	v_addc_co_u32_e64 v5, s[0:1], v3, v6, s[0:1]
	v_add_co_u32_e64 v3, s[0:1], v4, v0
	v_addc_co_u32_e64 v4, s[0:1], 0, v5, s[0:1]
	s_lshl_b64 s[0:1], s[30:31], 3
	s_add_u32 s0, s40, s0
	global_store_byte v[3:4], v28, off offset:2560
	s_addc_u32 s1, s41, s1
	v_lshlrev_b32_e32 v3, 3, v10
	v_mov_b32_e32 v4, s1
	v_add_co_u32_e64 v3, s[0:1], s0, v3
	v_addc_co_u32_e64 v4, s[0:1], 0, v4, s[0:1]
	v_lshlrev_b32_e32 v5, 3, v9
	v_add_co_u32_e64 v3, s[0:1], v3, v5
	v_addc_co_u32_e64 v4, s[0:1], 0, v4, s[0:1]
	global_load_dwordx2 v[5:6], v[3:4], off
	global_load_dwordx2 v[7:8], v[3:4], off offset:512
	global_load_dwordx2 v[9:10], v[3:4], off offset:1024
	;; [unrolled: 1-line block ×5, first 2 shown]
	v_lshlrev_b32_e32 v3, 3, v20
	s_waitcnt vmcnt(0)
	s_barrier
	v_mad_u32_u24 v0, v0, 7, v0
	v_mov_b32_e32 v12, s43
	s_add_i32 s7, s7, -1
	s_cmp_eq_u32 s6, s7
	ds_write_b64 v3, v[5:6] offset:2048
	v_lshlrev_b32_e32 v3, 3, v18
	ds_write_b64 v3, v[7:8] offset:2048
	v_lshlrev_b32_e32 v3, 3, v17
	;; [unrolled: 2-line block ×5, first 2 shown]
	ds_write_b64 v3, v[25:26] offset:2048
	s_waitcnt lgkmcnt(0)
	s_barrier
	ds_read_b64 v[7:8], v33
	ds_read2st64_b64 v[3:6], v0 offset0:4 offset1:12
	ds_read_b64 v[9:10], v35
	ds_read_b64 v[14:15], v36
	;; [unrolled: 1-line block ×3, first 2 shown]
	s_waitcnt lgkmcnt(4)
	v_lshlrev_b64 v[7:8], 3, v[7:8]
	v_add_co_u32_e64 v7, s[0:1], s42, v7
	v_addc_co_u32_e64 v8, s[0:1], v12, v8, s[0:1]
	v_add_co_u32_e64 v7, s[0:1], v7, v11
	v_addc_co_u32_e64 v8, s[0:1], 0, v8, s[0:1]
	s_waitcnt lgkmcnt(3)
	global_store_dwordx2 v[7:8], v[3:4], off
	s_waitcnt lgkmcnt(2)
	v_lshlrev_b64 v[3:4], 3, v[9:10]
	v_mov_b32_e32 v7, s43
	v_add_co_u32_e64 v3, s[0:1], s42, v3
	v_addc_co_u32_e64 v4, s[0:1], v7, v4, s[0:1]
	v_or_b32_e32 v7, 0x1000, v11
	v_add_co_u32_e64 v3, s[0:1], v3, v7
	v_addc_co_u32_e64 v4, s[0:1], 0, v4, s[0:1]
	s_waitcnt lgkmcnt(1)
	v_lshlrev_b64 v[7:8], 3, v[14:15]
	global_store_dwordx2 v[3:4], v[5:6], off
	ds_read2st64_b64 v[3:6], v0 offset0:20 offset1:28
	v_mov_b32_e32 v9, s43
	v_add_co_u32_e64 v7, s[0:1], s42, v7
	v_addc_co_u32_e64 v8, s[0:1], v9, v8, s[0:1]
	v_or_b32_e32 v9, 0x2000, v11
	v_add_co_u32_e64 v7, s[0:1], v7, v9
	v_addc_co_u32_e64 v8, s[0:1], 0, v8, s[0:1]
	s_waitcnt lgkmcnt(0)
	global_store_dwordx2 v[7:8], v[3:4], off
	v_lshlrev_b64 v[3:4], 3, v[16:17]
	v_mov_b32_e32 v7, s43
	v_add_co_u32_e64 v3, s[0:1], s42, v3
	v_addc_co_u32_e64 v4, s[0:1], v7, v4, s[0:1]
	ds_read_b64 v[7:8], v30
	v_or_b32_e32 v9, 0x3000, v11
	v_add_co_u32_e64 v3, s[0:1], v3, v9
	v_addc_co_u32_e64 v4, s[0:1], 0, v4, s[0:1]
	global_store_dwordx2 v[3:4], v[5:6], off
	s_waitcnt lgkmcnt(0)
	v_lshlrev_b64 v[7:8], 3, v[7:8]
	ds_read2st64_b64 v[3:6], v0 offset0:36 offset1:44
	ds_read_b64 v[9:10], v31
	v_mov_b32_e32 v0, s43
	v_add_co_u32_e64 v7, s[0:1], s42, v7
	v_addc_co_u32_e64 v0, s[0:1], v0, v8, s[0:1]
	v_or_b32_e32 v8, 0x4000, v11
	v_add_co_u32_e64 v7, s[0:1], v7, v8
	v_addc_co_u32_e64 v8, s[0:1], 0, v0, s[0:1]
	s_waitcnt lgkmcnt(1)
	global_store_dwordx2 v[7:8], v[3:4], off
	s_waitcnt lgkmcnt(0)
	v_lshlrev_b64 v[3:4], 3, v[9:10]
	v_mov_b32_e32 v0, s43
	v_add_co_u32_e64 v3, s[0:1], s42, v3
	v_addc_co_u32_e64 v0, s[0:1], v0, v4, s[0:1]
	v_or_b32_e32 v4, 0x5000, v11
	v_add_co_u32_e64 v3, s[0:1], v3, v4
	v_addc_co_u32_e64 v4, s[0:1], 0, v0, s[0:1]
	s_cselect_b64 s[0:1], -1, 0
	s_xor_b64 s[2:3], vcc, -1
	s_and_b64 s[0:1], s[2:3], s[0:1]
	global_store_dwordx2 v[3:4], v[5:6], off
	s_and_saveexec_b64 s[2:3], s[0:1]
	s_cbranch_execz .LBB24_131
; %bb.130:
	ds_read_b64 v[3:4], v11
	v_add_co_u32_e32 v0, vcc, v1, v13
	v_addc_co_u32_e32 v1, vcc, 0, v2, vcc
	s_waitcnt lgkmcnt(0)
	v_add_co_u32_e32 v0, vcc, v0, v3
	v_addc_co_u32_e32 v1, vcc, v1, v4, vcc
	global_store_dwordx2 v11, v[0:1], s[46:47]
.LBB24_131:
	s_endpgm
	.section	.rodata,"a",@progbits
	.p2align	6, 0x0
	.amdhsa_kernel _ZN7rocprim17ROCPRIM_304000_NS6detail25onesweep_iteration_kernelINS1_34wrapped_radix_sort_onesweep_configINS0_14default_configEhN2at4cuda3cub6detail10OpaqueTypeILi8EEEEELb0EPKhPhPKSA_PSA_mNS0_19identity_decomposerEEEvT1_T2_T3_T4_jPT5_SO_PNS1_23onesweep_lookback_stateET6_jjj
		.amdhsa_group_segment_fixed_size 26624
		.amdhsa_private_segment_fixed_size 0
		.amdhsa_kernarg_size 336
		.amdhsa_user_sgpr_count 6
		.amdhsa_user_sgpr_private_segment_buffer 1
		.amdhsa_user_sgpr_dispatch_ptr 0
		.amdhsa_user_sgpr_queue_ptr 0
		.amdhsa_user_sgpr_kernarg_segment_ptr 1
		.amdhsa_user_sgpr_dispatch_id 0
		.amdhsa_user_sgpr_flat_scratch_init 0
		.amdhsa_user_sgpr_private_segment_size 0
		.amdhsa_uses_dynamic_stack 0
		.amdhsa_system_sgpr_private_segment_wavefront_offset 0
		.amdhsa_system_sgpr_workgroup_id_x 1
		.amdhsa_system_sgpr_workgroup_id_y 0
		.amdhsa_system_sgpr_workgroup_id_z 0
		.amdhsa_system_sgpr_workgroup_info 0
		.amdhsa_system_vgpr_workitem_id 2
		.amdhsa_next_free_vgpr 49
		.amdhsa_next_free_sgpr 98
		.amdhsa_reserve_vcc 1
		.amdhsa_reserve_flat_scratch 0
		.amdhsa_float_round_mode_32 0
		.amdhsa_float_round_mode_16_64 0
		.amdhsa_float_denorm_mode_32 3
		.amdhsa_float_denorm_mode_16_64 3
		.amdhsa_dx10_clamp 1
		.amdhsa_ieee_mode 1
		.amdhsa_fp16_overflow 0
		.amdhsa_exception_fp_ieee_invalid_op 0
		.amdhsa_exception_fp_denorm_src 0
		.amdhsa_exception_fp_ieee_div_zero 0
		.amdhsa_exception_fp_ieee_overflow 0
		.amdhsa_exception_fp_ieee_underflow 0
		.amdhsa_exception_fp_ieee_inexact 0
		.amdhsa_exception_int_div_zero 0
	.end_amdhsa_kernel
	.section	.text._ZN7rocprim17ROCPRIM_304000_NS6detail25onesweep_iteration_kernelINS1_34wrapped_radix_sort_onesweep_configINS0_14default_configEhN2at4cuda3cub6detail10OpaqueTypeILi8EEEEELb0EPKhPhPKSA_PSA_mNS0_19identity_decomposerEEEvT1_T2_T3_T4_jPT5_SO_PNS1_23onesweep_lookback_stateET6_jjj,"axG",@progbits,_ZN7rocprim17ROCPRIM_304000_NS6detail25onesweep_iteration_kernelINS1_34wrapped_radix_sort_onesweep_configINS0_14default_configEhN2at4cuda3cub6detail10OpaqueTypeILi8EEEEELb0EPKhPhPKSA_PSA_mNS0_19identity_decomposerEEEvT1_T2_T3_T4_jPT5_SO_PNS1_23onesweep_lookback_stateET6_jjj,comdat
.Lfunc_end24:
	.size	_ZN7rocprim17ROCPRIM_304000_NS6detail25onesweep_iteration_kernelINS1_34wrapped_radix_sort_onesweep_configINS0_14default_configEhN2at4cuda3cub6detail10OpaqueTypeILi8EEEEELb0EPKhPhPKSA_PSA_mNS0_19identity_decomposerEEEvT1_T2_T3_T4_jPT5_SO_PNS1_23onesweep_lookback_stateET6_jjj, .Lfunc_end24-_ZN7rocprim17ROCPRIM_304000_NS6detail25onesweep_iteration_kernelINS1_34wrapped_radix_sort_onesweep_configINS0_14default_configEhN2at4cuda3cub6detail10OpaqueTypeILi8EEEEELb0EPKhPhPKSA_PSA_mNS0_19identity_decomposerEEEvT1_T2_T3_T4_jPT5_SO_PNS1_23onesweep_lookback_stateET6_jjj
                                        ; -- End function
	.set _ZN7rocprim17ROCPRIM_304000_NS6detail25onesweep_iteration_kernelINS1_34wrapped_radix_sort_onesweep_configINS0_14default_configEhN2at4cuda3cub6detail10OpaqueTypeILi8EEEEELb0EPKhPhPKSA_PSA_mNS0_19identity_decomposerEEEvT1_T2_T3_T4_jPT5_SO_PNS1_23onesweep_lookback_stateET6_jjj.num_vgpr, 40
	.set _ZN7rocprim17ROCPRIM_304000_NS6detail25onesweep_iteration_kernelINS1_34wrapped_radix_sort_onesweep_configINS0_14default_configEhN2at4cuda3cub6detail10OpaqueTypeILi8EEEEELb0EPKhPhPKSA_PSA_mNS0_19identity_decomposerEEEvT1_T2_T3_T4_jPT5_SO_PNS1_23onesweep_lookback_stateET6_jjj.num_agpr, 0
	.set _ZN7rocprim17ROCPRIM_304000_NS6detail25onesweep_iteration_kernelINS1_34wrapped_radix_sort_onesweep_configINS0_14default_configEhN2at4cuda3cub6detail10OpaqueTypeILi8EEEEELb0EPKhPhPKSA_PSA_mNS0_19identity_decomposerEEEvT1_T2_T3_T4_jPT5_SO_PNS1_23onesweep_lookback_stateET6_jjj.numbered_sgpr, 52
	.set _ZN7rocprim17ROCPRIM_304000_NS6detail25onesweep_iteration_kernelINS1_34wrapped_radix_sort_onesweep_configINS0_14default_configEhN2at4cuda3cub6detail10OpaqueTypeILi8EEEEELb0EPKhPhPKSA_PSA_mNS0_19identity_decomposerEEEvT1_T2_T3_T4_jPT5_SO_PNS1_23onesweep_lookback_stateET6_jjj.num_named_barrier, 0
	.set _ZN7rocprim17ROCPRIM_304000_NS6detail25onesweep_iteration_kernelINS1_34wrapped_radix_sort_onesweep_configINS0_14default_configEhN2at4cuda3cub6detail10OpaqueTypeILi8EEEEELb0EPKhPhPKSA_PSA_mNS0_19identity_decomposerEEEvT1_T2_T3_T4_jPT5_SO_PNS1_23onesweep_lookback_stateET6_jjj.private_seg_size, 0
	.set _ZN7rocprim17ROCPRIM_304000_NS6detail25onesweep_iteration_kernelINS1_34wrapped_radix_sort_onesweep_configINS0_14default_configEhN2at4cuda3cub6detail10OpaqueTypeILi8EEEEELb0EPKhPhPKSA_PSA_mNS0_19identity_decomposerEEEvT1_T2_T3_T4_jPT5_SO_PNS1_23onesweep_lookback_stateET6_jjj.uses_vcc, 1
	.set _ZN7rocprim17ROCPRIM_304000_NS6detail25onesweep_iteration_kernelINS1_34wrapped_radix_sort_onesweep_configINS0_14default_configEhN2at4cuda3cub6detail10OpaqueTypeILi8EEEEELb0EPKhPhPKSA_PSA_mNS0_19identity_decomposerEEEvT1_T2_T3_T4_jPT5_SO_PNS1_23onesweep_lookback_stateET6_jjj.uses_flat_scratch, 0
	.set _ZN7rocprim17ROCPRIM_304000_NS6detail25onesweep_iteration_kernelINS1_34wrapped_radix_sort_onesweep_configINS0_14default_configEhN2at4cuda3cub6detail10OpaqueTypeILi8EEEEELb0EPKhPhPKSA_PSA_mNS0_19identity_decomposerEEEvT1_T2_T3_T4_jPT5_SO_PNS1_23onesweep_lookback_stateET6_jjj.has_dyn_sized_stack, 0
	.set _ZN7rocprim17ROCPRIM_304000_NS6detail25onesweep_iteration_kernelINS1_34wrapped_radix_sort_onesweep_configINS0_14default_configEhN2at4cuda3cub6detail10OpaqueTypeILi8EEEEELb0EPKhPhPKSA_PSA_mNS0_19identity_decomposerEEEvT1_T2_T3_T4_jPT5_SO_PNS1_23onesweep_lookback_stateET6_jjj.has_recursion, 0
	.set _ZN7rocprim17ROCPRIM_304000_NS6detail25onesweep_iteration_kernelINS1_34wrapped_radix_sort_onesweep_configINS0_14default_configEhN2at4cuda3cub6detail10OpaqueTypeILi8EEEEELb0EPKhPhPKSA_PSA_mNS0_19identity_decomposerEEEvT1_T2_T3_T4_jPT5_SO_PNS1_23onesweep_lookback_stateET6_jjj.has_indirect_call, 0
	.section	.AMDGPU.csdata,"",@progbits
; Kernel info:
; codeLenInByte = 10944
; TotalNumSgprs: 56
; NumVgprs: 40
; ScratchSize: 0
; MemoryBound: 0
; FloatMode: 240
; IeeeMode: 1
; LDSByteSize: 26624 bytes/workgroup (compile time only)
; SGPRBlocks: 12
; VGPRBlocks: 12
; NumSGPRsForWavesPerEU: 102
; NumVGPRsForWavesPerEU: 49
; Occupancy: 4
; WaveLimiterHint : 1
; COMPUTE_PGM_RSRC2:SCRATCH_EN: 0
; COMPUTE_PGM_RSRC2:USER_SGPR: 6
; COMPUTE_PGM_RSRC2:TRAP_HANDLER: 0
; COMPUTE_PGM_RSRC2:TGID_X_EN: 1
; COMPUTE_PGM_RSRC2:TGID_Y_EN: 0
; COMPUTE_PGM_RSRC2:TGID_Z_EN: 0
; COMPUTE_PGM_RSRC2:TIDIG_COMP_CNT: 2
	.section	.text._ZN7rocprim17ROCPRIM_304000_NS6detail25onesweep_iteration_kernelINS1_34wrapped_radix_sort_onesweep_configINS0_14default_configEhN2at4cuda3cub6detail10OpaqueTypeILi8EEEEELb0EPhSC_PSA_SD_mNS0_19identity_decomposerEEEvT1_T2_T3_T4_jPT5_SK_PNS1_23onesweep_lookback_stateET6_jjj,"axG",@progbits,_ZN7rocprim17ROCPRIM_304000_NS6detail25onesweep_iteration_kernelINS1_34wrapped_radix_sort_onesweep_configINS0_14default_configEhN2at4cuda3cub6detail10OpaqueTypeILi8EEEEELb0EPhSC_PSA_SD_mNS0_19identity_decomposerEEEvT1_T2_T3_T4_jPT5_SK_PNS1_23onesweep_lookback_stateET6_jjj,comdat
	.protected	_ZN7rocprim17ROCPRIM_304000_NS6detail25onesweep_iteration_kernelINS1_34wrapped_radix_sort_onesweep_configINS0_14default_configEhN2at4cuda3cub6detail10OpaqueTypeILi8EEEEELb0EPhSC_PSA_SD_mNS0_19identity_decomposerEEEvT1_T2_T3_T4_jPT5_SK_PNS1_23onesweep_lookback_stateET6_jjj ; -- Begin function _ZN7rocprim17ROCPRIM_304000_NS6detail25onesweep_iteration_kernelINS1_34wrapped_radix_sort_onesweep_configINS0_14default_configEhN2at4cuda3cub6detail10OpaqueTypeILi8EEEEELb0EPhSC_PSA_SD_mNS0_19identity_decomposerEEEvT1_T2_T3_T4_jPT5_SK_PNS1_23onesweep_lookback_stateET6_jjj
	.globl	_ZN7rocprim17ROCPRIM_304000_NS6detail25onesweep_iteration_kernelINS1_34wrapped_radix_sort_onesweep_configINS0_14default_configEhN2at4cuda3cub6detail10OpaqueTypeILi8EEEEELb0EPhSC_PSA_SD_mNS0_19identity_decomposerEEEvT1_T2_T3_T4_jPT5_SK_PNS1_23onesweep_lookback_stateET6_jjj
	.p2align	8
	.type	_ZN7rocprim17ROCPRIM_304000_NS6detail25onesweep_iteration_kernelINS1_34wrapped_radix_sort_onesweep_configINS0_14default_configEhN2at4cuda3cub6detail10OpaqueTypeILi8EEEEELb0EPhSC_PSA_SD_mNS0_19identity_decomposerEEEvT1_T2_T3_T4_jPT5_SK_PNS1_23onesweep_lookback_stateET6_jjj,@function
_ZN7rocprim17ROCPRIM_304000_NS6detail25onesweep_iteration_kernelINS1_34wrapped_radix_sort_onesweep_configINS0_14default_configEhN2at4cuda3cub6detail10OpaqueTypeILi8EEEEELb0EPhSC_PSA_SD_mNS0_19identity_decomposerEEEvT1_T2_T3_T4_jPT5_SK_PNS1_23onesweep_lookback_stateET6_jjj: ; @_ZN7rocprim17ROCPRIM_304000_NS6detail25onesweep_iteration_kernelINS1_34wrapped_radix_sort_onesweep_configINS0_14default_configEhN2at4cuda3cub6detail10OpaqueTypeILi8EEEEELb0EPhSC_PSA_SD_mNS0_19identity_decomposerEEEvT1_T2_T3_T4_jPT5_SK_PNS1_23onesweep_lookback_stateET6_jjj
; %bb.0:
	s_load_dwordx4 s[48:51], s[4:5], 0x44
	s_load_dwordx8 s[36:43], s[4:5], 0x0
	s_load_dwordx4 s[44:47], s[4:5], 0x28
	s_load_dwordx2 s[34:35], s[4:5], 0x38
	s_mov_b64 s[0:1], -1
	s_waitcnt lgkmcnt(0)
	s_cmp_ge_u32 s6, s50
	s_mul_i32 s30, s6, 0xc00
	v_mbcnt_lo_u32_b32 v19, -1, 0
	s_cbranch_scc0 .LBB25_96
; %bb.1:
	s_load_dword s0, s[4:5], 0x20
	s_mulk_i32 s50, 0xf400
	v_mbcnt_hi_u32_b32 v12, -1, v19
	v_and_b32_e32 v15, 0x1c0, v0
	v_mul_u32_u24_e32 v11, 6, v15
	s_waitcnt lgkmcnt(0)
	s_add_i32 s50, s50, s0
	s_add_u32 s0, s36, s30
	s_addc_u32 s1, s37, 0
	v_mov_b32_e32 v3, s1
	v_add_co_u32_e32 v4, vcc, s0, v12
	v_addc_co_u32_e32 v5, vcc, 0, v3, vcc
	v_add_co_u32_e32 v3, vcc, v4, v11
	v_addc_co_u32_e32 v4, vcc, 0, v5, vcc
	v_or_b32_e32 v6, v12, v11
	s_mov_b32 s31, 0
	v_cmp_gt_u32_e32 vcc, s50, v6
	v_mov_b32_e32 v5, 0xff
	v_mov_b32_e32 v7, 0xff
	;; [unrolled: 1-line block ×3, first 2 shown]
	s_and_saveexec_b64 s[0:1], vcc
	s_cbranch_execz .LBB25_3
; %bb.2:
	global_load_ubyte v8, v[3:4], off
	s_waitcnt vmcnt(0)
	v_and_b32_e32 v5, 0xff, v8
.LBB25_3:
	s_or_b64 exec, exec, s[0:1]
	v_add_u32_e32 v9, 64, v6
	v_cmp_gt_u32_e64 s[0:1], s50, v9
	v_mov_b32_e32 v18, 0xff
	s_and_saveexec_b64 s[2:3], s[0:1]
	s_cbranch_execz .LBB25_5
; %bb.4:
	global_load_ubyte v7, v[3:4], off offset:64
	s_waitcnt vmcnt(0)
	v_and_b32_e32 v18, 0xff, v7
.LBB25_5:
	s_or_b64 exec, exec, s[2:3]
	v_add_u32_e32 v9, 0x80, v6
	v_cmp_gt_u32_e64 s[2:3], s50, v9
	v_mov_b32_e32 v22, 0xff
	v_mov_b32_e32 v9, 0xff
	;; [unrolled: 1-line block ×3, first 2 shown]
	s_and_saveexec_b64 s[8:9], s[2:3]
	s_cbranch_execz .LBB25_7
; %bb.6:
	global_load_ubyte v10, v[3:4], off offset:128
	s_waitcnt vmcnt(0)
	v_and_b32_e32 v22, 0xff, v10
.LBB25_7:
	s_or_b64 exec, exec, s[8:9]
	v_add_u32_e32 v13, 0xc0, v6
	v_cmp_gt_u32_e64 s[26:27], s50, v13
	v_mov_b32_e32 v27, 0xff
	s_and_saveexec_b64 s[8:9], s[26:27]
	s_cbranch_execz .LBB25_9
; %bb.8:
	global_load_ubyte v9, v[3:4], off offset:192
	s_waitcnt vmcnt(0)
	v_and_b32_e32 v27, 0xff, v9
.LBB25_9:
	s_or_b64 exec, exec, s[8:9]
	v_add_u32_e32 v13, 0x100, v6
	v_cmp_gt_u32_e64 s[8:9], s50, v13
	v_mov_b32_e32 v23, 0xff
	v_mov_b32_e32 v13, 0xff
	;; [unrolled: 1-line block ×3, first 2 shown]
	s_and_saveexec_b64 s[10:11], s[8:9]
	s_cbranch_execz .LBB25_11
; %bb.10:
	global_load_ubyte v14, v[3:4], off offset:256
	s_waitcnt vmcnt(0)
	v_and_b32_e32 v23, 0xff, v14
.LBB25_11:
	s_or_b64 exec, exec, s[10:11]
	v_add_u32_e32 v6, 0x140, v6
	v_cmp_gt_u32_e64 s[10:11], s50, v6
	v_mov_b32_e32 v6, 0xff
	s_and_saveexec_b64 s[12:13], s[10:11]
	s_cbranch_execz .LBB25_13
; %bb.12:
	global_load_ubyte v13, v[3:4], off offset:320
	s_waitcnt vmcnt(0)
	v_and_b32_e32 v6, 0xff, v13
.LBB25_13:
	s_or_b64 exec, exec, s[12:13]
	s_load_dword s12, s[4:5], 0x5c
	s_load_dword s7, s[4:5], 0x50
	s_add_u32 s13, s4, 0x50
	s_addc_u32 s14, s5, 0
	v_mov_b32_e32 v3, 0
	s_waitcnt lgkmcnt(0)
	s_lshr_b32 s15, s12, 16
	s_cmp_lt_u32 s6, s7
	s_cselect_b32 s12, 12, 18
	s_add_u32 s12, s13, s12
	s_addc_u32 s13, s14, 0
	global_load_ushort v17, v3, s[12:13]
	s_lshl_b32 s12, -1, s49
	v_lshrrev_b32_e32 v4, s48, v5
	s_not_b32 s33, s12
	v_and_b32_e32 v20, s33, v4
	v_and_b32_e32 v21, 1, v20
	v_add_co_u32_e64 v25, s[12:13], -1, v21
	v_lshlrev_b32_e32 v4, 30, v20
	v_addc_co_u32_e64 v26, s[12:13], 0, -1, s[12:13]
	v_mad_u32_u24 v5, v2, s15, v1
	v_cmp_ne_u32_e64 s[12:13], 0, v21
	v_cmp_gt_i64_e64 s[14:15], 0, v[3:4]
	v_not_b32_e32 v21, v4
	v_lshlrev_b32_e32 v4, 29, v20
	v_xor_b32_e32 v26, s13, v26
	v_xor_b32_e32 v25, s12, v25
	v_ashrrev_i32_e32 v21, 31, v21
	v_cmp_gt_i64_e64 s[12:13], 0, v[3:4]
	v_not_b32_e32 v28, v4
	v_lshlrev_b32_e32 v4, 28, v20
	v_and_b32_e32 v26, exec_hi, v26
	v_and_b32_e32 v25, exec_lo, v25
	v_xor_b32_e32 v29, s15, v21
	v_xor_b32_e32 v21, s14, v21
	v_ashrrev_i32_e32 v28, 31, v28
	v_cmp_gt_i64_e64 s[14:15], 0, v[3:4]
	v_not_b32_e32 v30, v4
	v_lshlrev_b32_e32 v4, 27, v20
	v_and_b32_e32 v26, v26, v29
	v_and_b32_e32 v21, v25, v21
	v_xor_b32_e32 v25, s13, v28
	v_xor_b32_e32 v28, s12, v28
	v_ashrrev_i32_e32 v29, 31, v30
	v_cmp_gt_i64_e64 s[12:13], 0, v[3:4]
	v_not_b32_e32 v30, v4
	v_lshlrev_b32_e32 v4, 26, v20
	v_and_b32_e32 v25, v26, v25
	v_and_b32_e32 v21, v21, v28
	;; [unrolled: 8-line block ×3, first 2 shown]
	v_xor_b32_e32 v26, s13, v29
	v_xor_b32_e32 v28, s12, v29
	v_ashrrev_i32_e32 v29, 31, v30
	v_cmp_gt_i64_e64 s[12:13], 0, v[3:4]
	v_not_b32_e32 v30, v4
	v_mul_u32_u24_e32 v24, 36, v20
	v_lshlrev_b32_e32 v4, 24, v20
	v_and_b32_e32 v20, v25, v26
	v_and_b32_e32 v21, v21, v28
	v_xor_b32_e32 v25, s15, v29
	v_xor_b32_e32 v26, s14, v29
	v_ashrrev_i32_e32 v28, 31, v30
	v_and_b32_e32 v20, v20, v25
	v_and_b32_e32 v21, v21, v26
	v_xor_b32_e32 v25, s13, v28
	v_xor_b32_e32 v26, s12, v28
	v_and_b32_e32 v25, v20, v25
	v_and_b32_e32 v26, v21, v26
	v_cmp_gt_i64_e64 s[14:15], 0, v[3:4]
	v_not_b32_e32 v4, v4
	v_ashrrev_i32_e32 v4, 31, v4
	v_xor_b32_e32 v28, s15, v4
	v_xor_b32_e32 v4, s14, v4
	v_and_b32_e32 v4, v26, v4
	v_mul_u32_u24_e32 v16, 20, v0
	ds_write2_b32 v16, v3, v3 offset0:8 offset1:9
	ds_write2_b32 v16, v3, v3 offset0:10 offset1:11
	ds_write_b32 v16, v3 offset:48
	s_waitcnt vmcnt(0) lgkmcnt(0)
	s_barrier
	; wave barrier
	v_mad_u64_u32 v[20:21], s[12:13], v5, v17, v[0:1]
	v_and_b32_e32 v5, v25, v28
	v_cmp_ne_u64_e64 s[12:13], 0, v[4:5]
	v_lshrrev_b32_e32 v17, 4, v20
	v_and_b32_e32 v25, 0xffffffc, v17
	v_mbcnt_lo_u32_b32 v17, v4, 0
	v_mbcnt_hi_u32_b32 v17, v5, v17
	v_cmp_eq_u32_e64 s[14:15], 0, v17
	s_and_b64 s[14:15], s[12:13], s[14:15]
	v_add_u32_e32 v20, v25, v24
	s_and_saveexec_b64 s[12:13], s[14:15]
; %bb.14:
	v_bcnt_u32_b32 v4, v4, 0
	v_bcnt_u32_b32 v4, v5, v4
	ds_write_b32 v20, v4 offset:32
; %bb.15:
	s_or_b64 exec, exec, s[12:13]
	v_lshrrev_b32_e32 v4, s48, v18
	v_and_b32_e32 v5, s33, v4
	v_mad_u32_u24 v4, v5, 36, v25
	; wave barrier
	ds_read_b32 v18, v4 offset:32
	v_and_b32_e32 v4, 1, v5
	v_add_co_u32_e64 v21, s[12:13], -1, v4
	v_addc_co_u32_e64 v26, s[12:13], 0, -1, s[12:13]
	v_cmp_ne_u32_e64 s[12:13], 0, v4
	v_xor_b32_e32 v4, s13, v26
	v_and_b32_e32 v26, exec_hi, v4
	v_lshlrev_b32_e32 v4, 30, v5
	v_xor_b32_e32 v21, s12, v21
	v_cmp_gt_i64_e64 s[12:13], 0, v[3:4]
	v_not_b32_e32 v4, v4
	v_ashrrev_i32_e32 v4, 31, v4
	v_and_b32_e32 v21, exec_lo, v21
	v_xor_b32_e32 v28, s13, v4
	v_xor_b32_e32 v4, s12, v4
	v_and_b32_e32 v21, v21, v4
	v_lshlrev_b32_e32 v4, 29, v5
	v_cmp_gt_i64_e64 s[12:13], 0, v[3:4]
	v_not_b32_e32 v4, v4
	v_ashrrev_i32_e32 v4, 31, v4
	v_and_b32_e32 v26, v26, v28
	v_xor_b32_e32 v28, s13, v4
	v_xor_b32_e32 v4, s12, v4
	v_and_b32_e32 v21, v21, v4
	v_lshlrev_b32_e32 v4, 28, v5
	v_cmp_gt_i64_e64 s[12:13], 0, v[3:4]
	v_not_b32_e32 v4, v4
	v_ashrrev_i32_e32 v4, 31, v4
	v_and_b32_e32 v26, v26, v28
	v_xor_b32_e32 v28, s13, v4
	v_xor_b32_e32 v4, s12, v4
	v_and_b32_e32 v21, v21, v4
	v_lshlrev_b32_e32 v4, 27, v5
	v_cmp_gt_i64_e64 s[12:13], 0, v[3:4]
	v_not_b32_e32 v4, v4
	v_ashrrev_i32_e32 v4, 31, v4
	v_and_b32_e32 v26, v26, v28
	v_xor_b32_e32 v28, s13, v4
	v_xor_b32_e32 v4, s12, v4
	v_and_b32_e32 v21, v21, v4
	v_lshlrev_b32_e32 v4, 26, v5
	v_cmp_gt_i64_e64 s[12:13], 0, v[3:4]
	v_not_b32_e32 v4, v4
	v_ashrrev_i32_e32 v4, 31, v4
	v_and_b32_e32 v26, v26, v28
	v_xor_b32_e32 v28, s13, v4
	v_xor_b32_e32 v4, s12, v4
	v_and_b32_e32 v21, v21, v4
	v_lshlrev_b32_e32 v4, 25, v5
	v_cmp_gt_i64_e64 s[12:13], 0, v[3:4]
	v_not_b32_e32 v4, v4
	v_ashrrev_i32_e32 v4, 31, v4
	v_and_b32_e32 v26, v26, v28
	v_xor_b32_e32 v28, s13, v4
	v_xor_b32_e32 v4, s12, v4
	v_and_b32_e32 v21, v21, v4
	v_lshlrev_b32_e32 v4, 24, v5
	v_cmp_gt_i64_e64 s[12:13], 0, v[3:4]
	v_not_b32_e32 v3, v4
	v_ashrrev_i32_e32 v3, 31, v3
	v_xor_b32_e32 v4, s13, v3
	v_xor_b32_e32 v3, s12, v3
	v_and_b32_e32 v26, v26, v28
	v_and_b32_e32 v3, v21, v3
	v_mul_u32_u24_e32 v24, 36, v5
	v_and_b32_e32 v4, v26, v4
	v_mbcnt_lo_u32_b32 v5, v3, 0
	v_mbcnt_hi_u32_b32 v21, v4, v5
	v_cmp_ne_u64_e64 s[12:13], 0, v[3:4]
	v_cmp_eq_u32_e64 s[14:15], 0, v21
	s_and_b64 s[14:15], s[12:13], s[14:15]
	v_add_u32_e32 v24, v25, v24
	; wave barrier
	s_and_saveexec_b64 s[12:13], s[14:15]
	s_cbranch_execz .LBB25_17
; %bb.16:
	v_bcnt_u32_b32 v3, v3, 0
	v_bcnt_u32_b32 v3, v4, v3
	s_waitcnt lgkmcnt(0)
	v_add_u32_e32 v3, v18, v3
	ds_write_b32 v24, v3 offset:32
.LBB25_17:
	s_or_b64 exec, exec, s[12:13]
	v_lshrrev_b32_e32 v3, s48, v22
	v_and_b32_e32 v5, s33, v3
	v_and_b32_e32 v4, 1, v5
	v_add_co_u32_e64 v26, s[12:13], -1, v4
	v_addc_co_u32_e64 v29, s[12:13], 0, -1, s[12:13]
	v_cmp_ne_u32_e64 s[12:13], 0, v4
	v_mad_u32_u24 v3, v5, 36, v25
	v_xor_b32_e32 v4, s13, v29
	; wave barrier
	ds_read_b32 v22, v3 offset:32
	v_mov_b32_e32 v3, 0
	v_and_b32_e32 v29, exec_hi, v4
	v_lshlrev_b32_e32 v4, 30, v5
	v_xor_b32_e32 v26, s12, v26
	v_cmp_gt_i64_e64 s[12:13], 0, v[3:4]
	v_not_b32_e32 v4, v4
	v_ashrrev_i32_e32 v4, 31, v4
	v_and_b32_e32 v26, exec_lo, v26
	v_xor_b32_e32 v30, s13, v4
	v_xor_b32_e32 v4, s12, v4
	v_and_b32_e32 v26, v26, v4
	v_lshlrev_b32_e32 v4, 29, v5
	v_cmp_gt_i64_e64 s[12:13], 0, v[3:4]
	v_not_b32_e32 v4, v4
	v_ashrrev_i32_e32 v4, 31, v4
	v_and_b32_e32 v29, v29, v30
	v_xor_b32_e32 v30, s13, v4
	v_xor_b32_e32 v4, s12, v4
	v_and_b32_e32 v26, v26, v4
	v_lshlrev_b32_e32 v4, 28, v5
	v_cmp_gt_i64_e64 s[12:13], 0, v[3:4]
	v_not_b32_e32 v4, v4
	v_ashrrev_i32_e32 v4, 31, v4
	v_and_b32_e32 v29, v29, v30
	;; [unrolled: 8-line block ×5, first 2 shown]
	v_xor_b32_e32 v30, s13, v4
	v_xor_b32_e32 v4, s12, v4
	v_and_b32_e32 v26, v26, v4
	v_lshlrev_b32_e32 v4, 24, v5
	v_cmp_gt_i64_e64 s[12:13], 0, v[3:4]
	v_not_b32_e32 v4, v4
	v_ashrrev_i32_e32 v4, 31, v4
	v_mul_u32_u24_e32 v28, 36, v5
	v_xor_b32_e32 v5, s13, v4
	v_xor_b32_e32 v4, s12, v4
	v_and_b32_e32 v29, v29, v30
	v_and_b32_e32 v4, v26, v4
	;; [unrolled: 1-line block ×3, first 2 shown]
	v_mbcnt_lo_u32_b32 v26, v4, 0
	v_mbcnt_hi_u32_b32 v26, v5, v26
	v_cmp_ne_u64_e64 s[12:13], 0, v[4:5]
	v_cmp_eq_u32_e64 s[14:15], 0, v26
	s_and_b64 s[14:15], s[12:13], s[14:15]
	v_add_u32_e32 v28, v25, v28
	; wave barrier
	s_and_saveexec_b64 s[12:13], s[14:15]
	s_cbranch_execz .LBB25_19
; %bb.18:
	v_bcnt_u32_b32 v4, v4, 0
	v_bcnt_u32_b32 v4, v5, v4
	s_waitcnt lgkmcnt(0)
	v_add_u32_e32 v4, v22, v4
	ds_write_b32 v28, v4 offset:32
.LBB25_19:
	s_or_b64 exec, exec, s[12:13]
	v_lshrrev_b32_e32 v4, s48, v27
	v_and_b32_e32 v5, s33, v4
	v_mad_u32_u24 v4, v5, 36, v25
	; wave barrier
	ds_read_b32 v27, v4 offset:32
	v_and_b32_e32 v4, 1, v5
	v_add_co_u32_e64 v30, s[12:13], -1, v4
	v_addc_co_u32_e64 v31, s[12:13], 0, -1, s[12:13]
	v_cmp_ne_u32_e64 s[12:13], 0, v4
	v_xor_b32_e32 v4, s13, v31
	v_and_b32_e32 v31, exec_hi, v4
	v_lshlrev_b32_e32 v4, 30, v5
	v_xor_b32_e32 v30, s12, v30
	v_cmp_gt_i64_e64 s[12:13], 0, v[3:4]
	v_not_b32_e32 v4, v4
	v_ashrrev_i32_e32 v4, 31, v4
	v_and_b32_e32 v30, exec_lo, v30
	v_xor_b32_e32 v32, s13, v4
	v_xor_b32_e32 v4, s12, v4
	v_and_b32_e32 v30, v30, v4
	v_lshlrev_b32_e32 v4, 29, v5
	v_cmp_gt_i64_e64 s[12:13], 0, v[3:4]
	v_not_b32_e32 v4, v4
	v_ashrrev_i32_e32 v4, 31, v4
	v_and_b32_e32 v31, v31, v32
	v_xor_b32_e32 v32, s13, v4
	v_xor_b32_e32 v4, s12, v4
	v_and_b32_e32 v30, v30, v4
	v_lshlrev_b32_e32 v4, 28, v5
	v_cmp_gt_i64_e64 s[12:13], 0, v[3:4]
	v_not_b32_e32 v4, v4
	v_ashrrev_i32_e32 v4, 31, v4
	v_and_b32_e32 v31, v31, v32
	;; [unrolled: 8-line block ×5, first 2 shown]
	v_xor_b32_e32 v32, s13, v4
	v_xor_b32_e32 v4, s12, v4
	v_and_b32_e32 v30, v30, v4
	v_lshlrev_b32_e32 v4, 24, v5
	v_cmp_gt_i64_e64 s[12:13], 0, v[3:4]
	v_not_b32_e32 v3, v4
	v_ashrrev_i32_e32 v3, 31, v3
	v_xor_b32_e32 v4, s13, v3
	v_xor_b32_e32 v3, s12, v3
	v_and_b32_e32 v31, v31, v32
	v_and_b32_e32 v3, v30, v3
	v_mul_u32_u24_e32 v29, 36, v5
	v_and_b32_e32 v4, v31, v4
	v_mbcnt_lo_u32_b32 v5, v3, 0
	v_mbcnt_hi_u32_b32 v30, v4, v5
	v_cmp_ne_u64_e64 s[12:13], 0, v[3:4]
	v_cmp_eq_u32_e64 s[14:15], 0, v30
	s_and_b64 s[14:15], s[12:13], s[14:15]
	v_add_u32_e32 v29, v25, v29
	; wave barrier
	s_and_saveexec_b64 s[12:13], s[14:15]
	s_cbranch_execz .LBB25_21
; %bb.20:
	v_bcnt_u32_b32 v3, v3, 0
	v_bcnt_u32_b32 v3, v4, v3
	s_waitcnt lgkmcnt(0)
	v_add_u32_e32 v3, v27, v3
	ds_write_b32 v29, v3 offset:32
.LBB25_21:
	s_or_b64 exec, exec, s[12:13]
	v_lshrrev_b32_e32 v3, s48, v23
	v_and_b32_e32 v5, s33, v3
	v_and_b32_e32 v4, 1, v5
	v_add_co_u32_e64 v31, s[12:13], -1, v4
	v_addc_co_u32_e64 v33, s[12:13], 0, -1, s[12:13]
	v_cmp_ne_u32_e64 s[12:13], 0, v4
	v_mad_u32_u24 v3, v5, 36, v25
	v_xor_b32_e32 v4, s13, v33
	; wave barrier
	ds_read_b32 v23, v3 offset:32
	v_mov_b32_e32 v3, 0
	v_and_b32_e32 v33, exec_hi, v4
	v_lshlrev_b32_e32 v4, 30, v5
	v_xor_b32_e32 v31, s12, v31
	v_cmp_gt_i64_e64 s[12:13], 0, v[3:4]
	v_not_b32_e32 v4, v4
	v_ashrrev_i32_e32 v4, 31, v4
	v_and_b32_e32 v31, exec_lo, v31
	v_xor_b32_e32 v34, s13, v4
	v_xor_b32_e32 v4, s12, v4
	v_and_b32_e32 v31, v31, v4
	v_lshlrev_b32_e32 v4, 29, v5
	v_cmp_gt_i64_e64 s[12:13], 0, v[3:4]
	v_not_b32_e32 v4, v4
	v_ashrrev_i32_e32 v4, 31, v4
	v_and_b32_e32 v33, v33, v34
	v_xor_b32_e32 v34, s13, v4
	v_xor_b32_e32 v4, s12, v4
	v_and_b32_e32 v31, v31, v4
	v_lshlrev_b32_e32 v4, 28, v5
	v_cmp_gt_i64_e64 s[12:13], 0, v[3:4]
	v_not_b32_e32 v4, v4
	v_ashrrev_i32_e32 v4, 31, v4
	v_and_b32_e32 v33, v33, v34
	;; [unrolled: 8-line block ×5, first 2 shown]
	v_xor_b32_e32 v34, s13, v4
	v_xor_b32_e32 v4, s12, v4
	v_and_b32_e32 v31, v31, v4
	v_lshlrev_b32_e32 v4, 24, v5
	v_cmp_gt_i64_e64 s[12:13], 0, v[3:4]
	v_not_b32_e32 v4, v4
	v_ashrrev_i32_e32 v4, 31, v4
	v_mul_u32_u24_e32 v32, 36, v5
	v_xor_b32_e32 v5, s13, v4
	v_xor_b32_e32 v4, s12, v4
	v_and_b32_e32 v33, v33, v34
	v_and_b32_e32 v4, v31, v4
	;; [unrolled: 1-line block ×3, first 2 shown]
	v_mbcnt_lo_u32_b32 v31, v4, 0
	v_mbcnt_hi_u32_b32 v31, v5, v31
	v_cmp_ne_u64_e64 s[12:13], 0, v[4:5]
	v_cmp_eq_u32_e64 s[14:15], 0, v31
	s_and_b64 s[14:15], s[12:13], s[14:15]
	v_add_u32_e32 v33, v25, v32
	; wave barrier
	s_and_saveexec_b64 s[12:13], s[14:15]
	s_cbranch_execz .LBB25_23
; %bb.22:
	v_bcnt_u32_b32 v4, v4, 0
	v_bcnt_u32_b32 v4, v5, v4
	s_waitcnt lgkmcnt(0)
	v_add_u32_e32 v4, v23, v4
	ds_write_b32 v33, v4 offset:32
.LBB25_23:
	s_or_b64 exec, exec, s[12:13]
	v_lshrrev_b32_e32 v4, s48, v6
	v_and_b32_e32 v5, s33, v4
	v_mad_u32_u24 v4, v5, 36, v25
	; wave barrier
	ds_read_b32 v32, v4 offset:32
	v_and_b32_e32 v4, 1, v5
	v_add_co_u32_e64 v34, s[12:13], -1, v4
	v_addc_co_u32_e64 v35, s[12:13], 0, -1, s[12:13]
	v_cmp_ne_u32_e64 s[12:13], 0, v4
	v_xor_b32_e32 v4, s13, v35
	v_and_b32_e32 v35, exec_hi, v4
	v_lshlrev_b32_e32 v4, 30, v5
	v_xor_b32_e32 v34, s12, v34
	v_cmp_gt_i64_e64 s[12:13], 0, v[3:4]
	v_not_b32_e32 v4, v4
	v_ashrrev_i32_e32 v4, 31, v4
	v_and_b32_e32 v34, exec_lo, v34
	v_xor_b32_e32 v36, s13, v4
	v_xor_b32_e32 v4, s12, v4
	v_and_b32_e32 v34, v34, v4
	v_lshlrev_b32_e32 v4, 29, v5
	v_cmp_gt_i64_e64 s[12:13], 0, v[3:4]
	v_not_b32_e32 v4, v4
	v_ashrrev_i32_e32 v4, 31, v4
	v_and_b32_e32 v35, v35, v36
	v_xor_b32_e32 v36, s13, v4
	v_xor_b32_e32 v4, s12, v4
	v_and_b32_e32 v34, v34, v4
	v_lshlrev_b32_e32 v4, 28, v5
	v_cmp_gt_i64_e64 s[12:13], 0, v[3:4]
	v_not_b32_e32 v4, v4
	v_ashrrev_i32_e32 v4, 31, v4
	v_and_b32_e32 v35, v35, v36
	;; [unrolled: 8-line block ×5, first 2 shown]
	v_xor_b32_e32 v36, s13, v4
	v_xor_b32_e32 v4, s12, v4
	v_and_b32_e32 v34, v34, v4
	v_lshlrev_b32_e32 v4, 24, v5
	v_cmp_gt_i64_e64 s[12:13], 0, v[3:4]
	v_not_b32_e32 v3, v4
	v_ashrrev_i32_e32 v3, 31, v3
	v_xor_b32_e32 v4, s13, v3
	v_xor_b32_e32 v3, s12, v3
	v_and_b32_e32 v35, v35, v36
	v_and_b32_e32 v3, v34, v3
	v_mul_u32_u24_e32 v6, 36, v5
	v_and_b32_e32 v4, v35, v4
	v_mbcnt_lo_u32_b32 v5, v3, 0
	v_mbcnt_hi_u32_b32 v34, v4, v5
	v_cmp_ne_u64_e64 s[12:13], 0, v[3:4]
	v_cmp_eq_u32_e64 s[14:15], 0, v34
	s_and_b64 s[14:15], s[12:13], s[14:15]
	v_add_u32_e32 v25, v25, v6
	; wave barrier
	s_and_saveexec_b64 s[12:13], s[14:15]
	s_cbranch_execz .LBB25_25
; %bb.24:
	v_bcnt_u32_b32 v3, v3, 0
	v_bcnt_u32_b32 v3, v4, v3
	s_waitcnt lgkmcnt(0)
	v_add_u32_e32 v3, v32, v3
	ds_write_b32 v25, v3 offset:32
.LBB25_25:
	s_or_b64 exec, exec, s[12:13]
	; wave barrier
	s_waitcnt lgkmcnt(0)
	s_barrier
	ds_read2_b32 v[5:6], v16 offset0:8 offset1:9
	ds_read2_b32 v[3:4], v16 offset0:10 offset1:11
	ds_read_b32 v35, v16 offset:48
	v_min_u32_e32 v15, 0x1c0, v15
	v_or_b32_e32 v15, 63, v15
	s_waitcnt lgkmcnt(1)
	v_add3_u32 v36, v6, v5, v3
	s_waitcnt lgkmcnt(0)
	v_add3_u32 v35, v36, v4, v35
	v_and_b32_e32 v36, 15, v12
	v_cmp_ne_u32_e64 s[12:13], 0, v36
	v_mov_b32_dpp v37, v35 row_shr:1 row_mask:0xf bank_mask:0xf
	v_cndmask_b32_e64 v37, 0, v37, s[12:13]
	v_add_u32_e32 v35, v37, v35
	v_cmp_lt_u32_e64 s[12:13], 1, v36
	s_nop 0
	v_mov_b32_dpp v37, v35 row_shr:2 row_mask:0xf bank_mask:0xf
	v_cndmask_b32_e64 v37, 0, v37, s[12:13]
	v_add_u32_e32 v35, v35, v37
	v_cmp_lt_u32_e64 s[12:13], 3, v36
	s_nop 0
	;; [unrolled: 5-line block ×3, first 2 shown]
	v_mov_b32_dpp v37, v35 row_shr:8 row_mask:0xf bank_mask:0xf
	v_cndmask_b32_e64 v36, 0, v37, s[12:13]
	v_add_u32_e32 v35, v35, v36
	v_bfe_i32 v37, v12, 4, 1
	v_cmp_lt_u32_e64 s[12:13], 31, v12
	v_mov_b32_dpp v36, v35 row_bcast:15 row_mask:0xf bank_mask:0xf
	v_and_b32_e32 v36, v37, v36
	v_add_u32_e32 v35, v35, v36
	s_nop 1
	v_mov_b32_dpp v36, v35 row_bcast:31 row_mask:0xf bank_mask:0xf
	v_cndmask_b32_e64 v36, 0, v36, s[12:13]
	v_add_u32_e32 v35, v35, v36
	v_lshrrev_b32_e32 v36, 6, v0
	v_cmp_eq_u32_e64 s[12:13], v0, v15
	s_and_saveexec_b64 s[14:15], s[12:13]
; %bb.26:
	v_lshlrev_b32_e32 v15, 2, v36
	ds_write_b32 v15, v35
; %bb.27:
	s_or_b64 exec, exec, s[14:15]
	v_cmp_gt_u32_e64 s[12:13], 8, v0
	s_waitcnt lgkmcnt(0)
	s_barrier
	s_and_saveexec_b64 s[14:15], s[12:13]
	s_cbranch_execz .LBB25_29
; %bb.28:
	v_lshlrev_b32_e32 v15, 2, v0
	ds_read_b32 v37, v15
	v_and_b32_e32 v38, 7, v12
	v_cmp_ne_u32_e64 s[12:13], 0, v38
	s_waitcnt lgkmcnt(0)
	v_mov_b32_dpp v39, v37 row_shr:1 row_mask:0xf bank_mask:0xf
	v_cndmask_b32_e64 v39, 0, v39, s[12:13]
	v_add_u32_e32 v37, v39, v37
	v_cmp_lt_u32_e64 s[12:13], 1, v38
	s_nop 0
	v_mov_b32_dpp v39, v37 row_shr:2 row_mask:0xf bank_mask:0xf
	v_cndmask_b32_e64 v39, 0, v39, s[12:13]
	v_add_u32_e32 v37, v37, v39
	v_cmp_lt_u32_e64 s[12:13], 3, v38
	s_nop 0
	v_mov_b32_dpp v39, v37 row_shr:4 row_mask:0xf bank_mask:0xf
	v_cndmask_b32_e64 v38, 0, v39, s[12:13]
	v_add_u32_e32 v37, v37, v38
	ds_write_b32 v15, v37
.LBB25_29:
	s_or_b64 exec, exec, s[14:15]
	v_cmp_lt_u32_e64 s[12:13], 63, v0
	v_mov_b32_e32 v15, 0
	s_waitcnt lgkmcnt(0)
	s_barrier
	s_and_saveexec_b64 s[14:15], s[12:13]
; %bb.30:
	v_lshl_add_u32 v15, v36, 2, -4
	ds_read_b32 v15, v15
; %bb.31:
	s_or_b64 exec, exec, s[14:15]
	v_add_u32_e32 v36, -1, v12
	v_and_b32_e32 v37, 64, v12
	v_cmp_lt_i32_e64 s[12:13], v36, v37
	v_cndmask_b32_e64 v36, v36, v12, s[12:13]
	s_waitcnt lgkmcnt(0)
	v_add_u32_e32 v35, v15, v35
	v_lshlrev_b32_e32 v36, 2, v36
	ds_bpermute_b32 v35, v36, v35
	v_cmp_eq_u32_e64 s[12:13], 0, v12
	s_movk_i32 s16, 0x100
	v_cmp_gt_u32_e64 s[14:15], s16, v0
	s_waitcnt lgkmcnt(0)
	v_cndmask_b32_e64 v15, v35, v15, s[12:13]
	v_cmp_ne_u32_e64 s[12:13], 0, v0
	v_cndmask_b32_e64 v15, 0, v15, s[12:13]
	v_add_u32_e32 v5, v15, v5
	v_add_u32_e32 v6, v5, v6
	;; [unrolled: 1-line block ×4, first 2 shown]
	ds_write2_b32 v16, v15, v5 offset0:8 offset1:9
	ds_write2_b32 v16, v6, v3 offset0:10 offset1:11
	ds_write_b32 v16, v4 offset:48
	s_waitcnt lgkmcnt(0)
	s_barrier
	ds_read_b32 v5, v20 offset:32
	ds_read_b32 v6, v24 offset:32
	;; [unrolled: 1-line block ×6, first 2 shown]
	s_movk_i32 s12, 0xff
	v_mov_b32_e32 v3, 0
	v_cmp_lt_u32_e64 s[12:13], s12, v0
	v_mov_b32_e32 v4, 0
                                        ; implicit-def: $vgpr20
	s_and_saveexec_b64 s[18:19], s[14:15]
	s_cbranch_execz .LBB25_35
; %bb.32:
	v_mul_u32_u24_e32 v3, 36, v0
	ds_read_b32 v3, v3 offset:32
	v_add_u32_e32 v20, 1, v0
	v_cmp_ne_u32_e64 s[16:17], s16, v20
	v_mov_b32_e32 v4, 0xc00
	s_and_saveexec_b64 s[20:21], s[16:17]
; %bb.33:
	v_mul_u32_u24_e32 v4, 36, v20
	ds_read_b32 v4, v4 offset:32
; %bb.34:
	s_or_b64 exec, exec, s[20:21]
	s_waitcnt lgkmcnt(0)
	v_sub_u32_e32 v20, v4, v3
	v_mov_b32_e32 v4, 0
.LBB25_35:
	s_or_b64 exec, exec, s[18:19]
	s_waitcnt lgkmcnt(5)
	v_add_u32_e32 v29, v5, v17
	s_waitcnt lgkmcnt(4)
	v_add3_u32 v28, v21, v18, v6
	s_waitcnt lgkmcnt(3)
	v_add3_u32 v25, v26, v22, v15
	;; [unrolled: 2-line block ×5, first 2 shown]
	v_mov_b32_e32 v6, 0
	v_lshlrev_b32_e32 v21, 3, v0
	s_barrier
	ds_write_b8 v29, v8 offset:2048
	ds_write_b8 v28, v7 offset:2048
	;; [unrolled: 1-line block ×6, first 2 shown]
	s_waitcnt lgkmcnt(0)
	s_barrier
	s_and_saveexec_b64 s[16:17], s[14:15]
	s_cbranch_execz .LBB25_45
; %bb.36:
	v_lshl_add_u32 v5, s6, 8, v0
	v_lshlrev_b64 v[7:8], 2, v[5:6]
	v_mov_b32_e32 v13, s35
	v_add_co_u32_e64 v7, s[14:15], s34, v7
	v_addc_co_u32_e64 v8, s[14:15], v13, v8, s[14:15]
	v_or_b32_e32 v5, 2.0, v20
	s_mov_b64 s[18:19], 0
	s_brev_b32 s24, -4
	s_mov_b32 s25, s6
	v_mov_b32_e32 v14, 0
	global_store_dword v[7:8], v5, off
                                        ; implicit-def: $sgpr14_sgpr15
	s_branch .LBB25_39
.LBB25_37:                              ;   in Loop: Header=BB25_39 Depth=1
	s_or_b64 exec, exec, s[22:23]
.LBB25_38:                              ;   in Loop: Header=BB25_39 Depth=1
	s_or_b64 exec, exec, s[20:21]
	v_and_b32_e32 v9, 0x3fffffff, v5
	v_add_u32_e32 v14, v9, v14
	v_cmp_gt_i32_e64 s[14:15], -2.0, v5
	s_and_b64 s[20:21], exec, s[14:15]
	s_or_b64 s[18:19], s[20:21], s[18:19]
	s_andn2_b64 exec, exec, s[18:19]
	s_cbranch_execz .LBB25_44
.LBB25_39:                              ; =>This Loop Header: Depth=1
                                        ;     Child Loop BB25_42 Depth 2
	s_or_b64 s[14:15], s[14:15], exec
	s_cmp_eq_u32 s25, 0
	s_cbranch_scc1 .LBB25_43
; %bb.40:                               ;   in Loop: Header=BB25_39 Depth=1
	s_add_i32 s25, s25, -1
	v_lshl_or_b32 v5, s25, 8, v0
	v_lshlrev_b64 v[9:10], 2, v[5:6]
	v_add_co_u32_e64 v9, s[14:15], s34, v9
	v_addc_co_u32_e64 v10, s[14:15], v13, v10, s[14:15]
	global_load_dword v5, v[9:10], off glc
	s_waitcnt vmcnt(0)
	v_cmp_gt_u32_e64 s[14:15], 2.0, v5
	s_and_saveexec_b64 s[20:21], s[14:15]
	s_cbranch_execz .LBB25_38
; %bb.41:                               ;   in Loop: Header=BB25_39 Depth=1
	s_mov_b64 s[22:23], 0
.LBB25_42:                              ;   Parent Loop BB25_39 Depth=1
                                        ; =>  This Inner Loop Header: Depth=2
	global_load_dword v5, v[9:10], off glc
	s_waitcnt vmcnt(0)
	v_cmp_lt_u32_e64 s[14:15], s24, v5
	s_or_b64 s[22:23], s[14:15], s[22:23]
	s_andn2_b64 exec, exec, s[22:23]
	s_cbranch_execnz .LBB25_42
	s_branch .LBB25_37
.LBB25_43:                              ;   in Loop: Header=BB25_39 Depth=1
                                        ; implicit-def: $sgpr25
	s_and_b64 s[20:21], exec, s[14:15]
	s_or_b64 s[18:19], s[20:21], s[18:19]
	s_andn2_b64 exec, exec, s[18:19]
	s_cbranch_execnz .LBB25_39
.LBB25_44:
	s_or_b64 exec, exec, s[18:19]
	v_add_u32_e32 v5, v14, v20
	v_or_b32_e32 v5, 0x80000000, v5
	global_store_dword v[7:8], v5, off
	global_load_dwordx2 v[5:6], v21, s[44:45]
	v_sub_co_u32_e64 v7, s[14:15], v14, v3
	v_subb_co_u32_e64 v8, s[14:15], 0, v4, s[14:15]
	s_waitcnt vmcnt(0)
	v_add_co_u32_e64 v5, s[14:15], v7, v5
	v_addc_co_u32_e64 v6, s[14:15], v8, v6, s[14:15]
	ds_write_b64 v21, v[5:6]
.LBB25_45:
	s_or_b64 exec, exec, s[16:17]
	v_cmp_gt_u32_e64 s[14:15], s50, v0
	s_waitcnt lgkmcnt(0)
	s_barrier
	s_and_saveexec_b64 s[18:19], s[14:15]
	s_cbranch_execz .LBB25_47
; %bb.46:
	ds_read_u8 v7, v0 offset:2048
	v_mov_b32_e32 v8, s39
	s_waitcnt lgkmcnt(0)
	v_lshrrev_b32_sdwa v5, s48, v7 dst_sel:DWORD dst_unused:UNUSED_PAD src0_sel:DWORD src1_sel:BYTE_0
	v_and_b32_e32 v5, s33, v5
	v_lshlrev_b32_e32 v5, 3, v5
	ds_read_b64 v[5:6], v5
	s_waitcnt lgkmcnt(0)
	v_add_co_u32_e64 v5, s[16:17], s38, v5
	v_addc_co_u32_e64 v6, s[16:17], v8, v6, s[16:17]
	v_add_co_u32_e64 v5, s[16:17], v5, v0
	v_addc_co_u32_e64 v6, s[16:17], 0, v6, s[16:17]
	global_store_byte v[5:6], v7, off
.LBB25_47:
	s_or_b64 exec, exec, s[18:19]
	v_or_b32_e32 v26, 0x200, v0
	v_cmp_gt_u32_e64 s[16:17], s50, v26
	s_and_saveexec_b64 s[20:21], s[16:17]
	s_cbranch_execz .LBB25_49
; %bb.48:
	ds_read_u8 v7, v0 offset:2560
	v_mov_b32_e32 v8, s39
	s_waitcnt lgkmcnt(0)
	v_lshrrev_b32_sdwa v5, s48, v7 dst_sel:DWORD dst_unused:UNUSED_PAD src0_sel:DWORD src1_sel:BYTE_0
	v_and_b32_e32 v5, s33, v5
	v_lshlrev_b32_e32 v5, 3, v5
	ds_read_b64 v[5:6], v5
	s_waitcnt lgkmcnt(0)
	v_add_co_u32_e64 v5, s[18:19], s38, v5
	v_addc_co_u32_e64 v6, s[18:19], v8, v6, s[18:19]
	v_add_co_u32_e64 v5, s[18:19], v5, v0
	v_addc_co_u32_e64 v6, s[18:19], 0, v6, s[18:19]
	global_store_byte v[5:6], v7, off offset:512
.LBB25_49:
	s_or_b64 exec, exec, s[20:21]
	v_or_b32_e32 v27, 0x400, v0
	v_cmp_gt_u32_e64 s[18:19], s50, v27
	s_and_saveexec_b64 s[22:23], s[18:19]
	s_cbranch_execz .LBB25_51
; %bb.50:
	ds_read_u8 v7, v0 offset:3072
	v_mov_b32_e32 v8, s39
	s_waitcnt lgkmcnt(0)
	v_lshrrev_b32_sdwa v5, s48, v7 dst_sel:DWORD dst_unused:UNUSED_PAD src0_sel:DWORD src1_sel:BYTE_0
	v_and_b32_e32 v5, s33, v5
	v_lshlrev_b32_e32 v5, 3, v5
	ds_read_b64 v[5:6], v5
	s_waitcnt lgkmcnt(0)
	v_add_co_u32_e64 v5, s[20:21], s38, v5
	v_addc_co_u32_e64 v6, s[20:21], v8, v6, s[20:21]
	v_add_co_u32_e64 v5, s[20:21], v5, v0
	v_addc_co_u32_e64 v6, s[20:21], 0, v6, s[20:21]
	global_store_byte v[5:6], v7, off offset:1024
.LBB25_51:
	;; [unrolled: 20-line block ×5, first 2 shown]
	s_or_b64 exec, exec, s[50:51]
	s_lshl_b64 s[28:29], s[30:31], 3
	s_add_u32 s28, s40, s28
	s_addc_u32 s29, s41, s29
	v_lshlrev_b32_e32 v5, 3, v12
	v_mov_b32_e32 v6, s29
	v_add_co_u32_e64 v5, s[28:29], s28, v5
	v_addc_co_u32_e64 v6, s[28:29], 0, v6, s[28:29]
	v_lshlrev_b32_e32 v7, 3, v11
	v_add_co_u32_e64 v17, s[28:29], v5, v7
	v_addc_co_u32_e64 v18, s[28:29], 0, v6, s[28:29]
                                        ; implicit-def: $vgpr5_vgpr6
	s_and_saveexec_b64 s[28:29], vcc
	s_xor_b64 s[28:29], exec, s[28:29]
	s_cbranch_execz .LBB25_63
; %bb.58:
	global_load_dwordx2 v[5:6], v[17:18], off
	s_or_b64 exec, exec, s[28:29]
                                        ; implicit-def: $vgpr7_vgpr8
	s_and_saveexec_b64 s[28:29], s[0:1]
	s_cbranch_execnz .LBB25_64
.LBB25_59:
	s_or_b64 exec, exec, s[28:29]
                                        ; implicit-def: $vgpr9_vgpr10
	s_and_saveexec_b64 s[0:1], s[2:3]
	s_cbranch_execz .LBB25_65
.LBB25_60:
	global_load_dwordx2 v[9:10], v[17:18], off offset:1024
	s_or_b64 exec, exec, s[0:1]
                                        ; implicit-def: $vgpr11_vgpr12
	s_and_saveexec_b64 s[0:1], s[26:27]
	s_cbranch_execnz .LBB25_66
.LBB25_61:
	s_or_b64 exec, exec, s[0:1]
                                        ; implicit-def: $vgpr13_vgpr14
	s_and_saveexec_b64 s[0:1], s[8:9]
	s_cbranch_execz .LBB25_67
.LBB25_62:
	global_load_dwordx2 v[13:14], v[17:18], off offset:2048
	s_or_b64 exec, exec, s[0:1]
                                        ; implicit-def: $vgpr15_vgpr16
	s_and_saveexec_b64 s[0:1], s[10:11]
	s_cbranch_execnz .LBB25_68
	s_branch .LBB25_69
.LBB25_63:
	s_or_b64 exec, exec, s[28:29]
                                        ; implicit-def: $vgpr7_vgpr8
	s_and_saveexec_b64 s[28:29], s[0:1]
	s_cbranch_execz .LBB25_59
.LBB25_64:
	global_load_dwordx2 v[7:8], v[17:18], off offset:512
	s_or_b64 exec, exec, s[28:29]
                                        ; implicit-def: $vgpr9_vgpr10
	s_and_saveexec_b64 s[0:1], s[2:3]
	s_cbranch_execnz .LBB25_60
.LBB25_65:
	s_or_b64 exec, exec, s[0:1]
                                        ; implicit-def: $vgpr11_vgpr12
	s_and_saveexec_b64 s[0:1], s[26:27]
	s_cbranch_execz .LBB25_61
.LBB25_66:
	global_load_dwordx2 v[11:12], v[17:18], off offset:1536
	s_or_b64 exec, exec, s[0:1]
                                        ; implicit-def: $vgpr13_vgpr14
	s_and_saveexec_b64 s[0:1], s[8:9]
	s_cbranch_execnz .LBB25_62
.LBB25_67:
	s_or_b64 exec, exec, s[0:1]
                                        ; implicit-def: $vgpr15_vgpr16
	s_and_saveexec_b64 s[0:1], s[10:11]
	s_cbranch_execz .LBB25_69
.LBB25_68:
	global_load_dwordx2 v[15:16], v[17:18], off offset:2560
.LBB25_69:
	s_or_b64 exec, exec, s[0:1]
	v_mov_b32_e32 v34, 0
	v_mov_b32_e32 v36, 0
	s_and_saveexec_b64 s[0:1], s[14:15]
	s_cbranch_execz .LBB25_71
; %bb.70:
	ds_read_u8 v17, v0 offset:2048
	s_waitcnt lgkmcnt(0)
	v_lshrrev_b32_e32 v17, s48, v17
	v_and_b32_e32 v36, s33, v17
.LBB25_71:
	s_or_b64 exec, exec, s[0:1]
	s_and_saveexec_b64 s[0:1], s[16:17]
	s_cbranch_execz .LBB25_73
; %bb.72:
	ds_read_u8 v17, v0 offset:2560
	s_waitcnt lgkmcnt(0)
	v_lshrrev_b32_e32 v17, s48, v17
	v_and_b32_e32 v34, s33, v17
.LBB25_73:
	s_or_b64 exec, exec, s[0:1]
	v_mov_b32_e32 v18, 0
	v_mov_b32_e32 v35, 0
	s_and_saveexec_b64 s[0:1], s[18:19]
	s_cbranch_execz .LBB25_75
; %bb.74:
	ds_read_u8 v17, v0 offset:3072
	s_waitcnt lgkmcnt(0)
	v_lshrrev_b32_e32 v17, s48, v17
	v_and_b32_e32 v35, s33, v17
.LBB25_75:
	s_or_b64 exec, exec, s[0:1]
	s_and_saveexec_b64 s[0:1], s[20:21]
	s_cbranch_execz .LBB25_77
; %bb.76:
	ds_read_u8 v17, v0 offset:3584
	s_waitcnt lgkmcnt(0)
	v_lshrrev_b32_e32 v17, s48, v17
	v_and_b32_e32 v18, s33, v17
.LBB25_77:
	s_or_b64 exec, exec, s[0:1]
	v_mov_b32_e32 v17, 0
	v_mov_b32_e32 v33, 0
	s_and_saveexec_b64 s[0:1], s[22:23]
	s_cbranch_execz .LBB25_79
; %bb.78:
	ds_read_u8 v33, v0 offset:4096
	s_waitcnt lgkmcnt(0)
	v_lshrrev_b32_e32 v33, s48, v33
	v_and_b32_e32 v33, s33, v33
.LBB25_79:
	s_or_b64 exec, exec, s[0:1]
	s_and_saveexec_b64 s[0:1], s[24:25]
	s_cbranch_execz .LBB25_81
; %bb.80:
	ds_read_u8 v17, v0 offset:4608
	s_waitcnt lgkmcnt(0)
	v_lshrrev_b32_e32 v17, s48, v17
	v_and_b32_e32 v17, s33, v17
.LBB25_81:
	s_or_b64 exec, exec, s[0:1]
	v_lshlrev_b32_e32 v29, 3, v29
	s_waitcnt vmcnt(0)
	s_barrier
	ds_write_b64 v29, v[5:6] offset:2048
	v_lshlrev_b32_e32 v5, 3, v28
	ds_write_b64 v5, v[7:8] offset:2048
	v_lshlrev_b32_e32 v5, 3, v25
	;; [unrolled: 2-line block ×5, first 2 shown]
	ds_write_b64 v5, v[15:16] offset:2048
	s_waitcnt lgkmcnt(0)
	s_barrier
	s_and_saveexec_b64 s[0:1], s[14:15]
	s_cbranch_execz .LBB25_87
; %bb.82:
	v_lshlrev_b32_e32 v5, 3, v36
	ds_read_b64 v[5:6], v5
	ds_read_b64 v[7:8], v21 offset:2048
	v_mov_b32_e32 v9, s43
	s_waitcnt lgkmcnt(1)
	v_lshlrev_b64 v[5:6], 3, v[5:6]
	v_add_co_u32_e32 v5, vcc, s42, v5
	v_addc_co_u32_e32 v6, vcc, v9, v6, vcc
	v_add_co_u32_e32 v5, vcc, v5, v21
	v_addc_co_u32_e32 v6, vcc, 0, v6, vcc
	s_waitcnt lgkmcnt(0)
	global_store_dwordx2 v[5:6], v[7:8], off
	s_or_b64 exec, exec, s[0:1]
	s_and_saveexec_b64 s[0:1], s[16:17]
	s_cbranch_execnz .LBB25_88
.LBB25_83:
	s_or_b64 exec, exec, s[0:1]
	s_and_saveexec_b64 s[0:1], s[18:19]
	s_cbranch_execz .LBB25_89
.LBB25_84:
	v_lshlrev_b32_e32 v5, 3, v35
	ds_read_b64 v[5:6], v5
	ds_read_b64 v[7:8], v21 offset:10240
	v_mov_b32_e32 v9, s43
	s_waitcnt lgkmcnt(1)
	v_lshlrev_b64 v[5:6], 3, v[5:6]
	v_add_co_u32_e32 v5, vcc, s42, v5
	v_addc_co_u32_e32 v6, vcc, v9, v6, vcc
	v_lshlrev_b32_e32 v9, 3, v27
	v_add_co_u32_e32 v5, vcc, v5, v9
	v_addc_co_u32_e32 v6, vcc, 0, v6, vcc
	s_waitcnt lgkmcnt(0)
	global_store_dwordx2 v[5:6], v[7:8], off
	s_or_b64 exec, exec, s[0:1]
	s_and_saveexec_b64 s[0:1], s[20:21]
	s_cbranch_execnz .LBB25_90
.LBB25_85:
	s_or_b64 exec, exec, s[0:1]
	s_and_saveexec_b64 s[0:1], s[22:23]
	s_cbranch_execz .LBB25_91
.LBB25_86:
	v_lshlrev_b32_e32 v5, 3, v33
	ds_read_b64 v[5:6], v5
	ds_read_b64 v[7:8], v21 offset:18432
	v_mov_b32_e32 v9, s43
	s_waitcnt lgkmcnt(1)
	v_lshlrev_b64 v[5:6], 3, v[5:6]
	v_add_co_u32_e32 v5, vcc, s42, v5
	v_addc_co_u32_e32 v6, vcc, v9, v6, vcc
	v_lshlrev_b32_e32 v9, 3, v31
	v_add_co_u32_e32 v5, vcc, v5, v9
	v_addc_co_u32_e32 v6, vcc, 0, v6, vcc
	s_waitcnt lgkmcnt(0)
	global_store_dwordx2 v[5:6], v[7:8], off
	s_or_b64 exec, exec, s[0:1]
	s_and_saveexec_b64 s[0:1], s[24:25]
	s_cbranch_execnz .LBB25_92
	s_branch .LBB25_93
.LBB25_87:
	s_or_b64 exec, exec, s[0:1]
	s_and_saveexec_b64 s[0:1], s[16:17]
	s_cbranch_execz .LBB25_83
.LBB25_88:
	v_lshlrev_b32_e32 v5, 3, v34
	ds_read_b64 v[5:6], v5
	ds_read_b64 v[7:8], v21 offset:6144
	v_mov_b32_e32 v9, s43
	s_waitcnt lgkmcnt(1)
	v_lshlrev_b64 v[5:6], 3, v[5:6]
	v_add_co_u32_e32 v5, vcc, s42, v5
	v_addc_co_u32_e32 v6, vcc, v9, v6, vcc
	v_lshlrev_b32_e32 v9, 3, v26
	v_add_co_u32_e32 v5, vcc, v5, v9
	v_addc_co_u32_e32 v6, vcc, 0, v6, vcc
	s_waitcnt lgkmcnt(0)
	global_store_dwordx2 v[5:6], v[7:8], off
	s_or_b64 exec, exec, s[0:1]
	s_and_saveexec_b64 s[0:1], s[18:19]
	s_cbranch_execnz .LBB25_84
.LBB25_89:
	s_or_b64 exec, exec, s[0:1]
	s_and_saveexec_b64 s[0:1], s[20:21]
	s_cbranch_execz .LBB25_85
.LBB25_90:
	v_lshlrev_b32_e32 v5, 3, v18
	ds_read_b64 v[5:6], v5
	ds_read_b64 v[7:8], v21 offset:14336
	v_mov_b32_e32 v9, s43
	s_waitcnt lgkmcnt(1)
	v_lshlrev_b64 v[5:6], 3, v[5:6]
	v_add_co_u32_e32 v5, vcc, s42, v5
	v_addc_co_u32_e32 v6, vcc, v9, v6, vcc
	v_lshlrev_b32_e32 v9, 3, v30
	v_add_co_u32_e32 v5, vcc, v5, v9
	v_addc_co_u32_e32 v6, vcc, 0, v6, vcc
	s_waitcnt lgkmcnt(0)
	global_store_dwordx2 v[5:6], v[7:8], off
	s_or_b64 exec, exec, s[0:1]
	s_and_saveexec_b64 s[0:1], s[22:23]
	s_cbranch_execnz .LBB25_86
.LBB25_91:
	s_or_b64 exec, exec, s[0:1]
	s_and_saveexec_b64 s[0:1], s[24:25]
	s_cbranch_execz .LBB25_93
.LBB25_92:
	v_lshlrev_b32_e32 v5, 3, v17
	ds_read_b64 v[5:6], v5
	ds_read_b64 v[7:8], v21 offset:22528
	v_mov_b32_e32 v9, s43
	s_waitcnt lgkmcnt(1)
	v_lshlrev_b64 v[5:6], 3, v[5:6]
	v_add_co_u32_e32 v5, vcc, s42, v5
	v_addc_co_u32_e32 v6, vcc, v9, v6, vcc
	v_lshlrev_b32_e32 v9, 3, v32
	v_add_co_u32_e32 v5, vcc, v5, v9
	v_addc_co_u32_e32 v6, vcc, 0, v6, vcc
	s_waitcnt lgkmcnt(0)
	global_store_dwordx2 v[5:6], v[7:8], off
.LBB25_93:
	s_or_b64 exec, exec, s[0:1]
	s_add_i32 s7, s7, -1
	s_cmp_eq_u32 s6, s7
	s_cselect_b64 s[0:1], -1, 0
	s_xor_b64 s[2:3], s[12:13], -1
	s_and_b64 s[2:3], s[2:3], s[0:1]
	s_and_saveexec_b64 s[0:1], s[2:3]
	s_cbranch_execz .LBB25_95
; %bb.94:
	ds_read_b64 v[5:6], v21
	v_add_co_u32_e32 v3, vcc, v3, v20
	v_addc_co_u32_e32 v4, vcc, 0, v4, vcc
	s_waitcnt lgkmcnt(0)
	v_add_co_u32_e32 v3, vcc, v3, v5
	v_addc_co_u32_e32 v4, vcc, v4, v6, vcc
	global_store_dwordx2 v21, v[3:4], s[46:47]
.LBB25_95:
	s_or_b64 exec, exec, s[0:1]
	s_mov_b64 s[0:1], 0
.LBB25_96:
	s_and_b64 vcc, exec, s[0:1]
	s_cbranch_vccz .LBB25_131
; %bb.97:
	s_add_u32 s0, s36, s30
	s_addc_u32 s1, s37, 0
	v_mbcnt_hi_u32_b32 v10, -1, v19
	v_and_b32_e32 v14, 0x1c0, v0
	v_mov_b32_e32 v3, s1
	v_add_co_u32_e32 v4, vcc, s0, v10
	v_mul_u32_u24_e32 v9, 6, v14
	v_addc_co_u32_e32 v3, vcc, 0, v3, vcc
	v_add_co_u32_e32 v15, vcc, v4, v9
	v_addc_co_u32_e32 v16, vcc, 0, v3, vcc
	global_load_ubyte v5, v[15:16], off
	s_load_dword s0, s[4:5], 0x5c
	s_load_dword s7, s[4:5], 0x50
	s_add_u32 s1, s4, 0x50
	s_addc_u32 s2, s5, 0
	v_mov_b32_e32 v3, 0
	s_waitcnt lgkmcnt(0)
	s_lshr_b32 s3, s0, 16
	s_cmp_lt_u32 s6, s7
	s_cselect_b32 s0, 12, 18
	s_add_u32 s0, s1, s0
	s_addc_u32 s1, s2, 0
	global_load_ushort v17, v3, s[0:1]
	v_mul_u32_u24_e32 v13, 20, v0
	ds_write2_b32 v13, v3, v3 offset0:8 offset1:9
	ds_write2_b32 v13, v3, v3 offset0:10 offset1:11
	ds_write_b32 v13, v3 offset:48
	global_load_ubyte v6, v[15:16], off offset:64
	global_load_ubyte v7, v[15:16], off offset:128
	;; [unrolled: 1-line block ×5, first 2 shown]
	s_lshl_b32 s0, -1, s49
	v_mad_u32_u24 v1, v2, s3, v1
	s_not_b32 s12, s0
	s_mov_b32 s31, 0
	s_waitcnt vmcnt(0) lgkmcnt(0)
	s_barrier
	; wave barrier
	v_lshrrev_b32_sdwa v2, s48, v5 dst_sel:DWORD dst_unused:UNUSED_PAD src0_sel:DWORD src1_sel:BYTE_0
	v_and_b32_e32 v15, s12, v2
	v_and_b32_e32 v2, 1, v15
	v_add_co_u32_e32 v18, vcc, -1, v2
	v_lshlrev_b32_e32 v4, 30, v15
	v_addc_co_u32_e64 v19, s[0:1], 0, -1, vcc
	v_cmp_ne_u32_e32 vcc, 0, v2
	v_cmp_gt_i64_e64 s[0:1], 0, v[3:4]
	v_not_b32_e32 v2, v4
	v_lshlrev_b32_e32 v4, 29, v15
	v_xor_b32_e32 v19, vcc_hi, v19
	v_xor_b32_e32 v18, vcc_lo, v18
	v_ashrrev_i32_e32 v20, 31, v2
	v_cmp_gt_i64_e32 vcc, 0, v[3:4]
	v_not_b32_e32 v21, v4
	v_lshlrev_b32_e32 v4, 28, v15
	v_mad_u64_u32 v[1:2], s[2:3], v1, v17, v[0:1]
	v_and_b32_e32 v2, exec_hi, v19
	v_and_b32_e32 v17, exec_lo, v18
	v_xor_b32_e32 v18, s1, v20
	v_xor_b32_e32 v19, s0, v20
	v_ashrrev_i32_e32 v20, 31, v21
	v_cmp_gt_i64_e64 s[0:1], 0, v[3:4]
	v_not_b32_e32 v21, v4
	v_lshlrev_b32_e32 v4, 27, v15
	v_and_b32_e32 v2, v2, v18
	v_and_b32_e32 v17, v17, v19
	v_xor_b32_e32 v18, vcc_hi, v20
	v_xor_b32_e32 v19, vcc_lo, v20
	v_ashrrev_i32_e32 v20, 31, v21
	v_cmp_gt_i64_e32 vcc, 0, v[3:4]
	v_not_b32_e32 v21, v4
	v_lshlrev_b32_e32 v4, 26, v15
	v_and_b32_e32 v2, v2, v18
	v_and_b32_e32 v17, v17, v19
	v_xor_b32_e32 v18, s1, v20
	v_xor_b32_e32 v19, s0, v20
	v_ashrrev_i32_e32 v20, 31, v21
	v_cmp_gt_i64_e64 s[0:1], 0, v[3:4]
	v_not_b32_e32 v4, v4
	v_and_b32_e32 v2, v2, v18
	v_xor_b32_e32 v18, vcc_hi, v20
	v_ashrrev_i32_e32 v4, 31, v4
	v_lshrrev_b32_e32 v1, 4, v1
	v_and_b32_e32 v17, v17, v19
	v_xor_b32_e32 v19, vcc_lo, v20
	v_and_b32_e32 v2, v2, v18
	v_xor_b32_e32 v18, s1, v4
	v_and_b32_e32 v20, 0xffffffc, v1
	v_xor_b32_e32 v1, s0, v4
	v_lshlrev_b32_e32 v4, 25, v15
	v_cmp_gt_i64_e32 vcc, 0, v[3:4]
	v_not_b32_e32 v4, v4
	v_and_b32_e32 v17, v17, v19
	v_ashrrev_i32_e32 v4, 31, v4
	v_and_b32_e32 v1, v17, v1
	v_xor_b32_e32 v17, vcc_hi, v4
	v_xor_b32_e32 v4, vcc_lo, v4
	v_and_b32_e32 v1, v1, v4
	v_lshlrev_b32_e32 v4, 24, v15
	v_cmp_gt_i64_e32 vcc, 0, v[3:4]
	v_not_b32_e32 v4, v4
	v_ashrrev_i32_e32 v4, 31, v4
	v_mul_u32_u24_e32 v16, 36, v15
	v_and_b32_e32 v2, v2, v18
	v_xor_b32_e32 v15, vcc_hi, v4
	v_xor_b32_e32 v4, vcc_lo, v4
	v_and_b32_e32 v2, v2, v17
	v_and_b32_e32 v1, v1, v4
	;; [unrolled: 1-line block ×3, first 2 shown]
	v_mbcnt_lo_u32_b32 v4, v1, 0
	v_mbcnt_hi_u32_b32 v15, v2, v4
	v_cmp_ne_u64_e32 vcc, 0, v[1:2]
	v_cmp_eq_u32_e64 s[0:1], 0, v15
	s_and_b64 s[2:3], vcc, s[0:1]
	v_add_u32_e32 v17, v20, v16
	s_and_saveexec_b64 s[0:1], s[2:3]
; %bb.98:
	v_bcnt_u32_b32 v1, v1, 0
	v_bcnt_u32_b32 v1, v2, v1
	ds_write_b32 v17, v1 offset:32
; %bb.99:
	s_or_b64 exec, exec, s[0:1]
	v_lshrrev_b32_sdwa v1, s48, v6 dst_sel:DWORD dst_unused:UNUSED_PAD src0_sel:DWORD src1_sel:BYTE_0
	v_and_b32_e32 v1, s12, v1
	v_mad_u32_u24 v2, v1, 36, v20
	; wave barrier
	ds_read_b32 v16, v2 offset:32
	v_and_b32_e32 v2, 1, v1
	v_add_co_u32_e32 v4, vcc, -1, v2
	v_addc_co_u32_e64 v18, s[0:1], 0, -1, vcc
	v_cmp_ne_u32_e32 vcc, 0, v2
	v_xor_b32_e32 v4, vcc_lo, v4
	v_xor_b32_e32 v2, vcc_hi, v18
	v_and_b32_e32 v18, exec_lo, v4
	v_lshlrev_b32_e32 v4, 30, v1
	v_cmp_gt_i64_e32 vcc, 0, v[3:4]
	v_not_b32_e32 v4, v4
	v_ashrrev_i32_e32 v4, 31, v4
	v_xor_b32_e32 v21, vcc_hi, v4
	v_xor_b32_e32 v4, vcc_lo, v4
	v_and_b32_e32 v18, v18, v4
	v_lshlrev_b32_e32 v4, 29, v1
	v_cmp_gt_i64_e32 vcc, 0, v[3:4]
	v_not_b32_e32 v4, v4
	v_and_b32_e32 v2, exec_hi, v2
	v_ashrrev_i32_e32 v4, 31, v4
	v_and_b32_e32 v2, v2, v21
	v_xor_b32_e32 v21, vcc_hi, v4
	v_xor_b32_e32 v4, vcc_lo, v4
	v_and_b32_e32 v18, v18, v4
	v_lshlrev_b32_e32 v4, 28, v1
	v_cmp_gt_i64_e32 vcc, 0, v[3:4]
	v_not_b32_e32 v4, v4
	v_ashrrev_i32_e32 v4, 31, v4
	v_and_b32_e32 v2, v2, v21
	v_xor_b32_e32 v21, vcc_hi, v4
	v_xor_b32_e32 v4, vcc_lo, v4
	v_and_b32_e32 v18, v18, v4
	v_lshlrev_b32_e32 v4, 27, v1
	v_cmp_gt_i64_e32 vcc, 0, v[3:4]
	v_not_b32_e32 v4, v4
	;; [unrolled: 8-line block ×4, first 2 shown]
	v_ashrrev_i32_e32 v4, 31, v4
	v_and_b32_e32 v2, v2, v21
	v_xor_b32_e32 v21, vcc_hi, v4
	v_xor_b32_e32 v4, vcc_lo, v4
	v_and_b32_e32 v18, v18, v4
	v_lshlrev_b32_e32 v4, 24, v1
	v_mul_u32_u24_e32 v19, 36, v1
	v_cmp_gt_i64_e32 vcc, 0, v[3:4]
	v_not_b32_e32 v1, v4
	v_ashrrev_i32_e32 v1, 31, v1
	v_xor_b32_e32 v3, vcc_hi, v1
	v_xor_b32_e32 v1, vcc_lo, v1
	v_and_b32_e32 v2, v2, v21
	v_and_b32_e32 v1, v18, v1
	;; [unrolled: 1-line block ×3, first 2 shown]
	v_mbcnt_lo_u32_b32 v3, v1, 0
	v_mbcnt_hi_u32_b32 v18, v2, v3
	v_cmp_ne_u64_e32 vcc, 0, v[1:2]
	v_cmp_eq_u32_e64 s[0:1], 0, v18
	s_and_b64 s[2:3], vcc, s[0:1]
	v_add_u32_e32 v21, v20, v19
	; wave barrier
	s_and_saveexec_b64 s[0:1], s[2:3]
	s_cbranch_execz .LBB25_101
; %bb.100:
	v_bcnt_u32_b32 v1, v1, 0
	v_bcnt_u32_b32 v1, v2, v1
	s_waitcnt lgkmcnt(0)
	v_add_u32_e32 v1, v16, v1
	ds_write_b32 v21, v1 offset:32
.LBB25_101:
	s_or_b64 exec, exec, s[0:1]
	v_lshrrev_b32_sdwa v1, s48, v7 dst_sel:DWORD dst_unused:UNUSED_PAD src0_sel:DWORD src1_sel:BYTE_0
	v_and_b32_e32 v3, s12, v1
	v_and_b32_e32 v2, 1, v3
	v_add_co_u32_e32 v22, vcc, -1, v2
	v_addc_co_u32_e64 v23, s[0:1], 0, -1, vcc
	v_cmp_ne_u32_e32 vcc, 0, v2
	v_mad_u32_u24 v1, v3, 36, v20
	v_xor_b32_e32 v2, vcc_hi, v23
	; wave barrier
	ds_read_b32 v19, v1 offset:32
	v_mov_b32_e32 v1, 0
	v_and_b32_e32 v23, exec_hi, v2
	v_lshlrev_b32_e32 v2, 30, v3
	v_xor_b32_e32 v22, vcc_lo, v22
	v_cmp_gt_i64_e32 vcc, 0, v[1:2]
	v_not_b32_e32 v2, v2
	v_ashrrev_i32_e32 v2, 31, v2
	v_and_b32_e32 v22, exec_lo, v22
	v_xor_b32_e32 v24, vcc_hi, v2
	v_xor_b32_e32 v2, vcc_lo, v2
	v_and_b32_e32 v22, v22, v2
	v_lshlrev_b32_e32 v2, 29, v3
	v_cmp_gt_i64_e32 vcc, 0, v[1:2]
	v_not_b32_e32 v2, v2
	v_ashrrev_i32_e32 v2, 31, v2
	v_and_b32_e32 v23, v23, v24
	v_xor_b32_e32 v24, vcc_hi, v2
	v_xor_b32_e32 v2, vcc_lo, v2
	v_and_b32_e32 v22, v22, v2
	v_lshlrev_b32_e32 v2, 28, v3
	v_cmp_gt_i64_e32 vcc, 0, v[1:2]
	v_not_b32_e32 v2, v2
	v_ashrrev_i32_e32 v2, 31, v2
	v_and_b32_e32 v23, v23, v24
	;; [unrolled: 8-line block ×5, first 2 shown]
	v_xor_b32_e32 v24, vcc_hi, v2
	v_xor_b32_e32 v2, vcc_lo, v2
	v_and_b32_e32 v22, v22, v2
	v_lshlrev_b32_e32 v2, 24, v3
	v_cmp_gt_i64_e32 vcc, 0, v[1:2]
	v_not_b32_e32 v2, v2
	v_ashrrev_i32_e32 v2, 31, v2
	v_mul_u32_u24_e32 v4, 36, v3
	v_xor_b32_e32 v3, vcc_hi, v2
	v_xor_b32_e32 v2, vcc_lo, v2
	v_and_b32_e32 v23, v23, v24
	v_and_b32_e32 v2, v22, v2
	;; [unrolled: 1-line block ×3, first 2 shown]
	v_mbcnt_lo_u32_b32 v22, v2, 0
	v_mbcnt_hi_u32_b32 v22, v3, v22
	v_cmp_ne_u64_e32 vcc, 0, v[2:3]
	v_cmp_eq_u32_e64 s[0:1], 0, v22
	s_and_b64 s[2:3], vcc, s[0:1]
	v_add_u32_e32 v24, v20, v4
	; wave barrier
	s_and_saveexec_b64 s[0:1], s[2:3]
	s_cbranch_execz .LBB25_103
; %bb.102:
	v_bcnt_u32_b32 v2, v2, 0
	v_bcnt_u32_b32 v2, v3, v2
	s_waitcnt lgkmcnt(0)
	v_add_u32_e32 v2, v19, v2
	ds_write_b32 v24, v2 offset:32
.LBB25_103:
	s_or_b64 exec, exec, s[0:1]
	v_lshrrev_b32_sdwa v2, s48, v8 dst_sel:DWORD dst_unused:UNUSED_PAD src0_sel:DWORD src1_sel:BYTE_0
	v_and_b32_e32 v3, s12, v2
	v_mad_u32_u24 v2, v3, 36, v20
	; wave barrier
	ds_read_b32 v23, v2 offset:32
	v_and_b32_e32 v2, 1, v3
	v_add_co_u32_e32 v25, vcc, -1, v2
	v_addc_co_u32_e64 v26, s[0:1], 0, -1, vcc
	v_cmp_ne_u32_e32 vcc, 0, v2
	v_xor_b32_e32 v2, vcc_hi, v26
	v_and_b32_e32 v26, exec_hi, v2
	v_lshlrev_b32_e32 v2, 30, v3
	v_xor_b32_e32 v25, vcc_lo, v25
	v_cmp_gt_i64_e32 vcc, 0, v[1:2]
	v_not_b32_e32 v2, v2
	v_ashrrev_i32_e32 v2, 31, v2
	v_and_b32_e32 v25, exec_lo, v25
	v_xor_b32_e32 v27, vcc_hi, v2
	v_xor_b32_e32 v2, vcc_lo, v2
	v_and_b32_e32 v25, v25, v2
	v_lshlrev_b32_e32 v2, 29, v3
	v_cmp_gt_i64_e32 vcc, 0, v[1:2]
	v_not_b32_e32 v2, v2
	v_ashrrev_i32_e32 v2, 31, v2
	v_and_b32_e32 v26, v26, v27
	v_xor_b32_e32 v27, vcc_hi, v2
	v_xor_b32_e32 v2, vcc_lo, v2
	v_and_b32_e32 v25, v25, v2
	v_lshlrev_b32_e32 v2, 28, v3
	v_cmp_gt_i64_e32 vcc, 0, v[1:2]
	v_not_b32_e32 v2, v2
	v_ashrrev_i32_e32 v2, 31, v2
	v_and_b32_e32 v26, v26, v27
	;; [unrolled: 8-line block ×5, first 2 shown]
	v_xor_b32_e32 v27, vcc_hi, v2
	v_xor_b32_e32 v2, vcc_lo, v2
	v_and_b32_e32 v25, v25, v2
	v_lshlrev_b32_e32 v2, 24, v3
	v_cmp_gt_i64_e32 vcc, 0, v[1:2]
	v_not_b32_e32 v1, v2
	v_ashrrev_i32_e32 v1, 31, v1
	v_xor_b32_e32 v2, vcc_hi, v1
	v_xor_b32_e32 v1, vcc_lo, v1
	v_and_b32_e32 v26, v26, v27
	v_and_b32_e32 v1, v25, v1
	v_mul_u32_u24_e32 v4, 36, v3
	v_and_b32_e32 v2, v26, v2
	v_mbcnt_lo_u32_b32 v3, v1, 0
	v_mbcnt_hi_u32_b32 v25, v2, v3
	v_cmp_ne_u64_e32 vcc, 0, v[1:2]
	v_cmp_eq_u32_e64 s[0:1], 0, v25
	s_and_b64 s[2:3], vcc, s[0:1]
	v_add_u32_e32 v27, v20, v4
	; wave barrier
	s_and_saveexec_b64 s[0:1], s[2:3]
	s_cbranch_execz .LBB25_105
; %bb.104:
	v_bcnt_u32_b32 v1, v1, 0
	v_bcnt_u32_b32 v1, v2, v1
	s_waitcnt lgkmcnt(0)
	v_add_u32_e32 v1, v23, v1
	ds_write_b32 v27, v1 offset:32
.LBB25_105:
	s_or_b64 exec, exec, s[0:1]
	v_lshrrev_b32_sdwa v1, s48, v11 dst_sel:DWORD dst_unused:UNUSED_PAD src0_sel:DWORD src1_sel:BYTE_0
	v_and_b32_e32 v3, s12, v1
	v_and_b32_e32 v2, 1, v3
	v_add_co_u32_e32 v28, vcc, -1, v2
	v_addc_co_u32_e64 v29, s[0:1], 0, -1, vcc
	v_cmp_ne_u32_e32 vcc, 0, v2
	v_mad_u32_u24 v1, v3, 36, v20
	v_xor_b32_e32 v2, vcc_hi, v29
	; wave barrier
	ds_read_b32 v26, v1 offset:32
	v_mov_b32_e32 v1, 0
	v_and_b32_e32 v29, exec_hi, v2
	v_lshlrev_b32_e32 v2, 30, v3
	v_xor_b32_e32 v28, vcc_lo, v28
	v_cmp_gt_i64_e32 vcc, 0, v[1:2]
	v_not_b32_e32 v2, v2
	v_ashrrev_i32_e32 v2, 31, v2
	v_and_b32_e32 v28, exec_lo, v28
	v_xor_b32_e32 v30, vcc_hi, v2
	v_xor_b32_e32 v2, vcc_lo, v2
	v_and_b32_e32 v28, v28, v2
	v_lshlrev_b32_e32 v2, 29, v3
	v_cmp_gt_i64_e32 vcc, 0, v[1:2]
	v_not_b32_e32 v2, v2
	v_ashrrev_i32_e32 v2, 31, v2
	v_and_b32_e32 v29, v29, v30
	v_xor_b32_e32 v30, vcc_hi, v2
	v_xor_b32_e32 v2, vcc_lo, v2
	v_and_b32_e32 v28, v28, v2
	v_lshlrev_b32_e32 v2, 28, v3
	v_cmp_gt_i64_e32 vcc, 0, v[1:2]
	v_not_b32_e32 v2, v2
	v_ashrrev_i32_e32 v2, 31, v2
	v_and_b32_e32 v29, v29, v30
	;; [unrolled: 8-line block ×5, first 2 shown]
	v_xor_b32_e32 v30, vcc_hi, v2
	v_xor_b32_e32 v2, vcc_lo, v2
	v_and_b32_e32 v28, v28, v2
	v_lshlrev_b32_e32 v2, 24, v3
	v_cmp_gt_i64_e32 vcc, 0, v[1:2]
	v_not_b32_e32 v2, v2
	v_ashrrev_i32_e32 v2, 31, v2
	v_mul_u32_u24_e32 v4, 36, v3
	v_xor_b32_e32 v3, vcc_hi, v2
	v_xor_b32_e32 v2, vcc_lo, v2
	v_and_b32_e32 v29, v29, v30
	v_and_b32_e32 v2, v28, v2
	;; [unrolled: 1-line block ×3, first 2 shown]
	v_mbcnt_lo_u32_b32 v28, v2, 0
	v_mbcnt_hi_u32_b32 v28, v3, v28
	v_cmp_ne_u64_e32 vcc, 0, v[2:3]
	v_cmp_eq_u32_e64 s[0:1], 0, v28
	s_and_b64 s[2:3], vcc, s[0:1]
	v_add_u32_e32 v30, v20, v4
	; wave barrier
	s_and_saveexec_b64 s[0:1], s[2:3]
	s_cbranch_execz .LBB25_107
; %bb.106:
	v_bcnt_u32_b32 v2, v2, 0
	v_bcnt_u32_b32 v2, v3, v2
	s_waitcnt lgkmcnt(0)
	v_add_u32_e32 v2, v26, v2
	ds_write_b32 v30, v2 offset:32
.LBB25_107:
	s_or_b64 exec, exec, s[0:1]
	v_lshrrev_b32_sdwa v2, s48, v12 dst_sel:DWORD dst_unused:UNUSED_PAD src0_sel:DWORD src1_sel:BYTE_0
	v_and_b32_e32 v3, s12, v2
	v_mad_u32_u24 v2, v3, 36, v20
	; wave barrier
	ds_read_b32 v29, v2 offset:32
	v_and_b32_e32 v2, 1, v3
	v_add_co_u32_e32 v31, vcc, -1, v2
	v_addc_co_u32_e64 v32, s[0:1], 0, -1, vcc
	v_cmp_ne_u32_e32 vcc, 0, v2
	v_xor_b32_e32 v2, vcc_hi, v32
	v_and_b32_e32 v32, exec_hi, v2
	v_lshlrev_b32_e32 v2, 30, v3
	v_xor_b32_e32 v31, vcc_lo, v31
	v_cmp_gt_i64_e32 vcc, 0, v[1:2]
	v_not_b32_e32 v2, v2
	v_ashrrev_i32_e32 v2, 31, v2
	v_and_b32_e32 v31, exec_lo, v31
	v_xor_b32_e32 v33, vcc_hi, v2
	v_xor_b32_e32 v2, vcc_lo, v2
	v_and_b32_e32 v31, v31, v2
	v_lshlrev_b32_e32 v2, 29, v3
	v_cmp_gt_i64_e32 vcc, 0, v[1:2]
	v_not_b32_e32 v2, v2
	v_ashrrev_i32_e32 v2, 31, v2
	v_and_b32_e32 v32, v32, v33
	v_xor_b32_e32 v33, vcc_hi, v2
	v_xor_b32_e32 v2, vcc_lo, v2
	v_and_b32_e32 v31, v31, v2
	v_lshlrev_b32_e32 v2, 28, v3
	v_cmp_gt_i64_e32 vcc, 0, v[1:2]
	v_not_b32_e32 v2, v2
	v_ashrrev_i32_e32 v2, 31, v2
	v_and_b32_e32 v32, v32, v33
	;; [unrolled: 8-line block ×5, first 2 shown]
	v_xor_b32_e32 v33, vcc_hi, v2
	v_xor_b32_e32 v2, vcc_lo, v2
	v_and_b32_e32 v31, v31, v2
	v_lshlrev_b32_e32 v2, 24, v3
	v_cmp_gt_i64_e32 vcc, 0, v[1:2]
	v_not_b32_e32 v1, v2
	v_ashrrev_i32_e32 v1, 31, v1
	v_xor_b32_e32 v2, vcc_hi, v1
	v_xor_b32_e32 v1, vcc_lo, v1
	v_and_b32_e32 v32, v32, v33
	v_and_b32_e32 v1, v31, v1
	v_mul_u32_u24_e32 v4, 36, v3
	v_and_b32_e32 v2, v32, v2
	v_mbcnt_lo_u32_b32 v3, v1, 0
	v_mbcnt_hi_u32_b32 v31, v2, v3
	v_cmp_ne_u64_e32 vcc, 0, v[1:2]
	v_cmp_eq_u32_e64 s[0:1], 0, v31
	s_and_b64 s[2:3], vcc, s[0:1]
	v_add_u32_e32 v20, v20, v4
	; wave barrier
	s_and_saveexec_b64 s[0:1], s[2:3]
	s_cbranch_execz .LBB25_109
; %bb.108:
	v_bcnt_u32_b32 v1, v1, 0
	v_bcnt_u32_b32 v1, v2, v1
	s_waitcnt lgkmcnt(0)
	v_add_u32_e32 v1, v29, v1
	ds_write_b32 v20, v1 offset:32
.LBB25_109:
	s_or_b64 exec, exec, s[0:1]
	; wave barrier
	s_waitcnt lgkmcnt(0)
	s_barrier
	ds_read2_b32 v[3:4], v13 offset0:8 offset1:9
	ds_read2_b32 v[1:2], v13 offset0:10 offset1:11
	ds_read_b32 v32, v13 offset:48
	v_min_u32_e32 v14, 0x1c0, v14
	v_or_b32_e32 v14, 63, v14
	s_waitcnt lgkmcnt(1)
	v_add3_u32 v33, v4, v3, v1
	s_waitcnt lgkmcnt(0)
	v_add3_u32 v32, v33, v2, v32
	v_and_b32_e32 v33, 15, v10
	v_cmp_ne_u32_e32 vcc, 0, v33
	v_mov_b32_dpp v34, v32 row_shr:1 row_mask:0xf bank_mask:0xf
	v_cndmask_b32_e32 v34, 0, v34, vcc
	v_add_u32_e32 v32, v34, v32
	v_cmp_lt_u32_e32 vcc, 1, v33
	s_nop 0
	v_mov_b32_dpp v34, v32 row_shr:2 row_mask:0xf bank_mask:0xf
	v_cndmask_b32_e32 v34, 0, v34, vcc
	v_add_u32_e32 v32, v32, v34
	v_cmp_lt_u32_e32 vcc, 3, v33
	s_nop 0
	;; [unrolled: 5-line block ×3, first 2 shown]
	v_mov_b32_dpp v34, v32 row_shr:8 row_mask:0xf bank_mask:0xf
	v_cndmask_b32_e32 v33, 0, v34, vcc
	v_add_u32_e32 v32, v32, v33
	v_bfe_i32 v34, v10, 4, 1
	v_cmp_lt_u32_e32 vcc, 31, v10
	v_mov_b32_dpp v33, v32 row_bcast:15 row_mask:0xf bank_mask:0xf
	v_and_b32_e32 v33, v34, v33
	v_add_u32_e32 v32, v32, v33
	s_nop 1
	v_mov_b32_dpp v33, v32 row_bcast:31 row_mask:0xf bank_mask:0xf
	v_cndmask_b32_e32 v33, 0, v33, vcc
	v_add_u32_e32 v32, v32, v33
	v_lshrrev_b32_e32 v33, 6, v0
	v_cmp_eq_u32_e32 vcc, v0, v14
	s_and_saveexec_b64 s[0:1], vcc
; %bb.110:
	v_lshlrev_b32_e32 v14, 2, v33
	ds_write_b32 v14, v32
; %bb.111:
	s_or_b64 exec, exec, s[0:1]
	v_cmp_gt_u32_e32 vcc, 8, v0
	s_waitcnt lgkmcnt(0)
	s_barrier
	s_and_saveexec_b64 s[0:1], vcc
	s_cbranch_execz .LBB25_113
; %bb.112:
	v_lshlrev_b32_e32 v14, 2, v0
	ds_read_b32 v34, v14
	v_and_b32_e32 v35, 7, v10
	v_cmp_ne_u32_e32 vcc, 0, v35
	s_waitcnt lgkmcnt(0)
	v_mov_b32_dpp v36, v34 row_shr:1 row_mask:0xf bank_mask:0xf
	v_cndmask_b32_e32 v36, 0, v36, vcc
	v_add_u32_e32 v34, v36, v34
	v_cmp_lt_u32_e32 vcc, 1, v35
	s_nop 0
	v_mov_b32_dpp v36, v34 row_shr:2 row_mask:0xf bank_mask:0xf
	v_cndmask_b32_e32 v36, 0, v36, vcc
	v_add_u32_e32 v34, v34, v36
	v_cmp_lt_u32_e32 vcc, 3, v35
	s_nop 0
	v_mov_b32_dpp v36, v34 row_shr:4 row_mask:0xf bank_mask:0xf
	v_cndmask_b32_e32 v35, 0, v36, vcc
	v_add_u32_e32 v34, v34, v35
	ds_write_b32 v14, v34
.LBB25_113:
	s_or_b64 exec, exec, s[0:1]
	v_cmp_lt_u32_e32 vcc, 63, v0
	v_mov_b32_e32 v14, 0
	s_waitcnt lgkmcnt(0)
	s_barrier
	s_and_saveexec_b64 s[0:1], vcc
; %bb.114:
	v_lshl_add_u32 v14, v33, 2, -4
	ds_read_b32 v14, v14
; %bb.115:
	s_or_b64 exec, exec, s[0:1]
	v_add_u32_e32 v33, -1, v10
	v_and_b32_e32 v34, 64, v10
	v_cmp_lt_i32_e32 vcc, v33, v34
	v_cndmask_b32_e32 v33, v33, v10, vcc
	s_waitcnt lgkmcnt(0)
	v_add_u32_e32 v32, v14, v32
	v_lshlrev_b32_e32 v33, 2, v33
	ds_bpermute_b32 v32, v33, v32
	v_cmp_eq_u32_e32 vcc, 0, v10
	s_movk_i32 s0, 0xff
	s_movk_i32 s2, 0x100
	s_waitcnt lgkmcnt(0)
	v_cndmask_b32_e32 v14, v32, v14, vcc
	v_cmp_ne_u32_e32 vcc, 0, v0
	v_cndmask_b32_e32 v14, 0, v14, vcc
	v_add_u32_e32 v3, v14, v3
	v_add_u32_e32 v4, v3, v4
	;; [unrolled: 1-line block ×4, first 2 shown]
	ds_write2_b32 v13, v14, v3 offset0:8 offset1:9
	ds_write2_b32 v13, v4, v1 offset0:10 offset1:11
	ds_write_b32 v13, v2 offset:48
	s_waitcnt lgkmcnt(0)
	s_barrier
	ds_read_b32 v3, v17 offset:32
	ds_read_b32 v4, v21 offset:32
	;; [unrolled: 1-line block ×6, first 2 shown]
	v_mov_b32_e32 v1, 0
	v_cmp_lt_u32_e32 vcc, s0, v0
	v_mov_b32_e32 v2, 0
	v_cmp_gt_u32_e64 s[0:1], s2, v0
                                        ; implicit-def: $vgpr13
	s_and_saveexec_b64 s[4:5], s[0:1]
	s_cbranch_execz .LBB25_119
; %bb.116:
	v_mul_u32_u24_e32 v1, 36, v0
	ds_read_b32 v1, v1 offset:32
	v_add_u32_e32 v13, 1, v0
	v_cmp_ne_u32_e64 s[2:3], s2, v13
	v_mov_b32_e32 v2, 0xc00
	s_and_saveexec_b64 s[8:9], s[2:3]
; %bb.117:
	v_mul_u32_u24_e32 v2, 36, v13
	ds_read_b32 v2, v2 offset:32
; %bb.118:
	s_or_b64 exec, exec, s[8:9]
	s_waitcnt lgkmcnt(0)
	v_sub_u32_e32 v13, v2, v1
	v_mov_b32_e32 v2, 0
.LBB25_119:
	s_or_b64 exec, exec, s[4:5]
	s_waitcnt lgkmcnt(5)
	v_add_u32_e32 v20, v3, v15
	s_waitcnt lgkmcnt(4)
	v_add3_u32 v18, v18, v16, v4
	s_waitcnt lgkmcnt(3)
	v_add3_u32 v17, v22, v19, v14
	;; [unrolled: 2-line block ×5, first 2 shown]
	s_barrier
	ds_write_b8 v20, v5 offset:2048
	ds_write_b8 v18, v6 offset:2048
	;; [unrolled: 1-line block ×6, first 2 shown]
	v_mov_b32_e32 v4, 0
	v_lshlrev_b32_e32 v11, 3, v0
	s_waitcnt lgkmcnt(0)
	s_barrier
	s_and_saveexec_b64 s[2:3], s[0:1]
	s_cbranch_execz .LBB25_129
; %bb.120:
	v_lshl_add_u32 v3, s6, 8, v0
	v_lshlrev_b64 v[5:6], 2, v[3:4]
	v_mov_b32_e32 v12, s35
	v_add_co_u32_e64 v5, s[0:1], s34, v5
	v_addc_co_u32_e64 v6, s[0:1], v12, v6, s[0:1]
	v_or_b32_e32 v3, 2.0, v13
	s_mov_b64 s[4:5], 0
	s_brev_b32 s13, -4
	s_mov_b32 s14, s6
	v_mov_b32_e32 v19, 0
	global_store_dword v[5:6], v3, off
                                        ; implicit-def: $sgpr0_sgpr1
	s_branch .LBB25_123
.LBB25_121:                             ;   in Loop: Header=BB25_123 Depth=1
	s_or_b64 exec, exec, s[10:11]
.LBB25_122:                             ;   in Loop: Header=BB25_123 Depth=1
	s_or_b64 exec, exec, s[8:9]
	v_and_b32_e32 v7, 0x3fffffff, v3
	v_add_u32_e32 v19, v7, v19
	v_cmp_gt_i32_e64 s[0:1], -2.0, v3
	s_and_b64 s[8:9], exec, s[0:1]
	s_or_b64 s[4:5], s[8:9], s[4:5]
	s_andn2_b64 exec, exec, s[4:5]
	s_cbranch_execz .LBB25_128
.LBB25_123:                             ; =>This Loop Header: Depth=1
                                        ;     Child Loop BB25_126 Depth 2
	s_or_b64 s[0:1], s[0:1], exec
	s_cmp_eq_u32 s14, 0
	s_cbranch_scc1 .LBB25_127
; %bb.124:                              ;   in Loop: Header=BB25_123 Depth=1
	s_add_i32 s14, s14, -1
	v_lshl_or_b32 v3, s14, 8, v0
	v_lshlrev_b64 v[7:8], 2, v[3:4]
	v_add_co_u32_e64 v7, s[0:1], s34, v7
	v_addc_co_u32_e64 v8, s[0:1], v12, v8, s[0:1]
	global_load_dword v3, v[7:8], off glc
	s_waitcnt vmcnt(0)
	v_cmp_gt_u32_e64 s[0:1], 2.0, v3
	s_and_saveexec_b64 s[8:9], s[0:1]
	s_cbranch_execz .LBB25_122
; %bb.125:                              ;   in Loop: Header=BB25_123 Depth=1
	s_mov_b64 s[10:11], 0
.LBB25_126:                             ;   Parent Loop BB25_123 Depth=1
                                        ; =>  This Inner Loop Header: Depth=2
	global_load_dword v3, v[7:8], off glc
	s_waitcnt vmcnt(0)
	v_cmp_lt_u32_e64 s[0:1], s13, v3
	s_or_b64 s[10:11], s[0:1], s[10:11]
	s_andn2_b64 exec, exec, s[10:11]
	s_cbranch_execnz .LBB25_126
	s_branch .LBB25_121
.LBB25_127:                             ;   in Loop: Header=BB25_123 Depth=1
                                        ; implicit-def: $sgpr14
	s_and_b64 s[8:9], exec, s[0:1]
	s_or_b64 s[4:5], s[8:9], s[4:5]
	s_andn2_b64 exec, exec, s[4:5]
	s_cbranch_execnz .LBB25_123
.LBB25_128:
	s_or_b64 exec, exec, s[4:5]
	v_add_u32_e32 v3, v19, v13
	v_or_b32_e32 v3, 0x80000000, v3
	global_store_dword v[5:6], v3, off
	global_load_dwordx2 v[3:4], v11, s[44:45]
	v_sub_co_u32_e64 v5, s[0:1], v19, v1
	v_subb_co_u32_e64 v6, s[0:1], 0, v2, s[0:1]
	s_waitcnt vmcnt(0)
	v_add_co_u32_e64 v3, s[0:1], v5, v3
	v_addc_co_u32_e64 v4, s[0:1], v6, v4, s[0:1]
	ds_write_b64 v11, v[3:4]
.LBB25_129:
	s_or_b64 exec, exec, s[2:3]
	s_waitcnt lgkmcnt(0)
	s_barrier
	ds_read_u8 v12, v0 offset:4096
	ds_read_u8 v19, v0 offset:3072
	;; [unrolled: 1-line block ×5, first 2 shown]
	s_waitcnt lgkmcnt(4)
	v_lshrrev_b32_sdwa v3, s48, v12 dst_sel:DWORD dst_unused:UNUSED_PAD src0_sel:DWORD src1_sel:BYTE_0
	v_and_b32_e32 v3, s12, v3
	v_lshlrev_b32_e32 v30, 3, v3
	s_waitcnt lgkmcnt(1)
	v_lshrrev_b32_sdwa v3, s48, v28 dst_sel:DWORD dst_unused:UNUSED_PAD src0_sel:DWORD src1_sel:BYTE_0
	v_and_b32_e32 v3, s12, v3
	v_lshlrev_b32_e32 v31, 3, v3
	ds_read_u8 v32, v0 offset:2560
	ds_read_b64 v[3:4], v30
	ds_read_b64 v[5:6], v31
	s_waitcnt lgkmcnt(3)
	v_lshrrev_b32_sdwa v7, s48, v29 dst_sel:DWORD dst_unused:UNUSED_PAD src0_sel:DWORD src1_sel:BYTE_0
	v_and_b32_e32 v7, s12, v7
	v_lshlrev_b32_e32 v33, 3, v7
	s_waitcnt lgkmcnt(2)
	v_lshrrev_b32_sdwa v7, s48, v32 dst_sel:DWORD dst_unused:UNUSED_PAD src0_sel:DWORD src1_sel:BYTE_0
	v_and_b32_e32 v7, s12, v7
	v_lshlrev_b32_e32 v35, 3, v7
	v_lshrrev_b32_sdwa v7, s48, v19 dst_sel:DWORD dst_unused:UNUSED_PAD src0_sel:DWORD src1_sel:BYTE_0
	v_and_b32_e32 v7, s12, v7
	v_lshlrev_b32_e32 v36, 3, v7
	;; [unrolled: 3-line block ×3, first 2 shown]
	ds_read_b64 v[7:8], v33
	ds_read_b64 v[21:22], v35
	;; [unrolled: 1-line block ×4, first 2 shown]
	v_mov_b32_e32 v34, s39
	s_waitcnt lgkmcnt(3)
	v_add_co_u32_e64 v7, s[0:1], s38, v7
	v_addc_co_u32_e64 v8, s[0:1], v34, v8, s[0:1]
	v_add_co_u32_e64 v7, s[0:1], v7, v0
	v_addc_co_u32_e64 v8, s[0:1], 0, v8, s[0:1]
	global_store_byte v[7:8], v29, off
	v_mov_b32_e32 v7, s39
	s_waitcnt lgkmcnt(2)
	v_add_co_u32_e64 v8, s[0:1], s38, v21
	v_addc_co_u32_e64 v21, s[0:1], v7, v22, s[0:1]
	v_add_co_u32_e64 v7, s[0:1], v8, v0
	v_addc_co_u32_e64 v8, s[0:1], 0, v21, s[0:1]
	global_store_byte v[7:8], v32, off offset:512
	v_mov_b32_e32 v7, s39
	s_waitcnt lgkmcnt(1)
	v_add_co_u32_e64 v8, s[0:1], s38, v23
	v_addc_co_u32_e64 v21, s[0:1], v7, v24, s[0:1]
	v_add_co_u32_e64 v7, s[0:1], v8, v0
	v_addc_co_u32_e64 v8, s[0:1], 0, v21, s[0:1]
	global_store_byte v[7:8], v19, off offset:1024
	;; [unrolled: 7-line block ×3, first 2 shown]
	v_mov_b32_e32 v7, s39
	v_add_co_u32_e64 v3, s[0:1], s38, v3
	v_addc_co_u32_e64 v4, s[0:1], v7, v4, s[0:1]
	v_add_co_u32_e64 v3, s[0:1], v3, v0
	v_addc_co_u32_e64 v4, s[0:1], 0, v4, s[0:1]
	global_store_byte v[3:4], v12, off offset:2048
	v_mov_b32_e32 v3, s39
	v_add_co_u32_e64 v4, s[0:1], s38, v5
	v_addc_co_u32_e64 v5, s[0:1], v3, v6, s[0:1]
	v_add_co_u32_e64 v3, s[0:1], v4, v0
	v_addc_co_u32_e64 v4, s[0:1], 0, v5, s[0:1]
	s_lshl_b64 s[0:1], s[30:31], 3
	s_add_u32 s0, s40, s0
	global_store_byte v[3:4], v28, off offset:2560
	s_addc_u32 s1, s41, s1
	v_lshlrev_b32_e32 v3, 3, v10
	v_mov_b32_e32 v4, s1
	v_add_co_u32_e64 v3, s[0:1], s0, v3
	v_addc_co_u32_e64 v4, s[0:1], 0, v4, s[0:1]
	v_lshlrev_b32_e32 v5, 3, v9
	v_add_co_u32_e64 v3, s[0:1], v3, v5
	v_addc_co_u32_e64 v4, s[0:1], 0, v4, s[0:1]
	global_load_dwordx2 v[5:6], v[3:4], off
	global_load_dwordx2 v[7:8], v[3:4], off offset:512
	global_load_dwordx2 v[9:10], v[3:4], off offset:1024
	;; [unrolled: 1-line block ×5, first 2 shown]
	v_lshlrev_b32_e32 v3, 3, v20
	s_waitcnt vmcnt(0)
	s_barrier
	v_mad_u32_u24 v0, v0, 7, v0
	v_mov_b32_e32 v12, s43
	s_add_i32 s7, s7, -1
	s_cmp_eq_u32 s6, s7
	ds_write_b64 v3, v[5:6] offset:2048
	v_lshlrev_b32_e32 v3, 3, v18
	ds_write_b64 v3, v[7:8] offset:2048
	v_lshlrev_b32_e32 v3, 3, v17
	;; [unrolled: 2-line block ×5, first 2 shown]
	ds_write_b64 v3, v[25:26] offset:2048
	s_waitcnt lgkmcnt(0)
	s_barrier
	ds_read_b64 v[7:8], v33
	ds_read2st64_b64 v[3:6], v0 offset0:4 offset1:12
	ds_read_b64 v[9:10], v35
	ds_read_b64 v[14:15], v36
	;; [unrolled: 1-line block ×3, first 2 shown]
	s_waitcnt lgkmcnt(4)
	v_lshlrev_b64 v[7:8], 3, v[7:8]
	v_add_co_u32_e64 v7, s[0:1], s42, v7
	v_addc_co_u32_e64 v8, s[0:1], v12, v8, s[0:1]
	v_add_co_u32_e64 v7, s[0:1], v7, v11
	v_addc_co_u32_e64 v8, s[0:1], 0, v8, s[0:1]
	s_waitcnt lgkmcnt(3)
	global_store_dwordx2 v[7:8], v[3:4], off
	s_waitcnt lgkmcnt(2)
	v_lshlrev_b64 v[3:4], 3, v[9:10]
	v_mov_b32_e32 v7, s43
	v_add_co_u32_e64 v3, s[0:1], s42, v3
	v_addc_co_u32_e64 v4, s[0:1], v7, v4, s[0:1]
	v_or_b32_e32 v7, 0x1000, v11
	v_add_co_u32_e64 v3, s[0:1], v3, v7
	v_addc_co_u32_e64 v4, s[0:1], 0, v4, s[0:1]
	s_waitcnt lgkmcnt(1)
	v_lshlrev_b64 v[7:8], 3, v[14:15]
	global_store_dwordx2 v[3:4], v[5:6], off
	ds_read2st64_b64 v[3:6], v0 offset0:20 offset1:28
	v_mov_b32_e32 v9, s43
	v_add_co_u32_e64 v7, s[0:1], s42, v7
	v_addc_co_u32_e64 v8, s[0:1], v9, v8, s[0:1]
	v_or_b32_e32 v9, 0x2000, v11
	v_add_co_u32_e64 v7, s[0:1], v7, v9
	v_addc_co_u32_e64 v8, s[0:1], 0, v8, s[0:1]
	s_waitcnt lgkmcnt(0)
	global_store_dwordx2 v[7:8], v[3:4], off
	v_lshlrev_b64 v[3:4], 3, v[16:17]
	v_mov_b32_e32 v7, s43
	v_add_co_u32_e64 v3, s[0:1], s42, v3
	v_addc_co_u32_e64 v4, s[0:1], v7, v4, s[0:1]
	ds_read_b64 v[7:8], v30
	v_or_b32_e32 v9, 0x3000, v11
	v_add_co_u32_e64 v3, s[0:1], v3, v9
	v_addc_co_u32_e64 v4, s[0:1], 0, v4, s[0:1]
	global_store_dwordx2 v[3:4], v[5:6], off
	s_waitcnt lgkmcnt(0)
	v_lshlrev_b64 v[7:8], 3, v[7:8]
	ds_read2st64_b64 v[3:6], v0 offset0:36 offset1:44
	ds_read_b64 v[9:10], v31
	v_mov_b32_e32 v0, s43
	v_add_co_u32_e64 v7, s[0:1], s42, v7
	v_addc_co_u32_e64 v0, s[0:1], v0, v8, s[0:1]
	v_or_b32_e32 v8, 0x4000, v11
	v_add_co_u32_e64 v7, s[0:1], v7, v8
	v_addc_co_u32_e64 v8, s[0:1], 0, v0, s[0:1]
	s_waitcnt lgkmcnt(1)
	global_store_dwordx2 v[7:8], v[3:4], off
	s_waitcnt lgkmcnt(0)
	v_lshlrev_b64 v[3:4], 3, v[9:10]
	v_mov_b32_e32 v0, s43
	v_add_co_u32_e64 v3, s[0:1], s42, v3
	v_addc_co_u32_e64 v0, s[0:1], v0, v4, s[0:1]
	v_or_b32_e32 v4, 0x5000, v11
	v_add_co_u32_e64 v3, s[0:1], v3, v4
	v_addc_co_u32_e64 v4, s[0:1], 0, v0, s[0:1]
	s_cselect_b64 s[0:1], -1, 0
	s_xor_b64 s[2:3], vcc, -1
	s_and_b64 s[0:1], s[2:3], s[0:1]
	global_store_dwordx2 v[3:4], v[5:6], off
	s_and_saveexec_b64 s[2:3], s[0:1]
	s_cbranch_execz .LBB25_131
; %bb.130:
	ds_read_b64 v[3:4], v11
	v_add_co_u32_e32 v0, vcc, v1, v13
	v_addc_co_u32_e32 v1, vcc, 0, v2, vcc
	s_waitcnt lgkmcnt(0)
	v_add_co_u32_e32 v0, vcc, v0, v3
	v_addc_co_u32_e32 v1, vcc, v1, v4, vcc
	global_store_dwordx2 v11, v[0:1], s[46:47]
.LBB25_131:
	s_endpgm
	.section	.rodata,"a",@progbits
	.p2align	6, 0x0
	.amdhsa_kernel _ZN7rocprim17ROCPRIM_304000_NS6detail25onesweep_iteration_kernelINS1_34wrapped_radix_sort_onesweep_configINS0_14default_configEhN2at4cuda3cub6detail10OpaqueTypeILi8EEEEELb0EPhSC_PSA_SD_mNS0_19identity_decomposerEEEvT1_T2_T3_T4_jPT5_SK_PNS1_23onesweep_lookback_stateET6_jjj
		.amdhsa_group_segment_fixed_size 26624
		.amdhsa_private_segment_fixed_size 0
		.amdhsa_kernarg_size 336
		.amdhsa_user_sgpr_count 6
		.amdhsa_user_sgpr_private_segment_buffer 1
		.amdhsa_user_sgpr_dispatch_ptr 0
		.amdhsa_user_sgpr_queue_ptr 0
		.amdhsa_user_sgpr_kernarg_segment_ptr 1
		.amdhsa_user_sgpr_dispatch_id 0
		.amdhsa_user_sgpr_flat_scratch_init 0
		.amdhsa_user_sgpr_private_segment_size 0
		.amdhsa_uses_dynamic_stack 0
		.amdhsa_system_sgpr_private_segment_wavefront_offset 0
		.amdhsa_system_sgpr_workgroup_id_x 1
		.amdhsa_system_sgpr_workgroup_id_y 0
		.amdhsa_system_sgpr_workgroup_id_z 0
		.amdhsa_system_sgpr_workgroup_info 0
		.amdhsa_system_vgpr_workitem_id 2
		.amdhsa_next_free_vgpr 49
		.amdhsa_next_free_sgpr 98
		.amdhsa_reserve_vcc 1
		.amdhsa_reserve_flat_scratch 0
		.amdhsa_float_round_mode_32 0
		.amdhsa_float_round_mode_16_64 0
		.amdhsa_float_denorm_mode_32 3
		.amdhsa_float_denorm_mode_16_64 3
		.amdhsa_dx10_clamp 1
		.amdhsa_ieee_mode 1
		.amdhsa_fp16_overflow 0
		.amdhsa_exception_fp_ieee_invalid_op 0
		.amdhsa_exception_fp_denorm_src 0
		.amdhsa_exception_fp_ieee_div_zero 0
		.amdhsa_exception_fp_ieee_overflow 0
		.amdhsa_exception_fp_ieee_underflow 0
		.amdhsa_exception_fp_ieee_inexact 0
		.amdhsa_exception_int_div_zero 0
	.end_amdhsa_kernel
	.section	.text._ZN7rocprim17ROCPRIM_304000_NS6detail25onesweep_iteration_kernelINS1_34wrapped_radix_sort_onesweep_configINS0_14default_configEhN2at4cuda3cub6detail10OpaqueTypeILi8EEEEELb0EPhSC_PSA_SD_mNS0_19identity_decomposerEEEvT1_T2_T3_T4_jPT5_SK_PNS1_23onesweep_lookback_stateET6_jjj,"axG",@progbits,_ZN7rocprim17ROCPRIM_304000_NS6detail25onesweep_iteration_kernelINS1_34wrapped_radix_sort_onesweep_configINS0_14default_configEhN2at4cuda3cub6detail10OpaqueTypeILi8EEEEELb0EPhSC_PSA_SD_mNS0_19identity_decomposerEEEvT1_T2_T3_T4_jPT5_SK_PNS1_23onesweep_lookback_stateET6_jjj,comdat
.Lfunc_end25:
	.size	_ZN7rocprim17ROCPRIM_304000_NS6detail25onesweep_iteration_kernelINS1_34wrapped_radix_sort_onesweep_configINS0_14default_configEhN2at4cuda3cub6detail10OpaqueTypeILi8EEEEELb0EPhSC_PSA_SD_mNS0_19identity_decomposerEEEvT1_T2_T3_T4_jPT5_SK_PNS1_23onesweep_lookback_stateET6_jjj, .Lfunc_end25-_ZN7rocprim17ROCPRIM_304000_NS6detail25onesweep_iteration_kernelINS1_34wrapped_radix_sort_onesweep_configINS0_14default_configEhN2at4cuda3cub6detail10OpaqueTypeILi8EEEEELb0EPhSC_PSA_SD_mNS0_19identity_decomposerEEEvT1_T2_T3_T4_jPT5_SK_PNS1_23onesweep_lookback_stateET6_jjj
                                        ; -- End function
	.set _ZN7rocprim17ROCPRIM_304000_NS6detail25onesweep_iteration_kernelINS1_34wrapped_radix_sort_onesweep_configINS0_14default_configEhN2at4cuda3cub6detail10OpaqueTypeILi8EEEEELb0EPhSC_PSA_SD_mNS0_19identity_decomposerEEEvT1_T2_T3_T4_jPT5_SK_PNS1_23onesweep_lookback_stateET6_jjj.num_vgpr, 40
	.set _ZN7rocprim17ROCPRIM_304000_NS6detail25onesweep_iteration_kernelINS1_34wrapped_radix_sort_onesweep_configINS0_14default_configEhN2at4cuda3cub6detail10OpaqueTypeILi8EEEEELb0EPhSC_PSA_SD_mNS0_19identity_decomposerEEEvT1_T2_T3_T4_jPT5_SK_PNS1_23onesweep_lookback_stateET6_jjj.num_agpr, 0
	.set _ZN7rocprim17ROCPRIM_304000_NS6detail25onesweep_iteration_kernelINS1_34wrapped_radix_sort_onesweep_configINS0_14default_configEhN2at4cuda3cub6detail10OpaqueTypeILi8EEEEELb0EPhSC_PSA_SD_mNS0_19identity_decomposerEEEvT1_T2_T3_T4_jPT5_SK_PNS1_23onesweep_lookback_stateET6_jjj.numbered_sgpr, 52
	.set _ZN7rocprim17ROCPRIM_304000_NS6detail25onesweep_iteration_kernelINS1_34wrapped_radix_sort_onesweep_configINS0_14default_configEhN2at4cuda3cub6detail10OpaqueTypeILi8EEEEELb0EPhSC_PSA_SD_mNS0_19identity_decomposerEEEvT1_T2_T3_T4_jPT5_SK_PNS1_23onesweep_lookback_stateET6_jjj.num_named_barrier, 0
	.set _ZN7rocprim17ROCPRIM_304000_NS6detail25onesweep_iteration_kernelINS1_34wrapped_radix_sort_onesweep_configINS0_14default_configEhN2at4cuda3cub6detail10OpaqueTypeILi8EEEEELb0EPhSC_PSA_SD_mNS0_19identity_decomposerEEEvT1_T2_T3_T4_jPT5_SK_PNS1_23onesweep_lookback_stateET6_jjj.private_seg_size, 0
	.set _ZN7rocprim17ROCPRIM_304000_NS6detail25onesweep_iteration_kernelINS1_34wrapped_radix_sort_onesweep_configINS0_14default_configEhN2at4cuda3cub6detail10OpaqueTypeILi8EEEEELb0EPhSC_PSA_SD_mNS0_19identity_decomposerEEEvT1_T2_T3_T4_jPT5_SK_PNS1_23onesweep_lookback_stateET6_jjj.uses_vcc, 1
	.set _ZN7rocprim17ROCPRIM_304000_NS6detail25onesweep_iteration_kernelINS1_34wrapped_radix_sort_onesweep_configINS0_14default_configEhN2at4cuda3cub6detail10OpaqueTypeILi8EEEEELb0EPhSC_PSA_SD_mNS0_19identity_decomposerEEEvT1_T2_T3_T4_jPT5_SK_PNS1_23onesweep_lookback_stateET6_jjj.uses_flat_scratch, 0
	.set _ZN7rocprim17ROCPRIM_304000_NS6detail25onesweep_iteration_kernelINS1_34wrapped_radix_sort_onesweep_configINS0_14default_configEhN2at4cuda3cub6detail10OpaqueTypeILi8EEEEELb0EPhSC_PSA_SD_mNS0_19identity_decomposerEEEvT1_T2_T3_T4_jPT5_SK_PNS1_23onesweep_lookback_stateET6_jjj.has_dyn_sized_stack, 0
	.set _ZN7rocprim17ROCPRIM_304000_NS6detail25onesweep_iteration_kernelINS1_34wrapped_radix_sort_onesweep_configINS0_14default_configEhN2at4cuda3cub6detail10OpaqueTypeILi8EEEEELb0EPhSC_PSA_SD_mNS0_19identity_decomposerEEEvT1_T2_T3_T4_jPT5_SK_PNS1_23onesweep_lookback_stateET6_jjj.has_recursion, 0
	.set _ZN7rocprim17ROCPRIM_304000_NS6detail25onesweep_iteration_kernelINS1_34wrapped_radix_sort_onesweep_configINS0_14default_configEhN2at4cuda3cub6detail10OpaqueTypeILi8EEEEELb0EPhSC_PSA_SD_mNS0_19identity_decomposerEEEvT1_T2_T3_T4_jPT5_SK_PNS1_23onesweep_lookback_stateET6_jjj.has_indirect_call, 0
	.section	.AMDGPU.csdata,"",@progbits
; Kernel info:
; codeLenInByte = 10944
; TotalNumSgprs: 56
; NumVgprs: 40
; ScratchSize: 0
; MemoryBound: 0
; FloatMode: 240
; IeeeMode: 1
; LDSByteSize: 26624 bytes/workgroup (compile time only)
; SGPRBlocks: 12
; VGPRBlocks: 12
; NumSGPRsForWavesPerEU: 102
; NumVGPRsForWavesPerEU: 49
; Occupancy: 4
; WaveLimiterHint : 1
; COMPUTE_PGM_RSRC2:SCRATCH_EN: 0
; COMPUTE_PGM_RSRC2:USER_SGPR: 6
; COMPUTE_PGM_RSRC2:TRAP_HANDLER: 0
; COMPUTE_PGM_RSRC2:TGID_X_EN: 1
; COMPUTE_PGM_RSRC2:TGID_Y_EN: 0
; COMPUTE_PGM_RSRC2:TGID_Z_EN: 0
; COMPUTE_PGM_RSRC2:TIDIG_COMP_CNT: 2
	.section	.text._ZN7rocprim17ROCPRIM_304000_NS6detail28radix_sort_block_sort_kernelINS1_36wrapped_radix_sort_block_sort_configINS0_13kernel_configILj256ELj4ELj4294967295EEEaN2at4cuda3cub6detail10OpaqueTypeILi8EEEEELb1EPKaPaPKSB_PSB_NS0_19identity_decomposerEEEvT1_T2_T3_T4_jT5_jj,"axG",@progbits,_ZN7rocprim17ROCPRIM_304000_NS6detail28radix_sort_block_sort_kernelINS1_36wrapped_radix_sort_block_sort_configINS0_13kernel_configILj256ELj4ELj4294967295EEEaN2at4cuda3cub6detail10OpaqueTypeILi8EEEEELb1EPKaPaPKSB_PSB_NS0_19identity_decomposerEEEvT1_T2_T3_T4_jT5_jj,comdat
	.protected	_ZN7rocprim17ROCPRIM_304000_NS6detail28radix_sort_block_sort_kernelINS1_36wrapped_radix_sort_block_sort_configINS0_13kernel_configILj256ELj4ELj4294967295EEEaN2at4cuda3cub6detail10OpaqueTypeILi8EEEEELb1EPKaPaPKSB_PSB_NS0_19identity_decomposerEEEvT1_T2_T3_T4_jT5_jj ; -- Begin function _ZN7rocprim17ROCPRIM_304000_NS6detail28radix_sort_block_sort_kernelINS1_36wrapped_radix_sort_block_sort_configINS0_13kernel_configILj256ELj4ELj4294967295EEEaN2at4cuda3cub6detail10OpaqueTypeILi8EEEEELb1EPKaPaPKSB_PSB_NS0_19identity_decomposerEEEvT1_T2_T3_T4_jT5_jj
	.globl	_ZN7rocprim17ROCPRIM_304000_NS6detail28radix_sort_block_sort_kernelINS1_36wrapped_radix_sort_block_sort_configINS0_13kernel_configILj256ELj4ELj4294967295EEEaN2at4cuda3cub6detail10OpaqueTypeILi8EEEEELb1EPKaPaPKSB_PSB_NS0_19identity_decomposerEEEvT1_T2_T3_T4_jT5_jj
	.p2align	8
	.type	_ZN7rocprim17ROCPRIM_304000_NS6detail28radix_sort_block_sort_kernelINS1_36wrapped_radix_sort_block_sort_configINS0_13kernel_configILj256ELj4ELj4294967295EEEaN2at4cuda3cub6detail10OpaqueTypeILi8EEEEELb1EPKaPaPKSB_PSB_NS0_19identity_decomposerEEEvT1_T2_T3_T4_jT5_jj,@function
_ZN7rocprim17ROCPRIM_304000_NS6detail28radix_sort_block_sort_kernelINS1_36wrapped_radix_sort_block_sort_configINS0_13kernel_configILj256ELj4ELj4294967295EEEaN2at4cuda3cub6detail10OpaqueTypeILi8EEEEELb1EPKaPaPKSB_PSB_NS0_19identity_decomposerEEEvT1_T2_T3_T4_jT5_jj: ; @_ZN7rocprim17ROCPRIM_304000_NS6detail28radix_sort_block_sort_kernelINS1_36wrapped_radix_sort_block_sort_configINS0_13kernel_configILj256ELj4ELj4294967295EEEaN2at4cuda3cub6detail10OpaqueTypeILi8EEEEELb1EPKaPaPKSB_PSB_NS0_19identity_decomposerEEEvT1_T2_T3_T4_jT5_jj
; %bb.0:
	s_load_dword s2, s[4:5], 0x20
	s_load_dwordx8 s[36:43], s[4:5], 0x0
	s_lshl_b32 s28, s6, 10
	v_mbcnt_lo_u32_b32 v3, -1, 0
	v_mbcnt_hi_u32_b32 v7, -1, v3
	s_waitcnt lgkmcnt(0)
	s_lshr_b32 s0, s2, 10
	s_cmp_lg_u32 s6, s0
	s_cselect_b64 s[30:31], -1, 0
	s_add_u32 s1, s36, s28
	s_addc_u32 s3, s37, 0
	v_lshlrev_b32_e32 v8, 2, v0
	v_mov_b32_e32 v3, s3
	v_add_co_u32_e32 v4, vcc, s1, v7
	v_and_b32_e32 v16, 0x300, v8
	v_addc_co_u32_e32 v3, vcc, 0, v3, vcc
	v_add_co_u32_e32 v5, vcc, v4, v16
	s_mov_b32 s29, 0
	s_cmp_eq_u32 s6, s0
	v_addc_co_u32_e32 v6, vcc, 0, v3, vcc
	v_lshlrev_b32_e32 v15, 3, v7
	v_lshlrev_b32_e32 v14, 3, v16
	v_add_u32_e32 v13, v7, v16
	s_cbranch_scc1 .LBB26_2
; %bb.1:
	s_lshl_b64 s[0:1], s[28:29], 3
	s_add_u32 s0, s40, s0
	s_addc_u32 s1, s41, s1
	v_mov_b32_e32 v3, s1
	v_add_co_u32_e32 v4, vcc, s0, v15
	v_addc_co_u32_e32 v3, vcc, 0, v3, vcc
	v_add_co_u32_e32 v24, vcc, v4, v14
	v_addc_co_u32_e32 v25, vcc, 0, v3, vcc
	global_load_ubyte v9, v[5:6], off offset:192
	global_load_ubyte v11, v[5:6], off offset:128
	;; [unrolled: 1-line block ×3, first 2 shown]
	global_load_ubyte v12, v[5:6], off
	global_load_dwordx2 v[3:4], v[24:25], off
	global_load_dwordx2 v[18:19], v[24:25], off offset:512
	global_load_dwordx2 v[20:21], v[24:25], off offset:1024
	;; [unrolled: 1-line block ×3, first 2 shown]
	v_add_u32_e32 v28, v7, v16
	v_add_u32_e32 v25, 64, v28
	v_add_u32_e32 v26, 0x80, v28
	v_add_u32_e32 v27, 0xc0, v28
	s_sub_i32 s33, s2, s28
	s_cbranch_execz .LBB26_3
	s_branch .LBB26_17
.LBB26_2:
                                        ; implicit-def: $vgpr12
                                        ; implicit-def: $vgpr10
                                        ; implicit-def: $vgpr11
                                        ; implicit-def: $vgpr9
                                        ; implicit-def: $vgpr3_vgpr4
                                        ; implicit-def: $vgpr18_vgpr19
                                        ; implicit-def: $vgpr20_vgpr21
                                        ; implicit-def: $vgpr22_vgpr23
                                        ; implicit-def: $vgpr28
                                        ; implicit-def: $vgpr25
                                        ; implicit-def: $vgpr26
                                        ; implicit-def: $vgpr27
	s_sub_i32 s33, s2, s28
.LBB26_3:
	v_cmp_gt_u32_e32 vcc, s33, v13
	s_waitcnt vmcnt(7)
	v_mov_b32_e32 v9, 0x80
	s_waitcnt vmcnt(4)
	v_mov_b32_e32 v12, 0x80
	v_mov_b32_e32 v10, 0x80
	;; [unrolled: 1-line block ×3, first 2 shown]
	s_and_saveexec_b64 s[0:1], vcc
	s_cbranch_execz .LBB26_5
; %bb.4:
	global_load_ubyte v12, v[5:6], off
	v_mov_b32_e32 v9, 0x80
	v_mov_b32_e32 v10, 0x80
	;; [unrolled: 1-line block ×3, first 2 shown]
.LBB26_5:
	s_or_b64 exec, exec, s[0:1]
	v_add_u32_e32 v25, 64, v13
	v_cmp_gt_u32_e64 s[0:1], s33, v25
	s_and_saveexec_b64 s[2:3], s[0:1]
	s_cbranch_execz .LBB26_7
; %bb.6:
	global_load_ubyte v10, v[5:6], off offset:64
.LBB26_7:
	s_or_b64 exec, exec, s[2:3]
	v_add_u32_e32 v26, 0x80, v13
	v_cmp_gt_u32_e64 s[2:3], s33, v26
	s_and_saveexec_b64 s[6:7], s[2:3]
	s_cbranch_execz .LBB26_9
; %bb.8:
	global_load_ubyte v11, v[5:6], off offset:128
.LBB26_9:
	;; [unrolled: 8-line block ×3, first 2 shown]
	s_or_b64 exec, exec, s[8:9]
	s_lshl_b64 s[8:9], s[28:29], 3
	s_add_u32 s8, s40, s8
	s_addc_u32 s9, s41, s9
	s_waitcnt vmcnt(3)
	v_mov_b32_e32 v3, s9
	v_add_co_u32_e64 v4, s[8:9], s8, v15
	v_addc_co_u32_e64 v3, s[8:9], 0, v3, s[8:9]
	v_add_co_u32_e64 v5, s[8:9], v4, v14
	v_addc_co_u32_e64 v6, s[8:9], 0, v3, s[8:9]
                                        ; implicit-def: $vgpr3_vgpr4
	s_and_saveexec_b64 s[8:9], vcc
	s_cbranch_execnz .LBB26_54
; %bb.12:
	s_or_b64 exec, exec, s[8:9]
                                        ; implicit-def: $vgpr18_vgpr19
	s_and_saveexec_b64 s[8:9], s[0:1]
	s_cbranch_execnz .LBB26_55
.LBB26_13:
	s_or_b64 exec, exec, s[8:9]
                                        ; implicit-def: $vgpr20_vgpr21
	s_and_saveexec_b64 s[0:1], s[2:3]
	s_cbranch_execnz .LBB26_56
.LBB26_14:
	s_or_b64 exec, exec, s[0:1]
                                        ; implicit-def: $vgpr22_vgpr23
	s_and_saveexec_b64 s[0:1], s[6:7]
	s_cbranch_execz .LBB26_16
.LBB26_15:
	global_load_dwordx2 v[22:23], v[5:6], off offset:1536
.LBB26_16:
	s_or_b64 exec, exec, s[0:1]
	v_mov_b32_e32 v28, v13
.LBB26_17:
	s_load_dwordx2 s[34:35], s[4:5], 0x28
	s_load_dword s1, s[4:5], 0x3c
	s_movk_i32 s0, 0x7f
	s_waitcnt vmcnt(0)
	v_xor_b32_sdwa v6, v10, s0 dst_sel:BYTE_1 dst_unused:UNUSED_PAD src0_sel:DWORD src1_sel:DWORD
	v_xor_b32_sdwa v9, v9, s0 dst_sel:BYTE_1 dst_unused:UNUSED_PAD src0_sel:DWORD src1_sel:DWORD
	v_xor_b32_e32 v5, 0x7f, v12
	s_waitcnt lgkmcnt(0)
	s_lshr_b32 s0, s1, 16
	s_and_b32 s1, s1, 0xffff
	v_mad_u32_u24 v1, v2, s0, v1
	v_mad_u64_u32 v[1:2], s[0:1], v1, s1, v[0:1]
	v_or_b32_sdwa v5, v5, v6 dst_sel:DWORD dst_unused:UNUSED_PAD src0_sel:BYTE_0 src1_sel:DWORD
	v_xor_b32_e32 v6, 0x7f, v11
	v_lshrrev_b32_e32 v1, 4, v1
	v_and_b32_e32 v30, 0xffffffc, v1
	v_and_b32_e32 v1, 15, v7
	v_cmp_eq_u32_e64 s[0:1], 0, v1
	v_cmp_lt_u32_e64 s[2:3], 1, v1
	v_cmp_lt_u32_e64 s[4:5], 3, v1
	;; [unrolled: 1-line block ×3, first 2 shown]
	v_and_b32_e32 v1, 16, v7
	v_or_b32_sdwa v2, v6, v9 dst_sel:WORD_1 dst_unused:UNUSED_PAD src0_sel:BYTE_0 src1_sel:DWORD
	v_cmp_eq_u32_e64 s[8:9], 0, v1
	v_or_b32_e32 v1, 63, v0
	v_or_b32_sdwa v31, v5, v2 dst_sel:DWORD dst_unused:UNUSED_PAD src0_sel:WORD_0 src1_sel:DWORD
	v_cmp_eq_u32_e64 s[12:13], v0, v1
	v_subrev_co_u32_e64 v1, s[18:19], 1, v7
	v_and_b32_e32 v2, 64, v7
	v_cmp_lt_i32_e32 vcc, v1, v2
	v_and_b32_e32 v2, 3, v7
	v_cmp_lt_u32_e64 s[10:11], 31, v7
	v_cndmask_b32_e32 v1, v1, v7, vcc
	v_cmp_eq_u32_e64 s[22:23], 0, v2
	v_cmp_lt_u32_e64 s[24:25], 1, v2
	v_mul_lo_u32 v2, v28, 7
	v_mul_lo_u32 v5, v25, 7
	v_mul_lo_u32 v6, v26, 7
	v_mul_lo_u32 v7, v27, 7
	s_mov_b32 s26, 0
	v_lshlrev_b32_e32 v32, 2, v1
	v_lshrrev_b32_e32 v1, 4, v0
	s_mov_b32 s40, s26
	v_lshlrev_b32_e32 v29, 2, v8
	v_and_b32_e32 v33, 12, v1
	v_mul_i32_i24_e32 v1, -12, v0
	s_mov_b32 s27, s26
	s_mov_b32 s41, s26
	v_mov_b32_e32 v13, s26
	v_mov_b32_e32 v15, s40
	s_add_i32 s36, s35, s34
	v_cmp_gt_u32_e64 s[14:15], 4, v0
	v_cmp_lt_u32_e64 s[16:17], 63, v0
	v_cmp_eq_u32_e64 s[20:21], 0, v0
	v_mov_b32_e32 v14, s27
	v_mov_b32_e32 v16, s41
	;; [unrolled: 1-line block ×3, first 2 shown]
	v_add_u32_e32 v34, v29, v1
	s_mov_b32 s37, 0xc0c0004
	v_add_u32_e32 v35, v28, v2
	v_add_u32_e32 v36, v25, v5
	;; [unrolled: 1-line block ×4, first 2 shown]
	s_branch .LBB26_19
.LBB26_18:                              ;   in Loop: Header=BB26_19 Depth=1
	s_andn2_b64 vcc, exec, s[26:27]
	s_mov_b32 s35, s40
	s_cbranch_vccz .LBB26_35
.LBB26_19:                              ; =>This Inner Loop Header: Depth=1
	s_min_u32 s26, s35, 8
	s_lshl_b32 s26, -1, s26
	s_not_b32 s40, s26
	v_lshrrev_b32_sdwa v1, s34, v31 dst_sel:DWORD dst_unused:UNUSED_PAD src0_sel:DWORD src1_sel:BYTE_0
	v_and_b32_e32 v1, s40, v1
	v_mov_b32_e32 v12, v4
	v_and_b32_e32 v2, 1, v1
	v_mov_b32_e32 v11, v3
	v_mov_b32_e32 v9, v18
	v_add_co_u32_e32 v4, vcc, -1, v2
	v_mov_b32_e32 v10, v19
	v_addc_co_u32_e64 v18, s[26:27], 0, -1, vcc
	v_cmp_ne_u32_e32 vcc, 0, v2
	v_xor_b32_e32 v2, vcc_hi, v18
	v_lshlrev_b32_e32 v18, 30, v1
	v_xor_b32_e32 v4, vcc_lo, v4
	v_cmp_gt_i64_e32 vcc, 0, v[17:18]
	v_not_b32_e32 v18, v18
	v_ashrrev_i32_e32 v18, 31, v18
	v_and_b32_e32 v4, exec_lo, v4
	v_xor_b32_e32 v19, vcc_hi, v18
	v_xor_b32_e32 v18, vcc_lo, v18
	v_and_b32_e32 v4, v4, v18
	v_lshlrev_b32_e32 v18, 29, v1
	v_cmp_gt_i64_e32 vcc, 0, v[17:18]
	v_not_b32_e32 v18, v18
	v_and_b32_e32 v2, exec_hi, v2
	v_ashrrev_i32_e32 v18, 31, v18
	v_and_b32_e32 v2, v2, v19
	v_xor_b32_e32 v19, vcc_hi, v18
	v_xor_b32_e32 v18, vcc_lo, v18
	v_and_b32_e32 v4, v4, v18
	v_lshlrev_b32_e32 v18, 28, v1
	v_cmp_gt_i64_e32 vcc, 0, v[17:18]
	v_not_b32_e32 v18, v18
	v_ashrrev_i32_e32 v18, 31, v18
	v_and_b32_e32 v2, v2, v19
	v_xor_b32_e32 v19, vcc_hi, v18
	v_xor_b32_e32 v18, vcc_lo, v18
	v_and_b32_e32 v4, v4, v18
	v_lshlrev_b32_e32 v18, 27, v1
	v_cmp_gt_i64_e32 vcc, 0, v[17:18]
	v_not_b32_e32 v18, v18
	;; [unrolled: 8-line block ×4, first 2 shown]
	v_ashrrev_i32_e32 v18, 31, v18
	v_and_b32_e32 v2, v2, v19
	v_xor_b32_e32 v19, vcc_hi, v18
	v_xor_b32_e32 v18, vcc_lo, v18
	v_and_b32_e32 v4, v4, v18
	v_lshlrev_b32_e32 v18, 24, v1
	v_lshlrev_b32_e32 v3, 4, v1
	v_cmp_gt_i64_e32 vcc, 0, v[17:18]
	v_not_b32_e32 v1, v18
	v_ashrrev_i32_e32 v1, 31, v1
	v_xor_b32_e32 v18, vcc_hi, v1
	v_xor_b32_e32 v1, vcc_lo, v1
	v_and_b32_e32 v2, v2, v19
	v_and_b32_e32 v1, v4, v1
	;; [unrolled: 1-line block ×3, first 2 shown]
	v_mbcnt_lo_u32_b32 v4, v1, 0
	v_mbcnt_hi_u32_b32 v19, v2, v4
	v_cmp_ne_u64_e32 vcc, 0, v[1:2]
	v_mov_b32_e32 v7, v20
	v_mov_b32_e32 v5, v22
	v_cmp_eq_u32_e64 s[26:27], 0, v19
	v_mov_b32_e32 v8, v21
	v_mov_b32_e32 v6, v23
	s_and_b64 s[44:45], vcc, s[26:27]
	v_add_u32_e32 v20, v30, v3
	ds_write2_b64 v29, v[13:14], v[15:16] offset0:2 offset1:3
	s_waitcnt lgkmcnt(0)
	s_barrier
	; wave barrier
	s_and_saveexec_b64 s[26:27], s[44:45]
; %bb.20:                               ;   in Loop: Header=BB26_19 Depth=1
	v_bcnt_u32_b32 v1, v1, 0
	v_bcnt_u32_b32 v1, v2, v1
	ds_write_b32 v20, v1 offset:16
; %bb.21:                               ;   in Loop: Header=BB26_19 Depth=1
	s_or_b64 exec, exec, s[26:27]
	v_lshrrev_b32_sdwa v1, s34, v31 dst_sel:DWORD dst_unused:UNUSED_PAD src0_sel:DWORD src1_sel:BYTE_1
	v_and_b32_e32 v1, s40, v1
	v_lshlrev_b32_e32 v2, 4, v1
	v_add_u32_e32 v22, v30, v2
	v_and_b32_e32 v2, 1, v1
	v_add_co_u32_e32 v3, vcc, -1, v2
	v_addc_co_u32_e64 v4, s[26:27], 0, -1, vcc
	v_cmp_ne_u32_e32 vcc, 0, v2
	v_lshlrev_b32_e32 v18, 30, v1
	v_xor_b32_e32 v2, vcc_hi, v4
	v_xor_b32_e32 v3, vcc_lo, v3
	v_cmp_gt_i64_e32 vcc, 0, v[17:18]
	v_not_b32_e32 v4, v18
	v_ashrrev_i32_e32 v4, 31, v4
	v_and_b32_e32 v2, exec_hi, v2
	v_xor_b32_e32 v18, vcc_hi, v4
	v_and_b32_e32 v3, exec_lo, v3
	v_xor_b32_e32 v4, vcc_lo, v4
	v_and_b32_e32 v2, v2, v18
	v_lshlrev_b32_e32 v18, 29, v1
	v_and_b32_e32 v3, v3, v4
	v_cmp_gt_i64_e32 vcc, 0, v[17:18]
	v_not_b32_e32 v4, v18
	v_ashrrev_i32_e32 v4, 31, v4
	v_xor_b32_e32 v18, vcc_hi, v4
	v_xor_b32_e32 v4, vcc_lo, v4
	v_and_b32_e32 v2, v2, v18
	v_lshlrev_b32_e32 v18, 28, v1
	v_and_b32_e32 v3, v3, v4
	v_cmp_gt_i64_e32 vcc, 0, v[17:18]
	v_not_b32_e32 v4, v18
	v_ashrrev_i32_e32 v4, 31, v4
	v_xor_b32_e32 v18, vcc_hi, v4
	v_xor_b32_e32 v4, vcc_lo, v4
	v_and_b32_e32 v2, v2, v18
	v_lshlrev_b32_e32 v18, 27, v1
	v_and_b32_e32 v3, v3, v4
	v_cmp_gt_i64_e32 vcc, 0, v[17:18]
	v_not_b32_e32 v4, v18
	v_ashrrev_i32_e32 v4, 31, v4
	v_xor_b32_e32 v18, vcc_hi, v4
	v_xor_b32_e32 v4, vcc_lo, v4
	v_and_b32_e32 v2, v2, v18
	v_lshlrev_b32_e32 v18, 26, v1
	v_and_b32_e32 v3, v3, v4
	v_cmp_gt_i64_e32 vcc, 0, v[17:18]
	v_not_b32_e32 v4, v18
	v_ashrrev_i32_e32 v4, 31, v4
	v_xor_b32_e32 v18, vcc_hi, v4
	v_xor_b32_e32 v4, vcc_lo, v4
	v_and_b32_e32 v2, v2, v18
	v_lshlrev_b32_e32 v18, 25, v1
	v_and_b32_e32 v3, v3, v4
	v_cmp_gt_i64_e32 vcc, 0, v[17:18]
	v_not_b32_e32 v4, v18
	v_ashrrev_i32_e32 v4, 31, v4
	v_xor_b32_e32 v18, vcc_hi, v4
	v_and_b32_e32 v2, v2, v18
	v_lshlrev_b32_e32 v18, 24, v1
	v_xor_b32_e32 v4, vcc_lo, v4
	v_cmp_gt_i64_e32 vcc, 0, v[17:18]
	v_not_b32_e32 v1, v18
	v_ashrrev_i32_e32 v1, 31, v1
	v_and_b32_e32 v3, v3, v4
	v_xor_b32_e32 v4, vcc_hi, v1
	v_xor_b32_e32 v1, vcc_lo, v1
	; wave barrier
	ds_read_b32 v21, v22 offset:16
	v_and_b32_e32 v1, v3, v1
	v_and_b32_e32 v2, v2, v4
	v_mbcnt_lo_u32_b32 v3, v1, 0
	v_mbcnt_hi_u32_b32 v23, v2, v3
	v_cmp_ne_u64_e32 vcc, 0, v[1:2]
	v_cmp_eq_u32_e64 s[26:27], 0, v23
	s_and_b64 s[44:45], vcc, s[26:27]
	; wave barrier
	s_and_saveexec_b64 s[26:27], s[44:45]
	s_cbranch_execz .LBB26_23
; %bb.22:                               ;   in Loop: Header=BB26_19 Depth=1
	v_bcnt_u32_b32 v1, v1, 0
	v_bcnt_u32_b32 v1, v2, v1
	s_waitcnt lgkmcnt(0)
	v_add_u32_e32 v1, v21, v1
	ds_write_b32 v22, v1 offset:16
.LBB26_23:                              ;   in Loop: Header=BB26_19 Depth=1
	s_or_b64 exec, exec, s[26:27]
	v_lshrrev_b32_sdwa v1, s34, v31 dst_sel:DWORD dst_unused:UNUSED_PAD src0_sel:DWORD src1_sel:BYTE_2
	v_and_b32_e32 v1, s40, v1
	v_lshlrev_b32_e32 v2, 4, v1
	v_add_u32_e32 v24, v30, v2
	v_and_b32_e32 v2, 1, v1
	v_add_co_u32_e32 v3, vcc, -1, v2
	v_addc_co_u32_e64 v4, s[26:27], 0, -1, vcc
	v_cmp_ne_u32_e32 vcc, 0, v2
	v_lshlrev_b32_e32 v18, 30, v1
	v_xor_b32_e32 v2, vcc_hi, v4
	v_xor_b32_e32 v3, vcc_lo, v3
	v_cmp_gt_i64_e32 vcc, 0, v[17:18]
	v_not_b32_e32 v4, v18
	v_ashrrev_i32_e32 v4, 31, v4
	v_and_b32_e32 v2, exec_hi, v2
	v_xor_b32_e32 v18, vcc_hi, v4
	v_and_b32_e32 v3, exec_lo, v3
	v_xor_b32_e32 v4, vcc_lo, v4
	v_and_b32_e32 v2, v2, v18
	v_lshlrev_b32_e32 v18, 29, v1
	v_and_b32_e32 v3, v3, v4
	v_cmp_gt_i64_e32 vcc, 0, v[17:18]
	v_not_b32_e32 v4, v18
	v_ashrrev_i32_e32 v4, 31, v4
	v_xor_b32_e32 v18, vcc_hi, v4
	v_xor_b32_e32 v4, vcc_lo, v4
	v_and_b32_e32 v2, v2, v18
	v_lshlrev_b32_e32 v18, 28, v1
	v_and_b32_e32 v3, v3, v4
	v_cmp_gt_i64_e32 vcc, 0, v[17:18]
	v_not_b32_e32 v4, v18
	v_ashrrev_i32_e32 v4, 31, v4
	v_xor_b32_e32 v18, vcc_hi, v4
	;; [unrolled: 8-line block ×5, first 2 shown]
	v_and_b32_e32 v2, v2, v18
	v_lshlrev_b32_e32 v18, 24, v1
	v_xor_b32_e32 v4, vcc_lo, v4
	v_cmp_gt_i64_e32 vcc, 0, v[17:18]
	v_not_b32_e32 v1, v18
	v_ashrrev_i32_e32 v1, 31, v1
	v_and_b32_e32 v3, v3, v4
	v_xor_b32_e32 v4, vcc_hi, v1
	v_xor_b32_e32 v1, vcc_lo, v1
	; wave barrier
	ds_read_b32 v39, v24 offset:16
	v_and_b32_e32 v1, v3, v1
	v_and_b32_e32 v2, v2, v4
	v_mbcnt_lo_u32_b32 v3, v1, 0
	v_mbcnt_hi_u32_b32 v41, v2, v3
	v_cmp_ne_u64_e32 vcc, 0, v[1:2]
	v_cmp_eq_u32_e64 s[26:27], 0, v41
	s_and_b64 s[44:45], vcc, s[26:27]
	; wave barrier
	s_and_saveexec_b64 s[26:27], s[44:45]
	s_cbranch_execz .LBB26_25
; %bb.24:                               ;   in Loop: Header=BB26_19 Depth=1
	v_bcnt_u32_b32 v1, v1, 0
	v_bcnt_u32_b32 v1, v2, v1
	s_waitcnt lgkmcnt(0)
	v_add_u32_e32 v1, v39, v1
	ds_write_b32 v24, v1 offset:16
.LBB26_25:                              ;   in Loop: Header=BB26_19 Depth=1
	s_or_b64 exec, exec, s[26:27]
	v_lshrrev_b32_e32 v40, 24, v31
	v_lshrrev_b32_e32 v1, s34, v40
	v_and_b32_e32 v1, s40, v1
	v_lshlrev_b32_e32 v2, 4, v1
	v_add_u32_e32 v43, v30, v2
	v_and_b32_e32 v2, 1, v1
	v_add_co_u32_e32 v3, vcc, -1, v2
	v_addc_co_u32_e64 v4, s[26:27], 0, -1, vcc
	v_cmp_ne_u32_e32 vcc, 0, v2
	v_lshlrev_b32_e32 v18, 30, v1
	v_xor_b32_e32 v2, vcc_hi, v4
	v_xor_b32_e32 v3, vcc_lo, v3
	v_cmp_gt_i64_e32 vcc, 0, v[17:18]
	v_not_b32_e32 v4, v18
	v_ashrrev_i32_e32 v4, 31, v4
	v_and_b32_e32 v2, exec_hi, v2
	v_xor_b32_e32 v18, vcc_hi, v4
	v_and_b32_e32 v3, exec_lo, v3
	v_xor_b32_e32 v4, vcc_lo, v4
	v_and_b32_e32 v2, v2, v18
	v_lshlrev_b32_e32 v18, 29, v1
	v_and_b32_e32 v3, v3, v4
	v_cmp_gt_i64_e32 vcc, 0, v[17:18]
	v_not_b32_e32 v4, v18
	v_ashrrev_i32_e32 v4, 31, v4
	v_xor_b32_e32 v18, vcc_hi, v4
	v_xor_b32_e32 v4, vcc_lo, v4
	v_and_b32_e32 v2, v2, v18
	v_lshlrev_b32_e32 v18, 28, v1
	v_and_b32_e32 v3, v3, v4
	v_cmp_gt_i64_e32 vcc, 0, v[17:18]
	v_not_b32_e32 v4, v18
	v_ashrrev_i32_e32 v4, 31, v4
	v_xor_b32_e32 v18, vcc_hi, v4
	;; [unrolled: 8-line block ×5, first 2 shown]
	v_and_b32_e32 v2, v2, v18
	v_lshlrev_b32_e32 v18, 24, v1
	v_xor_b32_e32 v4, vcc_lo, v4
	v_cmp_gt_i64_e32 vcc, 0, v[17:18]
	v_not_b32_e32 v1, v18
	v_ashrrev_i32_e32 v1, 31, v1
	v_and_b32_e32 v3, v3, v4
	v_xor_b32_e32 v4, vcc_hi, v1
	v_xor_b32_e32 v1, vcc_lo, v1
	; wave barrier
	ds_read_b32 v42, v43 offset:16
	v_and_b32_e32 v1, v3, v1
	v_and_b32_e32 v2, v2, v4
	v_mbcnt_lo_u32_b32 v3, v1, 0
	v_mbcnt_hi_u32_b32 v18, v2, v3
	v_cmp_ne_u64_e32 vcc, 0, v[1:2]
	v_cmp_eq_u32_e64 s[26:27], 0, v18
	s_and_b64 s[40:41], vcc, s[26:27]
	; wave barrier
	s_and_saveexec_b64 s[26:27], s[40:41]
	s_cbranch_execz .LBB26_27
; %bb.26:                               ;   in Loop: Header=BB26_19 Depth=1
	v_bcnt_u32_b32 v1, v1, 0
	v_bcnt_u32_b32 v1, v2, v1
	s_waitcnt lgkmcnt(0)
	v_add_u32_e32 v1, v42, v1
	ds_write_b32 v43, v1 offset:16
.LBB26_27:                              ;   in Loop: Header=BB26_19 Depth=1
	s_or_b64 exec, exec, s[26:27]
	; wave barrier
	s_waitcnt lgkmcnt(0)
	s_barrier
	ds_read2_b64 v[1:4], v29 offset0:2 offset1:3
	s_waitcnt lgkmcnt(0)
	v_add_u32_e32 v44, v2, v1
	v_add3_u32 v4, v44, v3, v4
	s_nop 1
	v_mov_b32_dpp v44, v4 row_shr:1 row_mask:0xf bank_mask:0xf
	v_cndmask_b32_e64 v44, v44, 0, s[0:1]
	v_add_u32_e32 v4, v44, v4
	s_nop 1
	v_mov_b32_dpp v44, v4 row_shr:2 row_mask:0xf bank_mask:0xf
	v_cndmask_b32_e64 v44, 0, v44, s[2:3]
	v_add_u32_e32 v4, v4, v44
	;; [unrolled: 4-line block ×4, first 2 shown]
	s_nop 1
	v_mov_b32_dpp v44, v4 row_bcast:15 row_mask:0xf bank_mask:0xf
	v_cndmask_b32_e64 v44, v44, 0, s[8:9]
	v_add_u32_e32 v4, v4, v44
	s_nop 1
	v_mov_b32_dpp v44, v4 row_bcast:31 row_mask:0xf bank_mask:0xf
	v_cndmask_b32_e64 v44, 0, v44, s[10:11]
	v_add_u32_e32 v4, v4, v44
	s_and_saveexec_b64 s[26:27], s[12:13]
; %bb.28:                               ;   in Loop: Header=BB26_19 Depth=1
	ds_write_b32 v33, v4
; %bb.29:                               ;   in Loop: Header=BB26_19 Depth=1
	s_or_b64 exec, exec, s[26:27]
	s_waitcnt lgkmcnt(0)
	s_barrier
	s_and_saveexec_b64 s[26:27], s[14:15]
	s_cbranch_execz .LBB26_31
; %bb.30:                               ;   in Loop: Header=BB26_19 Depth=1
	ds_read_b32 v44, v34
	s_waitcnt lgkmcnt(0)
	s_nop 0
	v_mov_b32_dpp v45, v44 row_shr:1 row_mask:0xf bank_mask:0xf
	v_cndmask_b32_e64 v45, v45, 0, s[22:23]
	v_add_u32_e32 v44, v45, v44
	s_nop 1
	v_mov_b32_dpp v45, v44 row_shr:2 row_mask:0xf bank_mask:0xf
	v_cndmask_b32_e64 v45, 0, v45, s[24:25]
	v_add_u32_e32 v44, v44, v45
	ds_write_b32 v34, v44
.LBB26_31:                              ;   in Loop: Header=BB26_19 Depth=1
	s_or_b64 exec, exec, s[26:27]
	v_mov_b32_e32 v46, 0
	s_waitcnt lgkmcnt(0)
	s_barrier
	s_and_saveexec_b64 s[26:27], s[16:17]
; %bb.32:                               ;   in Loop: Header=BB26_19 Depth=1
	v_add_u32_e32 v44, -4, v33
	ds_read_b32 v46, v44
; %bb.33:                               ;   in Loop: Header=BB26_19 Depth=1
	s_or_b64 exec, exec, s[26:27]
	s_waitcnt lgkmcnt(0)
	v_add_u32_e32 v4, v46, v4
	ds_bpermute_b32 v4, v32, v4
	s_add_i32 s34, s34, 8
	v_mov_b32_e32 v44, v31
	v_lshrrev_b32_e32 v45, 8, v31
	s_cmp_ge_u32 s34, s36
	s_waitcnt lgkmcnt(0)
	v_cndmask_b32_e64 v4, v4, v46, s[18:19]
	v_cndmask_b32_e64 v46, v4, 0, s[20:21]
	v_add_u32_e32 v47, v46, v1
	v_add_u32_e32 v1, v47, v2
	;; [unrolled: 1-line block ×3, first 2 shown]
	ds_write2_b64 v29, v[46:47], v[1:2] offset0:2 offset1:3
	s_waitcnt lgkmcnt(0)
	s_barrier
	ds_read_b32 v1, v20 offset:16
	ds_read_b32 v2, v22 offset:16
	;; [unrolled: 1-line block ×4, first 2 shown]
	v_lshrrev_b32_e32 v46, 16, v31
	s_waitcnt lgkmcnt(3)
	v_add_u32_e32 v43, v1, v19
	s_waitcnt lgkmcnt(2)
	v_add3_u32 v24, v23, v21, v2
	s_waitcnt lgkmcnt(1)
	v_add3_u32 v2, v41, v39, v3
	v_mul_lo_u32 v39, v43, 7
	s_waitcnt lgkmcnt(0)
	v_add3_u32 v1, v18, v42, v4
	s_mov_b64 s[26:27], -1
	v_readfirstlane_b32 s40, v0
                                        ; implicit-def: $vgpr3_vgpr4
                                        ; implicit-def: $vgpr18_vgpr19
                                        ; implicit-def: $vgpr20_vgpr21
                                        ; implicit-def: $vgpr22_vgpr23
	s_cbranch_scc1 .LBB26_18
; %bb.34:                               ;   in Loop: Header=BB26_19 Depth=1
	s_barrier
	ds_write_b8 v43, v31
	ds_write_b8 v24, v45
	ds_write_b8 v2, v46
	ds_write_b8 v1, v40
	s_waitcnt lgkmcnt(0)
	s_barrier
	ds_read_u8 v3, v25
	ds_read_u8 v4, v26
	;; [unrolled: 1-line block ×4, first 2 shown]
	v_add_u32_e32 v21, v43, v39
	s_waitcnt lgkmcnt(0)
	s_barrier
	v_perm_b32 v3, v18, v3, s37
	v_perm_b32 v4, v4, v19, s37
	v_lshl_or_b32 v31, v4, 16, v3
	v_mad_u64_u32 v[3:4], s[26:27], v24, 7, v[24:25]
	s_add_i32 s40, s35, -8
	v_mad_u64_u32 v[18:19], s[26:27], v2, 7, v[2:3]
	v_mad_u64_u32 v[19:20], s[26:27], v1, 7, v[1:2]
	ds_write_b64 v21, v[11:12]
	ds_write_b64 v3, v[9:10]
	ds_write_b64 v18, v[7:8]
	ds_write_b64 v19, v[5:6]
	s_waitcnt lgkmcnt(0)
	s_barrier
	ds_read_b64 v[3:4], v35
	ds_read_b64 v[18:19], v36
	;; [unrolled: 1-line block ×4, first 2 shown]
	s_mov_b64 s[26:27], 0
	s_waitcnt lgkmcnt(0)
	s_barrier
	s_branch .LBB26_18
.LBB26_35:
	v_mad_u64_u32 v[3:4], s[0:1], v24, 7, v[24:25]
	s_barrier
	v_mad_u64_u32 v[13:14], s[0:1], v2, 7, v[2:3]
	ds_write_b8 v43, v44
	ds_write_b8 v24, v45
	;; [unrolled: 1-line block ×4, first 2 shown]
	v_add_u32_e32 v19, v43, v39
	v_mad_u64_u32 v[1:2], s[0:1], v1, 7, v[1:2]
	s_waitcnt lgkmcnt(0)
	s_barrier
	ds_read_u8 v15, v0
	ds_read_u8 v16, v0 offset:256
	ds_read_u8 v17, v0 offset:512
	;; [unrolled: 1-line block ×3, first 2 shown]
	s_waitcnt lgkmcnt(0)
	s_barrier
	ds_write_b64 v19, v[11:12]
	ds_write_b64 v3, v[9:10]
	;; [unrolled: 1-line block ×4, first 2 shown]
	v_mad_u32_u24 v1, v0, 7, v0
	s_waitcnt lgkmcnt(0)
	s_barrier
	ds_read2st64_b64 v[5:8], v1 offset1:4
	ds_read2st64_b64 v[1:4], v1 offset0:8 offset1:12
	s_add_u32 s0, s38, s28
	s_addc_u32 s1, s39, 0
	v_mov_b32_e32 v10, s1
	v_add_co_u32_e32 v9, vcc, s0, v0
	v_addc_co_u32_e32 v10, vcc, 0, v10, vcc
	v_xor_b32_e32 v15, 0x7f, v15
	v_xor_b32_e32 v14, 0x7f, v16
	;; [unrolled: 1-line block ×4, first 2 shown]
	s_andn2_b64 vcc, exec, s[30:31]
	v_lshlrev_b32_e32 v11, 3, v0
	s_cbranch_vccnz .LBB26_37
; %bb.36:
	s_lshl_b64 s[0:1], s[28:29], 3
	s_add_u32 s0, s42, s0
	s_addc_u32 s1, s43, s1
	v_mov_b32_e32 v16, s1
	v_add_co_u32_e32 v17, vcc, s0, v11
	v_addc_co_u32_e32 v18, vcc, 0, v16, vcc
	v_add_co_u32_e32 v16, vcc, 0x1000, v17
	global_store_byte v[9:10], v15, off
	global_store_byte v[9:10], v14, off offset:256
	global_store_byte v[9:10], v13, off offset:512
	;; [unrolled: 1-line block ×3, first 2 shown]
	s_waitcnt lgkmcnt(1)
	global_store_dwordx2 v11, v[5:6], s[0:1]
	global_store_dwordx2 v11, v[7:8], s[0:1] offset:2048
	v_addc_co_u32_e32 v17, vcc, 0, v18, vcc
	s_mov_b64 s[6:7], -1
	s_waitcnt lgkmcnt(0)
	global_store_dwordx2 v[16:17], v[1:2], off
	s_cbranch_execz .LBB26_38
	s_branch .LBB26_51
.LBB26_37:
	s_mov_b64 s[6:7], 0
.LBB26_38:
	v_cmp_gt_u32_e32 vcc, s33, v0
	s_and_saveexec_b64 s[0:1], vcc
	s_cbranch_execz .LBB26_40
; %bb.39:
	global_store_byte v[9:10], v15, off
.LBB26_40:
	s_or_b64 exec, exec, s[0:1]
	v_or_b32_e32 v15, 0x100, v0
	v_cmp_gt_u32_e64 s[0:1], s33, v15
	s_and_saveexec_b64 s[2:3], s[0:1]
	s_cbranch_execz .LBB26_42
; %bb.41:
	global_store_byte v[9:10], v14, off offset:256
.LBB26_42:
	s_or_b64 exec, exec, s[2:3]
	v_or_b32_e32 v14, 0x200, v0
	v_cmp_gt_u32_e64 s[2:3], s33, v14
	s_and_saveexec_b64 s[4:5], s[2:3]
	s_cbranch_execz .LBB26_44
; %bb.43:
	global_store_byte v[9:10], v13, off offset:512
.LBB26_44:
	;; [unrolled: 8-line block ×3, first 2 shown]
	s_or_b64 exec, exec, s[4:5]
	s_lshl_b64 s[4:5], s[28:29], 3
	s_add_u32 s4, s42, s4
	s_addc_u32 s5, s43, s5
	v_mov_b32_e32 v0, s5
	v_add_co_u32_e64 v9, s[4:5], s4, v11
	v_addc_co_u32_e64 v10, s[4:5], 0, v0, s[4:5]
	s_and_saveexec_b64 s[4:5], vcc
	s_cbranch_execnz .LBB26_57
; %bb.47:
	s_or_b64 exec, exec, s[4:5]
	s_and_saveexec_b64 s[4:5], s[0:1]
	s_cbranch_execnz .LBB26_58
.LBB26_48:
	s_or_b64 exec, exec, s[4:5]
	s_and_saveexec_b64 s[0:1], s[2:3]
	s_cbranch_execz .LBB26_50
.LBB26_49:
	s_waitcnt lgkmcnt(1)
	v_add_co_u32_e32 v5, vcc, 0x1000, v9
	v_addc_co_u32_e32 v6, vcc, 0, v10, vcc
	s_waitcnt lgkmcnt(0)
	global_store_dwordx2 v[5:6], v[1:2], off
.LBB26_50:
	s_or_b64 exec, exec, s[0:1]
.LBB26_51:
	s_and_saveexec_b64 s[0:1], s[6:7]
	s_cbranch_execnz .LBB26_53
; %bb.52:
	s_endpgm
.LBB26_53:
	s_lshl_b64 s[0:1], s[28:29], 3
	s_add_u32 s0, s42, s0
	s_addc_u32 s1, s43, s1
	v_mov_b32_e32 v0, s1
	s_waitcnt lgkmcnt(0)
	v_add_co_u32_e32 v1, vcc, s0, v11
	v_addc_co_u32_e32 v2, vcc, 0, v0, vcc
	v_add_co_u32_e32 v0, vcc, 0x1000, v1
	v_addc_co_u32_e32 v1, vcc, 0, v2, vcc
	global_store_dwordx2 v[0:1], v[3:4], off offset:2048
	s_endpgm
.LBB26_54:
	global_load_dwordx2 v[3:4], v[5:6], off
	s_or_b64 exec, exec, s[8:9]
                                        ; implicit-def: $vgpr18_vgpr19
	s_and_saveexec_b64 s[8:9], s[0:1]
	s_cbranch_execz .LBB26_13
.LBB26_55:
	global_load_dwordx2 v[18:19], v[5:6], off offset:512
	s_or_b64 exec, exec, s[8:9]
                                        ; implicit-def: $vgpr20_vgpr21
	s_and_saveexec_b64 s[0:1], s[2:3]
	s_cbranch_execz .LBB26_14
.LBB26_56:
	global_load_dwordx2 v[20:21], v[5:6], off offset:1024
	s_or_b64 exec, exec, s[0:1]
                                        ; implicit-def: $vgpr22_vgpr23
	s_and_saveexec_b64 s[0:1], s[6:7]
	s_cbranch_execnz .LBB26_15
	s_branch .LBB26_16
.LBB26_57:
	s_waitcnt lgkmcnt(1)
	global_store_dwordx2 v[9:10], v[5:6], off
	s_or_b64 exec, exec, s[4:5]
	s_and_saveexec_b64 s[4:5], s[0:1]
	s_cbranch_execz .LBB26_48
.LBB26_58:
	s_waitcnt lgkmcnt(1)
	global_store_dwordx2 v[9:10], v[7:8], off offset:2048
	s_or_b64 exec, exec, s[4:5]
	s_and_saveexec_b64 s[0:1], s[2:3]
	s_cbranch_execnz .LBB26_49
	s_branch .LBB26_50
	.section	.rodata,"a",@progbits
	.p2align	6, 0x0
	.amdhsa_kernel _ZN7rocprim17ROCPRIM_304000_NS6detail28radix_sort_block_sort_kernelINS1_36wrapped_radix_sort_block_sort_configINS0_13kernel_configILj256ELj4ELj4294967295EEEaN2at4cuda3cub6detail10OpaqueTypeILi8EEEEELb1EPKaPaPKSB_PSB_NS0_19identity_decomposerEEEvT1_T2_T3_T4_jT5_jj
		.amdhsa_group_segment_fixed_size 8192
		.amdhsa_private_segment_fixed_size 0
		.amdhsa_kernarg_size 304
		.amdhsa_user_sgpr_count 6
		.amdhsa_user_sgpr_private_segment_buffer 1
		.amdhsa_user_sgpr_dispatch_ptr 0
		.amdhsa_user_sgpr_queue_ptr 0
		.amdhsa_user_sgpr_kernarg_segment_ptr 1
		.amdhsa_user_sgpr_dispatch_id 0
		.amdhsa_user_sgpr_flat_scratch_init 0
		.amdhsa_user_sgpr_private_segment_size 0
		.amdhsa_uses_dynamic_stack 0
		.amdhsa_system_sgpr_private_segment_wavefront_offset 0
		.amdhsa_system_sgpr_workgroup_id_x 1
		.amdhsa_system_sgpr_workgroup_id_y 0
		.amdhsa_system_sgpr_workgroup_id_z 0
		.amdhsa_system_sgpr_workgroup_info 0
		.amdhsa_system_vgpr_workitem_id 2
		.amdhsa_next_free_vgpr 48
		.amdhsa_next_free_sgpr 61
		.amdhsa_reserve_vcc 1
		.amdhsa_reserve_flat_scratch 0
		.amdhsa_float_round_mode_32 0
		.amdhsa_float_round_mode_16_64 0
		.amdhsa_float_denorm_mode_32 3
		.amdhsa_float_denorm_mode_16_64 3
		.amdhsa_dx10_clamp 1
		.amdhsa_ieee_mode 1
		.amdhsa_fp16_overflow 0
		.amdhsa_exception_fp_ieee_invalid_op 0
		.amdhsa_exception_fp_denorm_src 0
		.amdhsa_exception_fp_ieee_div_zero 0
		.amdhsa_exception_fp_ieee_overflow 0
		.amdhsa_exception_fp_ieee_underflow 0
		.amdhsa_exception_fp_ieee_inexact 0
		.amdhsa_exception_int_div_zero 0
	.end_amdhsa_kernel
	.section	.text._ZN7rocprim17ROCPRIM_304000_NS6detail28radix_sort_block_sort_kernelINS1_36wrapped_radix_sort_block_sort_configINS0_13kernel_configILj256ELj4ELj4294967295EEEaN2at4cuda3cub6detail10OpaqueTypeILi8EEEEELb1EPKaPaPKSB_PSB_NS0_19identity_decomposerEEEvT1_T2_T3_T4_jT5_jj,"axG",@progbits,_ZN7rocprim17ROCPRIM_304000_NS6detail28radix_sort_block_sort_kernelINS1_36wrapped_radix_sort_block_sort_configINS0_13kernel_configILj256ELj4ELj4294967295EEEaN2at4cuda3cub6detail10OpaqueTypeILi8EEEEELb1EPKaPaPKSB_PSB_NS0_19identity_decomposerEEEvT1_T2_T3_T4_jT5_jj,comdat
.Lfunc_end26:
	.size	_ZN7rocprim17ROCPRIM_304000_NS6detail28radix_sort_block_sort_kernelINS1_36wrapped_radix_sort_block_sort_configINS0_13kernel_configILj256ELj4ELj4294967295EEEaN2at4cuda3cub6detail10OpaqueTypeILi8EEEEELb1EPKaPaPKSB_PSB_NS0_19identity_decomposerEEEvT1_T2_T3_T4_jT5_jj, .Lfunc_end26-_ZN7rocprim17ROCPRIM_304000_NS6detail28radix_sort_block_sort_kernelINS1_36wrapped_radix_sort_block_sort_configINS0_13kernel_configILj256ELj4ELj4294967295EEEaN2at4cuda3cub6detail10OpaqueTypeILi8EEEEELb1EPKaPaPKSB_PSB_NS0_19identity_decomposerEEEvT1_T2_T3_T4_jT5_jj
                                        ; -- End function
	.set _ZN7rocprim17ROCPRIM_304000_NS6detail28radix_sort_block_sort_kernelINS1_36wrapped_radix_sort_block_sort_configINS0_13kernel_configILj256ELj4ELj4294967295EEEaN2at4cuda3cub6detail10OpaqueTypeILi8EEEEELb1EPKaPaPKSB_PSB_NS0_19identity_decomposerEEEvT1_T2_T3_T4_jT5_jj.num_vgpr, 48
	.set _ZN7rocprim17ROCPRIM_304000_NS6detail28radix_sort_block_sort_kernelINS1_36wrapped_radix_sort_block_sort_configINS0_13kernel_configILj256ELj4ELj4294967295EEEaN2at4cuda3cub6detail10OpaqueTypeILi8EEEEELb1EPKaPaPKSB_PSB_NS0_19identity_decomposerEEEvT1_T2_T3_T4_jT5_jj.num_agpr, 0
	.set _ZN7rocprim17ROCPRIM_304000_NS6detail28radix_sort_block_sort_kernelINS1_36wrapped_radix_sort_block_sort_configINS0_13kernel_configILj256ELj4ELj4294967295EEEaN2at4cuda3cub6detail10OpaqueTypeILi8EEEEELb1EPKaPaPKSB_PSB_NS0_19identity_decomposerEEEvT1_T2_T3_T4_jT5_jj.numbered_sgpr, 46
	.set _ZN7rocprim17ROCPRIM_304000_NS6detail28radix_sort_block_sort_kernelINS1_36wrapped_radix_sort_block_sort_configINS0_13kernel_configILj256ELj4ELj4294967295EEEaN2at4cuda3cub6detail10OpaqueTypeILi8EEEEELb1EPKaPaPKSB_PSB_NS0_19identity_decomposerEEEvT1_T2_T3_T4_jT5_jj.num_named_barrier, 0
	.set _ZN7rocprim17ROCPRIM_304000_NS6detail28radix_sort_block_sort_kernelINS1_36wrapped_radix_sort_block_sort_configINS0_13kernel_configILj256ELj4ELj4294967295EEEaN2at4cuda3cub6detail10OpaqueTypeILi8EEEEELb1EPKaPaPKSB_PSB_NS0_19identity_decomposerEEEvT1_T2_T3_T4_jT5_jj.private_seg_size, 0
	.set _ZN7rocprim17ROCPRIM_304000_NS6detail28radix_sort_block_sort_kernelINS1_36wrapped_radix_sort_block_sort_configINS0_13kernel_configILj256ELj4ELj4294967295EEEaN2at4cuda3cub6detail10OpaqueTypeILi8EEEEELb1EPKaPaPKSB_PSB_NS0_19identity_decomposerEEEvT1_T2_T3_T4_jT5_jj.uses_vcc, 1
	.set _ZN7rocprim17ROCPRIM_304000_NS6detail28radix_sort_block_sort_kernelINS1_36wrapped_radix_sort_block_sort_configINS0_13kernel_configILj256ELj4ELj4294967295EEEaN2at4cuda3cub6detail10OpaqueTypeILi8EEEEELb1EPKaPaPKSB_PSB_NS0_19identity_decomposerEEEvT1_T2_T3_T4_jT5_jj.uses_flat_scratch, 0
	.set _ZN7rocprim17ROCPRIM_304000_NS6detail28radix_sort_block_sort_kernelINS1_36wrapped_radix_sort_block_sort_configINS0_13kernel_configILj256ELj4ELj4294967295EEEaN2at4cuda3cub6detail10OpaqueTypeILi8EEEEELb1EPKaPaPKSB_PSB_NS0_19identity_decomposerEEEvT1_T2_T3_T4_jT5_jj.has_dyn_sized_stack, 0
	.set _ZN7rocprim17ROCPRIM_304000_NS6detail28radix_sort_block_sort_kernelINS1_36wrapped_radix_sort_block_sort_configINS0_13kernel_configILj256ELj4ELj4294967295EEEaN2at4cuda3cub6detail10OpaqueTypeILi8EEEEELb1EPKaPaPKSB_PSB_NS0_19identity_decomposerEEEvT1_T2_T3_T4_jT5_jj.has_recursion, 0
	.set _ZN7rocprim17ROCPRIM_304000_NS6detail28radix_sort_block_sort_kernelINS1_36wrapped_radix_sort_block_sort_configINS0_13kernel_configILj256ELj4ELj4294967295EEEaN2at4cuda3cub6detail10OpaqueTypeILi8EEEEELb1EPKaPaPKSB_PSB_NS0_19identity_decomposerEEEvT1_T2_T3_T4_jT5_jj.has_indirect_call, 0
	.section	.AMDGPU.csdata,"",@progbits
; Kernel info:
; codeLenInByte = 3928
; TotalNumSgprs: 50
; NumVgprs: 48
; ScratchSize: 0
; MemoryBound: 0
; FloatMode: 240
; IeeeMode: 1
; LDSByteSize: 8192 bytes/workgroup (compile time only)
; SGPRBlocks: 8
; VGPRBlocks: 11
; NumSGPRsForWavesPerEU: 65
; NumVGPRsForWavesPerEU: 48
; Occupancy: 5
; WaveLimiterHint : 1
; COMPUTE_PGM_RSRC2:SCRATCH_EN: 0
; COMPUTE_PGM_RSRC2:USER_SGPR: 6
; COMPUTE_PGM_RSRC2:TRAP_HANDLER: 0
; COMPUTE_PGM_RSRC2:TGID_X_EN: 1
; COMPUTE_PGM_RSRC2:TGID_Y_EN: 0
; COMPUTE_PGM_RSRC2:TGID_Z_EN: 0
; COMPUTE_PGM_RSRC2:TIDIG_COMP_CNT: 2
	.section	.text._ZN7rocprim17ROCPRIM_304000_NS6detail39device_merge_sort_compile_time_verifierINS1_36wrapped_merge_sort_block_sort_configINS1_28merge_sort_block_sort_configILj256ELj4ELNS0_20block_sort_algorithmE0EEEaN2at4cuda3cub6detail10OpaqueTypeILi8EEEEENS1_37wrapped_merge_sort_block_merge_configINS0_14default_configEaSC_EEEEvv,"axG",@progbits,_ZN7rocprim17ROCPRIM_304000_NS6detail39device_merge_sort_compile_time_verifierINS1_36wrapped_merge_sort_block_sort_configINS1_28merge_sort_block_sort_configILj256ELj4ELNS0_20block_sort_algorithmE0EEEaN2at4cuda3cub6detail10OpaqueTypeILi8EEEEENS1_37wrapped_merge_sort_block_merge_configINS0_14default_configEaSC_EEEEvv,comdat
	.protected	_ZN7rocprim17ROCPRIM_304000_NS6detail39device_merge_sort_compile_time_verifierINS1_36wrapped_merge_sort_block_sort_configINS1_28merge_sort_block_sort_configILj256ELj4ELNS0_20block_sort_algorithmE0EEEaN2at4cuda3cub6detail10OpaqueTypeILi8EEEEENS1_37wrapped_merge_sort_block_merge_configINS0_14default_configEaSC_EEEEvv ; -- Begin function _ZN7rocprim17ROCPRIM_304000_NS6detail39device_merge_sort_compile_time_verifierINS1_36wrapped_merge_sort_block_sort_configINS1_28merge_sort_block_sort_configILj256ELj4ELNS0_20block_sort_algorithmE0EEEaN2at4cuda3cub6detail10OpaqueTypeILi8EEEEENS1_37wrapped_merge_sort_block_merge_configINS0_14default_configEaSC_EEEEvv
	.globl	_ZN7rocprim17ROCPRIM_304000_NS6detail39device_merge_sort_compile_time_verifierINS1_36wrapped_merge_sort_block_sort_configINS1_28merge_sort_block_sort_configILj256ELj4ELNS0_20block_sort_algorithmE0EEEaN2at4cuda3cub6detail10OpaqueTypeILi8EEEEENS1_37wrapped_merge_sort_block_merge_configINS0_14default_configEaSC_EEEEvv
	.p2align	8
	.type	_ZN7rocprim17ROCPRIM_304000_NS6detail39device_merge_sort_compile_time_verifierINS1_36wrapped_merge_sort_block_sort_configINS1_28merge_sort_block_sort_configILj256ELj4ELNS0_20block_sort_algorithmE0EEEaN2at4cuda3cub6detail10OpaqueTypeILi8EEEEENS1_37wrapped_merge_sort_block_merge_configINS0_14default_configEaSC_EEEEvv,@function
_ZN7rocprim17ROCPRIM_304000_NS6detail39device_merge_sort_compile_time_verifierINS1_36wrapped_merge_sort_block_sort_configINS1_28merge_sort_block_sort_configILj256ELj4ELNS0_20block_sort_algorithmE0EEEaN2at4cuda3cub6detail10OpaqueTypeILi8EEEEENS1_37wrapped_merge_sort_block_merge_configINS0_14default_configEaSC_EEEEvv: ; @_ZN7rocprim17ROCPRIM_304000_NS6detail39device_merge_sort_compile_time_verifierINS1_36wrapped_merge_sort_block_sort_configINS1_28merge_sort_block_sort_configILj256ELj4ELNS0_20block_sort_algorithmE0EEEaN2at4cuda3cub6detail10OpaqueTypeILi8EEEEENS1_37wrapped_merge_sort_block_merge_configINS0_14default_configEaSC_EEEEvv
; %bb.0:
	s_endpgm
	.section	.rodata,"a",@progbits
	.p2align	6, 0x0
	.amdhsa_kernel _ZN7rocprim17ROCPRIM_304000_NS6detail39device_merge_sort_compile_time_verifierINS1_36wrapped_merge_sort_block_sort_configINS1_28merge_sort_block_sort_configILj256ELj4ELNS0_20block_sort_algorithmE0EEEaN2at4cuda3cub6detail10OpaqueTypeILi8EEEEENS1_37wrapped_merge_sort_block_merge_configINS0_14default_configEaSC_EEEEvv
		.amdhsa_group_segment_fixed_size 0
		.amdhsa_private_segment_fixed_size 0
		.amdhsa_kernarg_size 0
		.amdhsa_user_sgpr_count 4
		.amdhsa_user_sgpr_private_segment_buffer 1
		.amdhsa_user_sgpr_dispatch_ptr 0
		.amdhsa_user_sgpr_queue_ptr 0
		.amdhsa_user_sgpr_kernarg_segment_ptr 0
		.amdhsa_user_sgpr_dispatch_id 0
		.amdhsa_user_sgpr_flat_scratch_init 0
		.amdhsa_user_sgpr_private_segment_size 0
		.amdhsa_uses_dynamic_stack 0
		.amdhsa_system_sgpr_private_segment_wavefront_offset 0
		.amdhsa_system_sgpr_workgroup_id_x 1
		.amdhsa_system_sgpr_workgroup_id_y 0
		.amdhsa_system_sgpr_workgroup_id_z 0
		.amdhsa_system_sgpr_workgroup_info 0
		.amdhsa_system_vgpr_workitem_id 0
		.amdhsa_next_free_vgpr 1
		.amdhsa_next_free_sgpr 0
		.amdhsa_reserve_vcc 0
		.amdhsa_reserve_flat_scratch 0
		.amdhsa_float_round_mode_32 0
		.amdhsa_float_round_mode_16_64 0
		.amdhsa_float_denorm_mode_32 3
		.amdhsa_float_denorm_mode_16_64 3
		.amdhsa_dx10_clamp 1
		.amdhsa_ieee_mode 1
		.amdhsa_fp16_overflow 0
		.amdhsa_exception_fp_ieee_invalid_op 0
		.amdhsa_exception_fp_denorm_src 0
		.amdhsa_exception_fp_ieee_div_zero 0
		.amdhsa_exception_fp_ieee_overflow 0
		.amdhsa_exception_fp_ieee_underflow 0
		.amdhsa_exception_fp_ieee_inexact 0
		.amdhsa_exception_int_div_zero 0
	.end_amdhsa_kernel
	.section	.text._ZN7rocprim17ROCPRIM_304000_NS6detail39device_merge_sort_compile_time_verifierINS1_36wrapped_merge_sort_block_sort_configINS1_28merge_sort_block_sort_configILj256ELj4ELNS0_20block_sort_algorithmE0EEEaN2at4cuda3cub6detail10OpaqueTypeILi8EEEEENS1_37wrapped_merge_sort_block_merge_configINS0_14default_configEaSC_EEEEvv,"axG",@progbits,_ZN7rocprim17ROCPRIM_304000_NS6detail39device_merge_sort_compile_time_verifierINS1_36wrapped_merge_sort_block_sort_configINS1_28merge_sort_block_sort_configILj256ELj4ELNS0_20block_sort_algorithmE0EEEaN2at4cuda3cub6detail10OpaqueTypeILi8EEEEENS1_37wrapped_merge_sort_block_merge_configINS0_14default_configEaSC_EEEEvv,comdat
.Lfunc_end27:
	.size	_ZN7rocprim17ROCPRIM_304000_NS6detail39device_merge_sort_compile_time_verifierINS1_36wrapped_merge_sort_block_sort_configINS1_28merge_sort_block_sort_configILj256ELj4ELNS0_20block_sort_algorithmE0EEEaN2at4cuda3cub6detail10OpaqueTypeILi8EEEEENS1_37wrapped_merge_sort_block_merge_configINS0_14default_configEaSC_EEEEvv, .Lfunc_end27-_ZN7rocprim17ROCPRIM_304000_NS6detail39device_merge_sort_compile_time_verifierINS1_36wrapped_merge_sort_block_sort_configINS1_28merge_sort_block_sort_configILj256ELj4ELNS0_20block_sort_algorithmE0EEEaN2at4cuda3cub6detail10OpaqueTypeILi8EEEEENS1_37wrapped_merge_sort_block_merge_configINS0_14default_configEaSC_EEEEvv
                                        ; -- End function
	.set _ZN7rocprim17ROCPRIM_304000_NS6detail39device_merge_sort_compile_time_verifierINS1_36wrapped_merge_sort_block_sort_configINS1_28merge_sort_block_sort_configILj256ELj4ELNS0_20block_sort_algorithmE0EEEaN2at4cuda3cub6detail10OpaqueTypeILi8EEEEENS1_37wrapped_merge_sort_block_merge_configINS0_14default_configEaSC_EEEEvv.num_vgpr, 0
	.set _ZN7rocprim17ROCPRIM_304000_NS6detail39device_merge_sort_compile_time_verifierINS1_36wrapped_merge_sort_block_sort_configINS1_28merge_sort_block_sort_configILj256ELj4ELNS0_20block_sort_algorithmE0EEEaN2at4cuda3cub6detail10OpaqueTypeILi8EEEEENS1_37wrapped_merge_sort_block_merge_configINS0_14default_configEaSC_EEEEvv.num_agpr, 0
	.set _ZN7rocprim17ROCPRIM_304000_NS6detail39device_merge_sort_compile_time_verifierINS1_36wrapped_merge_sort_block_sort_configINS1_28merge_sort_block_sort_configILj256ELj4ELNS0_20block_sort_algorithmE0EEEaN2at4cuda3cub6detail10OpaqueTypeILi8EEEEENS1_37wrapped_merge_sort_block_merge_configINS0_14default_configEaSC_EEEEvv.numbered_sgpr, 0
	.set _ZN7rocprim17ROCPRIM_304000_NS6detail39device_merge_sort_compile_time_verifierINS1_36wrapped_merge_sort_block_sort_configINS1_28merge_sort_block_sort_configILj256ELj4ELNS0_20block_sort_algorithmE0EEEaN2at4cuda3cub6detail10OpaqueTypeILi8EEEEENS1_37wrapped_merge_sort_block_merge_configINS0_14default_configEaSC_EEEEvv.num_named_barrier, 0
	.set _ZN7rocprim17ROCPRIM_304000_NS6detail39device_merge_sort_compile_time_verifierINS1_36wrapped_merge_sort_block_sort_configINS1_28merge_sort_block_sort_configILj256ELj4ELNS0_20block_sort_algorithmE0EEEaN2at4cuda3cub6detail10OpaqueTypeILi8EEEEENS1_37wrapped_merge_sort_block_merge_configINS0_14default_configEaSC_EEEEvv.private_seg_size, 0
	.set _ZN7rocprim17ROCPRIM_304000_NS6detail39device_merge_sort_compile_time_verifierINS1_36wrapped_merge_sort_block_sort_configINS1_28merge_sort_block_sort_configILj256ELj4ELNS0_20block_sort_algorithmE0EEEaN2at4cuda3cub6detail10OpaqueTypeILi8EEEEENS1_37wrapped_merge_sort_block_merge_configINS0_14default_configEaSC_EEEEvv.uses_vcc, 0
	.set _ZN7rocprim17ROCPRIM_304000_NS6detail39device_merge_sort_compile_time_verifierINS1_36wrapped_merge_sort_block_sort_configINS1_28merge_sort_block_sort_configILj256ELj4ELNS0_20block_sort_algorithmE0EEEaN2at4cuda3cub6detail10OpaqueTypeILi8EEEEENS1_37wrapped_merge_sort_block_merge_configINS0_14default_configEaSC_EEEEvv.uses_flat_scratch, 0
	.set _ZN7rocprim17ROCPRIM_304000_NS6detail39device_merge_sort_compile_time_verifierINS1_36wrapped_merge_sort_block_sort_configINS1_28merge_sort_block_sort_configILj256ELj4ELNS0_20block_sort_algorithmE0EEEaN2at4cuda3cub6detail10OpaqueTypeILi8EEEEENS1_37wrapped_merge_sort_block_merge_configINS0_14default_configEaSC_EEEEvv.has_dyn_sized_stack, 0
	.set _ZN7rocprim17ROCPRIM_304000_NS6detail39device_merge_sort_compile_time_verifierINS1_36wrapped_merge_sort_block_sort_configINS1_28merge_sort_block_sort_configILj256ELj4ELNS0_20block_sort_algorithmE0EEEaN2at4cuda3cub6detail10OpaqueTypeILi8EEEEENS1_37wrapped_merge_sort_block_merge_configINS0_14default_configEaSC_EEEEvv.has_recursion, 0
	.set _ZN7rocprim17ROCPRIM_304000_NS6detail39device_merge_sort_compile_time_verifierINS1_36wrapped_merge_sort_block_sort_configINS1_28merge_sort_block_sort_configILj256ELj4ELNS0_20block_sort_algorithmE0EEEaN2at4cuda3cub6detail10OpaqueTypeILi8EEEEENS1_37wrapped_merge_sort_block_merge_configINS0_14default_configEaSC_EEEEvv.has_indirect_call, 0
	.section	.AMDGPU.csdata,"",@progbits
; Kernel info:
; codeLenInByte = 4
; TotalNumSgprs: 4
; NumVgprs: 0
; ScratchSize: 0
; MemoryBound: 0
; FloatMode: 240
; IeeeMode: 1
; LDSByteSize: 0 bytes/workgroup (compile time only)
; SGPRBlocks: 0
; VGPRBlocks: 0
; NumSGPRsForWavesPerEU: 4
; NumVGPRsForWavesPerEU: 1
; Occupancy: 10
; WaveLimiterHint : 0
; COMPUTE_PGM_RSRC2:SCRATCH_EN: 0
; COMPUTE_PGM_RSRC2:USER_SGPR: 4
; COMPUTE_PGM_RSRC2:TRAP_HANDLER: 0
; COMPUTE_PGM_RSRC2:TGID_X_EN: 1
; COMPUTE_PGM_RSRC2:TGID_Y_EN: 0
; COMPUTE_PGM_RSRC2:TGID_Z_EN: 0
; COMPUTE_PGM_RSRC2:TIDIG_COMP_CNT: 0
	.section	.text._ZN7rocprim17ROCPRIM_304000_NS6detail45device_block_merge_mergepath_partition_kernelINS1_37wrapped_merge_sort_block_merge_configINS0_14default_configEaN2at4cuda3cub6detail10OpaqueTypeILi8EEEEEPajNS1_19radix_merge_compareILb1ELb0EaNS0_19identity_decomposerEEEEEvT0_T1_jPSH_T2_SH_,"axG",@progbits,_ZN7rocprim17ROCPRIM_304000_NS6detail45device_block_merge_mergepath_partition_kernelINS1_37wrapped_merge_sort_block_merge_configINS0_14default_configEaN2at4cuda3cub6detail10OpaqueTypeILi8EEEEEPajNS1_19radix_merge_compareILb1ELb0EaNS0_19identity_decomposerEEEEEvT0_T1_jPSH_T2_SH_,comdat
	.protected	_ZN7rocprim17ROCPRIM_304000_NS6detail45device_block_merge_mergepath_partition_kernelINS1_37wrapped_merge_sort_block_merge_configINS0_14default_configEaN2at4cuda3cub6detail10OpaqueTypeILi8EEEEEPajNS1_19radix_merge_compareILb1ELb0EaNS0_19identity_decomposerEEEEEvT0_T1_jPSH_T2_SH_ ; -- Begin function _ZN7rocprim17ROCPRIM_304000_NS6detail45device_block_merge_mergepath_partition_kernelINS1_37wrapped_merge_sort_block_merge_configINS0_14default_configEaN2at4cuda3cub6detail10OpaqueTypeILi8EEEEEPajNS1_19radix_merge_compareILb1ELb0EaNS0_19identity_decomposerEEEEEvT0_T1_jPSH_T2_SH_
	.globl	_ZN7rocprim17ROCPRIM_304000_NS6detail45device_block_merge_mergepath_partition_kernelINS1_37wrapped_merge_sort_block_merge_configINS0_14default_configEaN2at4cuda3cub6detail10OpaqueTypeILi8EEEEEPajNS1_19radix_merge_compareILb1ELb0EaNS0_19identity_decomposerEEEEEvT0_T1_jPSH_T2_SH_
	.p2align	8
	.type	_ZN7rocprim17ROCPRIM_304000_NS6detail45device_block_merge_mergepath_partition_kernelINS1_37wrapped_merge_sort_block_merge_configINS0_14default_configEaN2at4cuda3cub6detail10OpaqueTypeILi8EEEEEPajNS1_19radix_merge_compareILb1ELb0EaNS0_19identity_decomposerEEEEEvT0_T1_jPSH_T2_SH_,@function
_ZN7rocprim17ROCPRIM_304000_NS6detail45device_block_merge_mergepath_partition_kernelINS1_37wrapped_merge_sort_block_merge_configINS0_14default_configEaN2at4cuda3cub6detail10OpaqueTypeILi8EEEEEPajNS1_19radix_merge_compareILb1ELb0EaNS0_19identity_decomposerEEEEEvT0_T1_jPSH_T2_SH_: ; @_ZN7rocprim17ROCPRIM_304000_NS6detail45device_block_merge_mergepath_partition_kernelINS1_37wrapped_merge_sort_block_merge_configINS0_14default_configEaN2at4cuda3cub6detail10OpaqueTypeILi8EEEEEPajNS1_19radix_merge_compareILb1ELb0EaNS0_19identity_decomposerEEEEEvT0_T1_jPSH_T2_SH_
; %bb.0:
	s_load_dwordx2 s[0:1], s[4:5], 0x8
	v_lshl_or_b32 v0, s6, 7, v0
	s_waitcnt lgkmcnt(0)
	v_cmp_gt_u32_e32 vcc, s1, v0
	s_and_saveexec_b64 s[2:3], vcc
	s_cbranch_execz .LBB28_6
; %bb.1:
	s_load_dword s1, s[4:5], 0x1c
	s_waitcnt lgkmcnt(0)
	s_lshr_b32 s2, s1, 9
	s_and_b32 s2, s2, 0x7ffffe
	s_add_i32 s3, s2, -1
	s_sub_i32 s2, 0, s2
	v_and_b32_e32 v1, s2, v0
	v_lshlrev_b32_e32 v3, 10, v1
	v_min_u32_e32 v1, s0, v3
	v_add_u32_e32 v3, s1, v3
	v_min_u32_e32 v7, s0, v3
	v_add_u32_e32 v3, s1, v7
	v_and_b32_e32 v2, s3, v0
	v_min_u32_e32 v4, s0, v3
	v_lshlrev_b32_e32 v2, 10, v2
	v_sub_u32_e32 v3, v4, v1
	v_min_u32_e32 v3, v3, v2
	v_sub_u32_e32 v5, v7, v1
	v_sub_u32_e32 v2, v4, v7
	v_sub_u32_e64 v2, v3, v2 clamp
	v_min_u32_e32 v4, v3, v5
	v_cmp_lt_u32_e32 vcc, v2, v4
	s_and_saveexec_b64 s[0:1], vcc
	s_cbranch_execz .LBB28_5
; %bb.2:
	s_load_dwordx2 s[2:3], s[4:5], 0x0
	s_waitcnt lgkmcnt(0)
	v_mov_b32_e32 v8, s3
	v_add_co_u32_e32 v5, vcc, s2, v1
	v_addc_co_u32_e32 v6, vcc, 0, v8, vcc
	v_add_co_u32_e32 v7, vcc, s2, v7
	v_addc_co_u32_e32 v8, vcc, 0, v8, vcc
	s_mov_b64 s[2:3], 0
.LBB28_3:                               ; =>This Inner Loop Header: Depth=1
	v_add_u32_e32 v9, v4, v2
	v_lshrrev_b32_e32 v13, 1, v9
	v_add_co_u32_e32 v9, vcc, v5, v13
	v_xad_u32 v11, v13, -1, v3
	v_addc_co_u32_e32 v10, vcc, 0, v6, vcc
	v_add_co_u32_e32 v11, vcc, v7, v11
	v_addc_co_u32_e32 v12, vcc, 0, v8, vcc
	global_load_sbyte v14, v[9:10], off
	global_load_sbyte v15, v[11:12], off
	v_add_u32_e32 v9, 1, v13
	s_waitcnt vmcnt(0)
	v_cmp_gt_i16_e32 vcc, v15, v14
	v_cndmask_b32_e32 v4, v4, v13, vcc
	v_cndmask_b32_e32 v2, v9, v2, vcc
	v_cmp_ge_u32_e32 vcc, v2, v4
	s_or_b64 s[2:3], vcc, s[2:3]
	s_andn2_b64 exec, exec, s[2:3]
	s_cbranch_execnz .LBB28_3
; %bb.4:
	s_or_b64 exec, exec, s[2:3]
.LBB28_5:
	s_or_b64 exec, exec, s[0:1]
	s_load_dwordx2 s[0:1], s[4:5], 0x10
	v_add_u32_e32 v2, v2, v1
	v_mov_b32_e32 v1, 0
	v_lshlrev_b64 v[0:1], 2, v[0:1]
	s_waitcnt lgkmcnt(0)
	v_mov_b32_e32 v3, s1
	v_add_co_u32_e32 v0, vcc, s0, v0
	v_addc_co_u32_e32 v1, vcc, v3, v1, vcc
	global_store_dword v[0:1], v2, off
.LBB28_6:
	s_endpgm
	.section	.rodata,"a",@progbits
	.p2align	6, 0x0
	.amdhsa_kernel _ZN7rocprim17ROCPRIM_304000_NS6detail45device_block_merge_mergepath_partition_kernelINS1_37wrapped_merge_sort_block_merge_configINS0_14default_configEaN2at4cuda3cub6detail10OpaqueTypeILi8EEEEEPajNS1_19radix_merge_compareILb1ELb0EaNS0_19identity_decomposerEEEEEvT0_T1_jPSH_T2_SH_
		.amdhsa_group_segment_fixed_size 0
		.amdhsa_private_segment_fixed_size 0
		.amdhsa_kernarg_size 32
		.amdhsa_user_sgpr_count 6
		.amdhsa_user_sgpr_private_segment_buffer 1
		.amdhsa_user_sgpr_dispatch_ptr 0
		.amdhsa_user_sgpr_queue_ptr 0
		.amdhsa_user_sgpr_kernarg_segment_ptr 1
		.amdhsa_user_sgpr_dispatch_id 0
		.amdhsa_user_sgpr_flat_scratch_init 0
		.amdhsa_user_sgpr_private_segment_size 0
		.amdhsa_uses_dynamic_stack 0
		.amdhsa_system_sgpr_private_segment_wavefront_offset 0
		.amdhsa_system_sgpr_workgroup_id_x 1
		.amdhsa_system_sgpr_workgroup_id_y 0
		.amdhsa_system_sgpr_workgroup_id_z 0
		.amdhsa_system_sgpr_workgroup_info 0
		.amdhsa_system_vgpr_workitem_id 0
		.amdhsa_next_free_vgpr 16
		.amdhsa_next_free_sgpr 7
		.amdhsa_reserve_vcc 1
		.amdhsa_reserve_flat_scratch 0
		.amdhsa_float_round_mode_32 0
		.amdhsa_float_round_mode_16_64 0
		.amdhsa_float_denorm_mode_32 3
		.amdhsa_float_denorm_mode_16_64 3
		.amdhsa_dx10_clamp 1
		.amdhsa_ieee_mode 1
		.amdhsa_fp16_overflow 0
		.amdhsa_exception_fp_ieee_invalid_op 0
		.amdhsa_exception_fp_denorm_src 0
		.amdhsa_exception_fp_ieee_div_zero 0
		.amdhsa_exception_fp_ieee_overflow 0
		.amdhsa_exception_fp_ieee_underflow 0
		.amdhsa_exception_fp_ieee_inexact 0
		.amdhsa_exception_int_div_zero 0
	.end_amdhsa_kernel
	.section	.text._ZN7rocprim17ROCPRIM_304000_NS6detail45device_block_merge_mergepath_partition_kernelINS1_37wrapped_merge_sort_block_merge_configINS0_14default_configEaN2at4cuda3cub6detail10OpaqueTypeILi8EEEEEPajNS1_19radix_merge_compareILb1ELb0EaNS0_19identity_decomposerEEEEEvT0_T1_jPSH_T2_SH_,"axG",@progbits,_ZN7rocprim17ROCPRIM_304000_NS6detail45device_block_merge_mergepath_partition_kernelINS1_37wrapped_merge_sort_block_merge_configINS0_14default_configEaN2at4cuda3cub6detail10OpaqueTypeILi8EEEEEPajNS1_19radix_merge_compareILb1ELb0EaNS0_19identity_decomposerEEEEEvT0_T1_jPSH_T2_SH_,comdat
.Lfunc_end28:
	.size	_ZN7rocprim17ROCPRIM_304000_NS6detail45device_block_merge_mergepath_partition_kernelINS1_37wrapped_merge_sort_block_merge_configINS0_14default_configEaN2at4cuda3cub6detail10OpaqueTypeILi8EEEEEPajNS1_19radix_merge_compareILb1ELb0EaNS0_19identity_decomposerEEEEEvT0_T1_jPSH_T2_SH_, .Lfunc_end28-_ZN7rocprim17ROCPRIM_304000_NS6detail45device_block_merge_mergepath_partition_kernelINS1_37wrapped_merge_sort_block_merge_configINS0_14default_configEaN2at4cuda3cub6detail10OpaqueTypeILi8EEEEEPajNS1_19radix_merge_compareILb1ELb0EaNS0_19identity_decomposerEEEEEvT0_T1_jPSH_T2_SH_
                                        ; -- End function
	.set _ZN7rocprim17ROCPRIM_304000_NS6detail45device_block_merge_mergepath_partition_kernelINS1_37wrapped_merge_sort_block_merge_configINS0_14default_configEaN2at4cuda3cub6detail10OpaqueTypeILi8EEEEEPajNS1_19radix_merge_compareILb1ELb0EaNS0_19identity_decomposerEEEEEvT0_T1_jPSH_T2_SH_.num_vgpr, 16
	.set _ZN7rocprim17ROCPRIM_304000_NS6detail45device_block_merge_mergepath_partition_kernelINS1_37wrapped_merge_sort_block_merge_configINS0_14default_configEaN2at4cuda3cub6detail10OpaqueTypeILi8EEEEEPajNS1_19radix_merge_compareILb1ELb0EaNS0_19identity_decomposerEEEEEvT0_T1_jPSH_T2_SH_.num_agpr, 0
	.set _ZN7rocprim17ROCPRIM_304000_NS6detail45device_block_merge_mergepath_partition_kernelINS1_37wrapped_merge_sort_block_merge_configINS0_14default_configEaN2at4cuda3cub6detail10OpaqueTypeILi8EEEEEPajNS1_19radix_merge_compareILb1ELb0EaNS0_19identity_decomposerEEEEEvT0_T1_jPSH_T2_SH_.numbered_sgpr, 7
	.set _ZN7rocprim17ROCPRIM_304000_NS6detail45device_block_merge_mergepath_partition_kernelINS1_37wrapped_merge_sort_block_merge_configINS0_14default_configEaN2at4cuda3cub6detail10OpaqueTypeILi8EEEEEPajNS1_19radix_merge_compareILb1ELb0EaNS0_19identity_decomposerEEEEEvT0_T1_jPSH_T2_SH_.num_named_barrier, 0
	.set _ZN7rocprim17ROCPRIM_304000_NS6detail45device_block_merge_mergepath_partition_kernelINS1_37wrapped_merge_sort_block_merge_configINS0_14default_configEaN2at4cuda3cub6detail10OpaqueTypeILi8EEEEEPajNS1_19radix_merge_compareILb1ELb0EaNS0_19identity_decomposerEEEEEvT0_T1_jPSH_T2_SH_.private_seg_size, 0
	.set _ZN7rocprim17ROCPRIM_304000_NS6detail45device_block_merge_mergepath_partition_kernelINS1_37wrapped_merge_sort_block_merge_configINS0_14default_configEaN2at4cuda3cub6detail10OpaqueTypeILi8EEEEEPajNS1_19radix_merge_compareILb1ELb0EaNS0_19identity_decomposerEEEEEvT0_T1_jPSH_T2_SH_.uses_vcc, 1
	.set _ZN7rocprim17ROCPRIM_304000_NS6detail45device_block_merge_mergepath_partition_kernelINS1_37wrapped_merge_sort_block_merge_configINS0_14default_configEaN2at4cuda3cub6detail10OpaqueTypeILi8EEEEEPajNS1_19radix_merge_compareILb1ELb0EaNS0_19identity_decomposerEEEEEvT0_T1_jPSH_T2_SH_.uses_flat_scratch, 0
	.set _ZN7rocprim17ROCPRIM_304000_NS6detail45device_block_merge_mergepath_partition_kernelINS1_37wrapped_merge_sort_block_merge_configINS0_14default_configEaN2at4cuda3cub6detail10OpaqueTypeILi8EEEEEPajNS1_19radix_merge_compareILb1ELb0EaNS0_19identity_decomposerEEEEEvT0_T1_jPSH_T2_SH_.has_dyn_sized_stack, 0
	.set _ZN7rocprim17ROCPRIM_304000_NS6detail45device_block_merge_mergepath_partition_kernelINS1_37wrapped_merge_sort_block_merge_configINS0_14default_configEaN2at4cuda3cub6detail10OpaqueTypeILi8EEEEEPajNS1_19radix_merge_compareILb1ELb0EaNS0_19identity_decomposerEEEEEvT0_T1_jPSH_T2_SH_.has_recursion, 0
	.set _ZN7rocprim17ROCPRIM_304000_NS6detail45device_block_merge_mergepath_partition_kernelINS1_37wrapped_merge_sort_block_merge_configINS0_14default_configEaN2at4cuda3cub6detail10OpaqueTypeILi8EEEEEPajNS1_19radix_merge_compareILb1ELb0EaNS0_19identity_decomposerEEEEEvT0_T1_jPSH_T2_SH_.has_indirect_call, 0
	.section	.AMDGPU.csdata,"",@progbits
; Kernel info:
; codeLenInByte = 320
; TotalNumSgprs: 11
; NumVgprs: 16
; ScratchSize: 0
; MemoryBound: 0
; FloatMode: 240
; IeeeMode: 1
; LDSByteSize: 0 bytes/workgroup (compile time only)
; SGPRBlocks: 1
; VGPRBlocks: 3
; NumSGPRsForWavesPerEU: 11
; NumVGPRsForWavesPerEU: 16
; Occupancy: 10
; WaveLimiterHint : 0
; COMPUTE_PGM_RSRC2:SCRATCH_EN: 0
; COMPUTE_PGM_RSRC2:USER_SGPR: 6
; COMPUTE_PGM_RSRC2:TRAP_HANDLER: 0
; COMPUTE_PGM_RSRC2:TGID_X_EN: 1
; COMPUTE_PGM_RSRC2:TGID_Y_EN: 0
; COMPUTE_PGM_RSRC2:TGID_Z_EN: 0
; COMPUTE_PGM_RSRC2:TIDIG_COMP_CNT: 0
	.section	.text._ZN7rocprim17ROCPRIM_304000_NS6detail35device_block_merge_mergepath_kernelINS1_37wrapped_merge_sort_block_merge_configINS0_14default_configEaN2at4cuda3cub6detail10OpaqueTypeILi8EEEEEPaSC_PSA_SD_jNS1_19radix_merge_compareILb1ELb0EaNS0_19identity_decomposerEEEEEvT0_T1_T2_T3_T4_SL_jT5_PKSL_NS1_7vsmem_tE,"axG",@progbits,_ZN7rocprim17ROCPRIM_304000_NS6detail35device_block_merge_mergepath_kernelINS1_37wrapped_merge_sort_block_merge_configINS0_14default_configEaN2at4cuda3cub6detail10OpaqueTypeILi8EEEEEPaSC_PSA_SD_jNS1_19radix_merge_compareILb1ELb0EaNS0_19identity_decomposerEEEEEvT0_T1_T2_T3_T4_SL_jT5_PKSL_NS1_7vsmem_tE,comdat
	.protected	_ZN7rocprim17ROCPRIM_304000_NS6detail35device_block_merge_mergepath_kernelINS1_37wrapped_merge_sort_block_merge_configINS0_14default_configEaN2at4cuda3cub6detail10OpaqueTypeILi8EEEEEPaSC_PSA_SD_jNS1_19radix_merge_compareILb1ELb0EaNS0_19identity_decomposerEEEEEvT0_T1_T2_T3_T4_SL_jT5_PKSL_NS1_7vsmem_tE ; -- Begin function _ZN7rocprim17ROCPRIM_304000_NS6detail35device_block_merge_mergepath_kernelINS1_37wrapped_merge_sort_block_merge_configINS0_14default_configEaN2at4cuda3cub6detail10OpaqueTypeILi8EEEEEPaSC_PSA_SD_jNS1_19radix_merge_compareILb1ELb0EaNS0_19identity_decomposerEEEEEvT0_T1_T2_T3_T4_SL_jT5_PKSL_NS1_7vsmem_tE
	.globl	_ZN7rocprim17ROCPRIM_304000_NS6detail35device_block_merge_mergepath_kernelINS1_37wrapped_merge_sort_block_merge_configINS0_14default_configEaN2at4cuda3cub6detail10OpaqueTypeILi8EEEEEPaSC_PSA_SD_jNS1_19radix_merge_compareILb1ELb0EaNS0_19identity_decomposerEEEEEvT0_T1_T2_T3_T4_SL_jT5_PKSL_NS1_7vsmem_tE
	.p2align	8
	.type	_ZN7rocprim17ROCPRIM_304000_NS6detail35device_block_merge_mergepath_kernelINS1_37wrapped_merge_sort_block_merge_configINS0_14default_configEaN2at4cuda3cub6detail10OpaqueTypeILi8EEEEEPaSC_PSA_SD_jNS1_19radix_merge_compareILb1ELb0EaNS0_19identity_decomposerEEEEEvT0_T1_T2_T3_T4_SL_jT5_PKSL_NS1_7vsmem_tE,@function
_ZN7rocprim17ROCPRIM_304000_NS6detail35device_block_merge_mergepath_kernelINS1_37wrapped_merge_sort_block_merge_configINS0_14default_configEaN2at4cuda3cub6detail10OpaqueTypeILi8EEEEEPaSC_PSA_SD_jNS1_19radix_merge_compareILb1ELb0EaNS0_19identity_decomposerEEEEEvT0_T1_T2_T3_T4_SL_jT5_PKSL_NS1_7vsmem_tE: ; @_ZN7rocprim17ROCPRIM_304000_NS6detail35device_block_merge_mergepath_kernelINS1_37wrapped_merge_sort_block_merge_configINS0_14default_configEaN2at4cuda3cub6detail10OpaqueTypeILi8EEEEEPaSC_PSA_SD_jNS1_19radix_merge_compareILb1ELb0EaNS0_19identity_decomposerEEEEEvT0_T1_T2_T3_T4_SL_jT5_PKSL_NS1_7vsmem_tE
; %bb.0:
	s_load_dwordx2 s[10:11], s[4:5], 0x40
	s_load_dwordx4 s[20:23], s[4:5], 0x20
	s_add_u32 s2, s4, 64
	s_addc_u32 s3, s5, 0
	s_waitcnt lgkmcnt(0)
	s_mul_i32 s0, s11, s8
	s_add_i32 s0, s0, s7
	s_mul_i32 s0, s0, s10
	s_add_i32 s0, s0, s6
	s_cmp_ge_u32 s0, s22
	s_cbranch_scc1 .LBB29_109
; %bb.1:
	s_load_dwordx8 s[12:19], s[4:5], 0x0
	s_load_dwordx2 s[8:9], s[4:5], 0x30
	s_lshr_b32 s11, s20, 10
	s_cmp_lg_u32 s0, s11
	s_mov_b32 s1, 0
	s_cselect_b64 s[22:23], -1, 0
	s_lshl_b64 s[4:5], s[0:1], 2
	s_waitcnt lgkmcnt(0)
	s_add_u32 s4, s8, s4
	s_addc_u32 s5, s9, s5
	s_load_dwordx2 s[24:25], s[4:5], 0x0
	s_lshr_b32 s4, s21, 9
	s_and_b32 s4, s4, 0x7ffffe
	s_sub_i32 s4, 0, s4
	s_and_b32 s5, s0, s4
	s_lshl_b32 s7, s5, 10
	s_lshl_b32 s28, s0, 10
	;; [unrolled: 1-line block ×3, first 2 shown]
	s_sub_i32 s8, s28, s7
	s_add_i32 s5, s5, s21
	s_add_i32 s8, s5, s8
	s_waitcnt lgkmcnt(0)
	s_sub_i32 s9, s8, s24
	s_sub_i32 s8, s8, s25
	;; [unrolled: 1-line block ×3, first 2 shown]
	s_min_u32 s26, s20, s9
	s_addk_i32 s8, 0x400
	s_or_b32 s4, s0, s4
	s_min_u32 s7, s20, s5
	s_add_i32 s5, s5, s21
	s_cmp_eq_u32 s4, -1
	s_cselect_b32 s4, s5, s8
	s_cselect_b32 s5, s7, s25
	s_min_u32 s4, s4, s20
	s_sub_i32 s29, s5, s24
	s_sub_i32 s30, s4, s26
	s_add_u32 s5, s12, s24
	s_addc_u32 s7, s13, 0
	s_add_u32 s4, s12, s26
	v_mov_b32_e32 v1, 0
	global_load_dword v2, v1, s[2:3] offset:14
	s_addc_u32 s8, s13, 0
	s_cmp_lt_u32 s6, s10
	s_cselect_b32 s6, 12, 18
	s_add_u32 s2, s2, s6
	s_addc_u32 s3, s3, 0
	global_load_ushort v1, v1, s[2:3]
	s_mov_b32 s25, s1
	s_mov_b32 s27, s1
	s_cmp_eq_u32 s0, s11
	s_waitcnt vmcnt(1)
	v_lshrrev_b32_e32 v3, 16, v2
	v_and_b32_e32 v2, 0xffff, v2
	v_mul_lo_u32 v2, v2, v3
	s_waitcnt vmcnt(0)
	v_mul_lo_u32 v3, v2, v1
	v_add_u32_e32 v5, v3, v0
	v_add_u32_e32 v4, v5, v3
	s_cbranch_scc1 .LBB29_3
; %bb.2:
	v_mov_b32_e32 v1, s7
	v_add_co_u32_e32 v6, vcc, s5, v0
	v_addc_co_u32_e32 v1, vcc, 0, v1, vcc
	v_subrev_co_u32_e32 v2, vcc, s29, v0
	v_mov_b32_e32 v7, s8
	v_add_co_u32_e64 v8, s[0:1], s4, v2
	v_addc_co_u32_e64 v2, s[0:1], 0, v7, s[0:1]
	v_cndmask_b32_e32 v2, v2, v1, vcc
	v_cndmask_b32_e32 v1, v8, v6, vcc
	v_mov_b32_e32 v6, s7
	v_add_co_u32_e32 v8, vcc, s5, v5
	v_addc_co_u32_e32 v6, vcc, 0, v6, vcc
	v_subrev_co_u32_e32 v7, vcc, s29, v5
	v_mov_b32_e32 v9, s8
	v_add_co_u32_e64 v10, s[0:1], s4, v7
	v_addc_co_u32_e64 v7, s[0:1], 0, v9, s[0:1]
	v_cndmask_b32_e32 v7, v7, v6, vcc
	v_cndmask_b32_e32 v6, v10, v8, vcc
	;; [unrolled: 9-line block ×3, first 2 shown]
	v_add_u32_e32 v12, v4, v3
	v_mov_b32_e32 v10, s7
	v_add_co_u32_e32 v13, vcc, s5, v12
	v_addc_co_u32_e32 v10, vcc, 0, v10, vcc
	v_subrev_co_u32_e32 v11, vcc, s29, v12
	v_mov_b32_e32 v14, s8
	v_add_co_u32_e64 v15, s[0:1], s4, v11
	v_addc_co_u32_e64 v11, s[0:1], 0, v14, s[0:1]
	v_add_u32_e32 v14, v12, v3
	v_cndmask_b32_e32 v11, v11, v10, vcc
	v_cndmask_b32_e32 v10, v15, v13, vcc
	v_mov_b32_e32 v12, s7
	v_add_co_u32_e32 v15, vcc, s5, v14
	v_addc_co_u32_e32 v12, vcc, 0, v12, vcc
	v_subrev_co_u32_e32 v13, vcc, s29, v14
	v_mov_b32_e32 v16, s8
	v_add_co_u32_e64 v17, s[0:1], s4, v13
	v_addc_co_u32_e64 v13, s[0:1], 0, v16, s[0:1]
	v_add_u32_e32 v16, v14, v3
	v_cndmask_b32_e32 v13, v13, v12, vcc
	v_cndmask_b32_e32 v12, v17, v15, vcc
	;; [unrolled: 10-line block ×4, first 2 shown]
	v_mov_b32_e32 v19, s7
	v_add_co_u32_e32 v20, vcc, s5, v18
	v_addc_co_u32_e32 v19, vcc, 0, v19, vcc
	v_subrev_co_u32_e32 v18, vcc, s29, v18
	v_mov_b32_e32 v21, s8
	v_add_co_u32_e64 v18, s[0:1], s4, v18
	v_addc_co_u32_e64 v21, s[0:1], 0, v21, s[0:1]
	v_cndmask_b32_e32 v19, v21, v19, vcc
	v_cndmask_b32_e32 v18, v18, v20, vcc
	global_load_ubyte v20, v[1:2], off
	global_load_ubyte v21, v[6:7], off
	;; [unrolled: 1-line block ×8, first 2 shown]
	s_mov_b32 s0, 0xc0c0004
	s_add_i32 s21, s30, s29
	s_waitcnt vmcnt(6)
	v_perm_b32 v1, v20, v21, s0
	s_waitcnt vmcnt(4)
	v_perm_b32 v2, v22, v23, s0
	v_lshl_or_b32 v1, v2, 16, v1
	s_waitcnt vmcnt(2)
	v_perm_b32 v2, v24, v25, s0
	s_waitcnt vmcnt(0)
	v_perm_b32 v6, v26, v27, s0
	v_lshl_or_b32 v2, v6, 16, v2
	s_cbranch_execz .LBB29_4
	s_branch .LBB29_19
.LBB29_3:
                                        ; implicit-def: $vgpr1_vgpr2
                                        ; implicit-def: $sgpr21
.LBB29_4:
	s_add_i32 s21, s30, s29
	v_mov_b32_e32 v1, 0
	v_cmp_gt_u32_e32 vcc, s21, v0
	s_mov_b32 s6, 0
	v_mov_b32_e32 v2, v1
	s_and_saveexec_b64 s[2:3], vcc
	s_cbranch_execnz .LBB29_110
; %bb.5:
	s_or_b64 exec, exec, s[2:3]
	v_cmp_gt_u32_e32 vcc, s21, v5
	s_and_saveexec_b64 s[2:3], vcc
	s_cbranch_execnz .LBB29_111
.LBB29_6:
	s_or_b64 exec, exec, s[2:3]
	v_cmp_gt_u32_e32 vcc, s21, v4
	s_and_saveexec_b64 s[2:3], vcc
	s_cbranch_execz .LBB29_8
.LBB29_7:
	v_mov_b32_e32 v5, s7
	v_add_co_u32_e32 v7, vcc, s5, v4
	v_addc_co_u32_e32 v5, vcc, 0, v5, vcc
	v_subrev_co_u32_e32 v6, vcc, s29, v4
	v_mov_b32_e32 v8, s8
	v_add_co_u32_e64 v9, s[0:1], s4, v6
	v_addc_co_u32_e64 v6, s[0:1], 0, v8, s[0:1]
	v_cndmask_b32_e32 v6, v6, v5, vcc
	v_cndmask_b32_e32 v5, v9, v7, vcc
	global_load_ubyte v5, v[5:6], off
	s_mov_b32 s0, 0xc0c0304
	s_waitcnt vmcnt(0)
	v_perm_b32 v5, v5, v1, s0
	v_lshlrev_b32_e32 v5, 16, v5
	s_mov_b32 s0, 0xffff
	v_and_or_b32 v1, v1, s0, v5
.LBB29_8:
	s_or_b64 exec, exec, s[2:3]
	v_add_u32_e32 v4, v4, v3
	v_cmp_gt_u32_e32 vcc, s21, v4
	s_and_saveexec_b64 s[2:3], vcc
	s_cbranch_execz .LBB29_10
; %bb.9:
	v_mov_b32_e32 v5, s7
	v_add_co_u32_e32 v7, vcc, s5, v4
	v_addc_co_u32_e32 v5, vcc, 0, v5, vcc
	v_subrev_co_u32_e32 v6, vcc, s29, v4
	v_mov_b32_e32 v8, s8
	v_add_co_u32_e64 v9, s[0:1], s4, v6
	v_addc_co_u32_e64 v6, s[0:1], 0, v8, s[0:1]
	v_cndmask_b32_e32 v6, v6, v5, vcc
	v_cndmask_b32_e32 v5, v9, v7, vcc
	global_load_ubyte v5, v[5:6], off
	s_mov_b32 s0, 0xc0c0006
	s_waitcnt vmcnt(0)
	v_perm_b32 v5, v1, v5, s0
	v_lshlrev_b32_e32 v5, 16, v5
	s_mov_b32 s0, 0xffff
	v_and_or_b32 v1, v1, s0, v5
.LBB29_10:
	s_or_b64 exec, exec, s[2:3]
	v_add_u32_e32 v4, v4, v3
	v_cmp_gt_u32_e32 vcc, s21, v4
	s_and_saveexec_b64 s[2:3], vcc
	s_cbranch_execz .LBB29_12
; %bb.11:
	v_mov_b32_e32 v5, s7
	v_add_co_u32_e32 v7, vcc, s5, v4
	v_addc_co_u32_e32 v5, vcc, 0, v5, vcc
	v_subrev_co_u32_e32 v6, vcc, s29, v4
	v_mov_b32_e32 v8, s8
	v_add_co_u32_e64 v9, s[0:1], s4, v6
	v_addc_co_u32_e64 v6, s[0:1], 0, v8, s[0:1]
	v_cndmask_b32_e32 v6, v6, v5, vcc
	v_cndmask_b32_e32 v5, v9, v7, vcc
	global_load_ubyte v5, v[5:6], off
	s_mov_b32 s0, 0x3020104
	s_waitcnt vmcnt(0)
	v_perm_b32 v2, v5, v2, s0
.LBB29_12:
	s_or_b64 exec, exec, s[2:3]
	v_add_u32_e32 v4, v4, v3
	v_cmp_gt_u32_e32 vcc, s21, v4
	s_and_saveexec_b64 s[2:3], vcc
	s_cbranch_execz .LBB29_14
; %bb.13:
	v_mov_b32_e32 v5, s7
	v_add_co_u32_e32 v7, vcc, s5, v4
	v_addc_co_u32_e32 v5, vcc, 0, v5, vcc
	v_subrev_co_u32_e32 v6, vcc, s29, v4
	v_mov_b32_e32 v8, s8
	v_add_co_u32_e64 v9, s[0:1], s4, v6
	v_addc_co_u32_e64 v6, s[0:1], 0, v8, s[0:1]
	v_cndmask_b32_e32 v6, v6, v5, vcc
	v_cndmask_b32_e32 v5, v9, v7, vcc
	global_load_ubyte v5, v[5:6], off
	s_mov_b32 s0, 0x7060004
	s_waitcnt vmcnt(0)
	v_perm_b32 v2, v2, v5, s0
.LBB29_14:
	;; [unrolled: 20-line block ×4, first 2 shown]
	s_or_b64 exec, exec, s[2:3]
.LBB29_19:
	v_lshrrev_b32_e32 v3, 8, v1
	ds_write_b8 v0, v1
	ds_write_b8 v0, v3 offset:128
	ds_write_b8_d16_hi v0, v1 offset:256
	v_lshrrev_b32_e32 v3, 24, v1
	ds_write_b8 v0, v3 offset:384
	ds_write_b8 v0, v2 offset:512
	v_lshrrev_b32_e32 v3, 8, v2
	v_lshlrev_b32_e32 v7, 3, v0
	ds_write_b8 v0, v3 offset:640
	ds_write_b8_d16_hi v0, v2 offset:768
	v_lshrrev_b32_e32 v3, 24, v2
	v_min_u32_e32 v4, s21, v7
	ds_write_b8 v0, v3 offset:896
	v_sub_u32_e64 v3, v4, s30 clamp
	v_min_u32_e32 v5, s29, v4
	v_cmp_lt_u32_e32 vcc, v3, v5
	s_waitcnt lgkmcnt(0)
	s_barrier
	s_and_saveexec_b64 s[0:1], vcc
	s_cbranch_execz .LBB29_23
; %bb.20:
	v_add_u32_e32 v6, s29, v4
	s_mov_b64 s[2:3], 0
.LBB29_21:                              ; =>This Inner Loop Header: Depth=1
	v_add_u32_e32 v8, v5, v3
	v_lshrrev_b32_e32 v8, 1, v8
	v_xad_u32 v9, v8, -1, v6
	ds_read_i8 v10, v8
	ds_read_i8 v9, v9
	v_add_u32_e32 v11, 1, v8
	s_waitcnt lgkmcnt(0)
	v_cmp_gt_i16_e32 vcc, v9, v10
	v_cndmask_b32_e32 v5, v5, v8, vcc
	v_cndmask_b32_e32 v3, v11, v3, vcc
	v_cmp_ge_u32_e32 vcc, v3, v5
	s_or_b64 s[2:3], vcc, s[2:3]
	s_andn2_b64 exec, exec, s[2:3]
	s_cbranch_execnz .LBB29_21
; %bb.22:
	s_or_b64 exec, exec, s[2:3]
.LBB29_23:
	s_or_b64 exec, exec, s[0:1]
	v_sub_u32_e32 v4, v4, v3
	v_add_u32_e32 v4, s29, v4
	v_cmp_ge_u32_e32 vcc, s29, v3
	v_cmp_ge_u32_e64 s[0:1], s21, v4
	s_or_b64 s[0:1], vcc, s[0:1]
	v_mov_b32_e32 v8, 0
	v_mov_b32_e32 v9, 0
	;; [unrolled: 1-line block ×8, first 2 shown]
	s_and_saveexec_b64 s[12:13], s[0:1]
	s_cbranch_execz .LBB29_29
; %bb.24:
	v_cmp_gt_u32_e32 vcc, s29, v3
                                        ; implicit-def: $vgpr1
	s_and_saveexec_b64 s[0:1], vcc
; %bb.25:
	ds_read_u8 v1, v3
; %bb.26:
	s_or_b64 exec, exec, s[0:1]
	v_cmp_le_u32_e64 s[0:1], s21, v4
	v_cmp_gt_u32_e64 s[2:3], s21, v4
                                        ; implicit-def: $vgpr2
	s_and_saveexec_b64 s[4:5], s[2:3]
; %bb.27:
	ds_read_u8 v2, v4
; %bb.28:
	s_or_b64 exec, exec, s[4:5]
	s_waitcnt lgkmcnt(0)
	v_cmp_le_i16_sdwa s[2:3], sext(v2), sext(v1) src0_sel:BYTE_0 src1_sel:BYTE_0
	s_and_b64 s[2:3], vcc, s[2:3]
	s_or_b64 vcc, s[0:1], s[2:3]
	v_mov_b32_e32 v5, s21
	v_mov_b32_e32 v6, s29
	v_cndmask_b32_e32 v15, v4, v3, vcc
	v_cndmask_b32_e32 v8, v5, v6, vcc
	v_add_u32_e32 v9, 1, v15
	v_add_u32_e32 v8, -1, v8
	v_min_u32_e32 v8, v9, v8
	ds_read_u8 v8, v8
	v_cndmask_b32_e32 v3, v3, v9, vcc
	v_cndmask_b32_e32 v4, v9, v4, vcc
	v_cmp_gt_u32_e64 s[2:3], s29, v3
	v_cmp_le_u32_e64 s[0:1], s21, v4
	s_waitcnt lgkmcnt(0)
	v_cndmask_b32_e32 v16, v8, v2, vcc
	v_cndmask_b32_e32 v8, v1, v8, vcc
	v_cmp_le_i16_sdwa s[4:5], sext(v16), sext(v8) src0_sel:BYTE_0 src1_sel:BYTE_0
	s_and_b64 s[2:3], s[2:3], s[4:5]
	s_or_b64 s[0:1], s[0:1], s[2:3]
	v_cndmask_b32_e64 v14, v4, v3, s[0:1]
	v_cndmask_b32_e64 v9, v5, v6, s[0:1]
	v_add_u32_e32 v10, 1, v14
	v_add_u32_e32 v9, -1, v9
	v_min_u32_e32 v9, v10, v9
	ds_read_u8 v9, v9
	v_cndmask_b32_e64 v3, v3, v10, s[0:1]
	v_cndmask_b32_e64 v4, v10, v4, s[0:1]
	v_cmp_gt_u32_e64 s[4:5], s29, v3
	v_cmp_le_u32_e64 s[2:3], s21, v4
	s_waitcnt lgkmcnt(0)
	v_cndmask_b32_e64 v17, v9, v16, s[0:1]
	v_cndmask_b32_e64 v9, v8, v9, s[0:1]
	v_cmp_le_i16_sdwa s[6:7], sext(v17), sext(v9) src0_sel:BYTE_0 src1_sel:BYTE_0
	s_and_b64 s[4:5], s[4:5], s[6:7]
	s_or_b64 s[2:3], s[2:3], s[4:5]
	v_cndmask_b32_e64 v13, v4, v3, s[2:3]
	v_cndmask_b32_e64 v10, v5, v6, s[2:3]
	v_add_u32_e32 v11, 1, v13
	v_add_u32_e32 v10, -1, v10
	v_min_u32_e32 v10, v11, v10
	ds_read_u8 v10, v10
	v_cndmask_b32_e64 v3, v3, v11, s[2:3]
	v_cndmask_b32_e64 v4, v11, v4, s[2:3]
	v_cmp_gt_u32_e64 s[6:7], s29, v3
	v_cmp_le_u32_e64 s[4:5], s21, v4
	s_waitcnt lgkmcnt(0)
	v_cndmask_b32_e64 v18, v10, v17, s[2:3]
	v_cndmask_b32_e64 v19, v9, v10, s[2:3]
	;; [unrolled: 16-line block ×4, first 2 shown]
	v_cmp_le_i16_sdwa s[34:35], sext(v23), sext(v24) src0_sel:BYTE_0 src1_sel:BYTE_0
	s_and_b64 s[10:11], s[10:11], s[34:35]
	s_or_b64 s[8:9], s[8:9], s[10:11]
	v_cndmask_b32_e64 v10, v4, v3, s[8:9]
	v_cndmask_b32_e64 v22, v5, v6, s[8:9]
	v_add_u32_e32 v25, 1, v10
	v_add_u32_e32 v22, -1, v22
	v_min_u32_e32 v22, v25, v22
	ds_read_u8 v22, v22
	v_cndmask_b32_e32 v1, v2, v1, vcc
	v_cndmask_b32_e64 v16, v16, v8, s[0:1]
	v_cndmask_b32_e64 v3, v3, v25, s[8:9]
	;; [unrolled: 1-line block ×3, first 2 shown]
	s_waitcnt lgkmcnt(0)
	v_cndmask_b32_e64 v2, v22, v23, s[8:9]
	v_cndmask_b32_e64 v8, v24, v22, s[8:9]
	;; [unrolled: 1-line block ×3, first 2 shown]
	v_cmp_gt_u32_e64 s[0:1], s29, v3
	v_cmp_le_i16_sdwa s[2:3], sext(v2), sext(v8) src0_sel:BYTE_0 src1_sel:BYTE_0
	v_cmp_le_u32_e32 vcc, s21, v4
	s_and_b64 s[0:1], s[0:1], s[2:3]
	s_or_b64 vcc, vcc, s[0:1]
	v_cndmask_b32_e32 v9, v4, v3, vcc
	v_cndmask_b32_e32 v5, v5, v6, vcc
	v_add_u32_e32 v6, 1, v9
	v_add_u32_e32 v5, -1, v5
	v_min_u32_e32 v5, v6, v5
	ds_read_u8 v5, v5
	v_cndmask_b32_e64 v18, v18, v19, s[4:5]
	v_cndmask_b32_e64 v19, v20, v21, s[6:7]
	v_cndmask_b32_e32 v21, v2, v8, vcc
	v_cndmask_b32_e32 v3, v3, v6, vcc
	s_waitcnt lgkmcnt(0)
	v_cndmask_b32_e32 v2, v5, v2, vcc
	v_cndmask_b32_e32 v5, v8, v5, vcc
	;; [unrolled: 1-line block ×3, first 2 shown]
	v_cmp_gt_u32_e64 s[0:1], s29, v3
	v_cmp_le_i16_sdwa s[2:3], sext(v2), sext(v5) src0_sel:BYTE_0 src1_sel:BYTE_0
	v_cmp_le_u32_e32 vcc, s21, v4
	s_and_b64 s[0:1], s[0:1], s[2:3]
	s_or_b64 vcc, vcc, s[0:1]
	v_cndmask_b32_e64 v20, v23, v24, s[8:9]
	v_cndmask_b32_e32 v2, v2, v5, vcc
	v_cndmask_b32_e32 v8, v4, v3, vcc
	v_lshlrev_b16_e32 v2, 8, v2
	v_lshlrev_b16_e32 v3, 8, v20
	v_or_b32_sdwa v2, v21, v2 dst_sel:WORD_1 dst_unused:UNUSED_PAD src0_sel:BYTE_0 src1_sel:DWORD
	v_or_b32_sdwa v3, v19, v3 dst_sel:DWORD dst_unused:UNUSED_PAD src0_sel:BYTE_0 src1_sel:DWORD
	v_or_b32_sdwa v2, v3, v2 dst_sel:DWORD dst_unused:UNUSED_PAD src0_sel:WORD_0 src1_sel:DWORD
	v_lshlrev_b16_e32 v3, 8, v18
	v_lshlrev_b16_e32 v4, 8, v16
	v_or_b32_sdwa v3, v17, v3 dst_sel:WORD_1 dst_unused:UNUSED_PAD src0_sel:BYTE_0 src1_sel:DWORD
	v_or_b32_sdwa v1, v1, v4 dst_sel:DWORD dst_unused:UNUSED_PAD src0_sel:BYTE_0 src1_sel:DWORD
	v_or_b32_sdwa v1, v1, v3 dst_sel:DWORD dst_unused:UNUSED_PAD src0_sel:WORD_0 src1_sel:DWORD
.LBB29_29:
	s_or_b64 exec, exec, s[12:13]
	s_lshl_b64 s[0:1], s[24:25], 3
	s_add_u32 s8, s16, s0
	s_addc_u32 s9, s17, s1
	s_lshl_b64 s[0:1], s[26:27], 3
	s_add_u32 s6, s16, s0
	v_cndmask_b32_e64 v3, 0, 1, s[22:23]
	s_addc_u32 s7, s17, s1
	v_cmp_gt_u32_e64 s[4:5], s29, v0
	v_cmp_ne_u32_e64 s[0:1], 1, v3
	s_andn2_b64 vcc, exec, s[22:23]
	v_cmp_le_u32_e64 s[2:3], s29, v0
	s_barrier
	s_cbranch_vccnz .LBB29_31
; %bb.30:
	v_mov_b32_e32 v3, s9
	v_add_co_u32_e32 v5, vcc, s8, v7
	v_subrev_u32_e32 v4, s29, v0
	v_addc_co_u32_e32 v3, vcc, 0, v3, vcc
	v_lshlrev_b32_e32 v4, 3, v4
	v_mov_b32_e32 v6, s7
	v_add_co_u32_e32 v16, vcc, s6, v4
	v_addc_co_u32_e32 v4, vcc, 0, v6, vcc
	v_cndmask_b32_e64 v4, v4, v3, s[4:5]
	v_cndmask_b32_e64 v3, v16, v5, s[4:5]
	v_or_b32_e32 v5, 0x80, v0
	v_subrev_u32_e32 v6, s29, v5
	v_min_u32_e32 v6, v5, v6
	v_cmp_gt_u32_e32 vcc, s29, v5
	v_mov_b32_e32 v28, s6
	v_mov_b32_e32 v29, s8
	;; [unrolled: 1-line block ×4, first 2 shown]
	v_cndmask_b32_e32 v5, v28, v29, vcc
	v_lshlrev_b32_e32 v6, 3, v6
	v_cndmask_b32_e32 v16, v26, v27, vcc
	v_add_co_u32_e32 v5, vcc, v5, v6
	v_addc_co_u32_e32 v6, vcc, 0, v16, vcc
	v_or_b32_e32 v16, 0x100, v0
	v_subrev_u32_e32 v17, s29, v16
	v_min_u32_e32 v17, v16, v17
	v_cmp_gt_u32_e32 vcc, s29, v16
	v_cndmask_b32_e32 v16, v28, v29, vcc
	v_lshlrev_b32_e32 v17, 3, v17
	v_cndmask_b32_e32 v18, v26, v27, vcc
	v_add_co_u32_e32 v16, vcc, v16, v17
	v_addc_co_u32_e32 v17, vcc, 0, v18, vcc
	v_or_b32_e32 v18, 0x180, v0
	v_subrev_u32_e32 v19, s29, v18
	v_min_u32_e32 v19, v18, v19
	v_cmp_gt_u32_e32 vcc, s29, v18
	;; [unrolled: 9-line block ×5, first 2 shown]
	global_load_dwordx2 v[3:4], v[3:4], off
	v_cndmask_b32_e32 v24, v28, v29, vcc
	global_load_dwordx2 v[5:6], v[5:6], off
	v_lshlrev_b32_e32 v25, 3, v25
	global_load_dwordx2 v[16:17], v[16:17], off
	v_cndmask_b32_e32 v30, v26, v27, vcc
	global_load_dwordx2 v[18:19], v[18:19], off
	v_add_co_u32_e32 v24, vcc, v24, v25
	global_load_dwordx2 v[20:21], v[20:21], off
	v_addc_co_u32_e32 v25, vcc, 0, v30, vcc
	global_load_dwordx2 v[22:23], v[22:23], off
	s_nop 0
	global_load_dwordx2 v[24:25], v[24:25], off
	s_mov_b64 s[4:5], -1
	s_waitcnt vmcnt(5)
	ds_write2st64_b64 v7, v[3:4], v[5:6] offset1:2
	s_waitcnt vmcnt(3)
	ds_write2st64_b64 v7, v[16:17], v[18:19] offset0:4 offset1:6
	s_waitcnt vmcnt(1)
	ds_write2st64_b64 v7, v[20:21], v[22:23] offset0:8 offset1:10
	s_waitcnt vmcnt(0)
	ds_write_b64 v7, v[24:25] offset:6144
	v_or_b32_e32 v16, 0x380, v0
	v_subrev_u32_e32 v3, s29, v16
	v_cmp_gt_u32_e32 vcc, s29, v16
	v_min_u32_e32 v5, v16, v3
	v_cndmask_b32_e32 v4, v26, v27, vcc
	v_cndmask_b32_e32 v3, v28, v29, vcc
	s_cbranch_execz .LBB29_32
	s_branch .LBB29_65
.LBB29_31:
	s_mov_b64 s[4:5], 0
                                        ; implicit-def: $vgpr16
                                        ; implicit-def: $vgpr3_vgpr4
                                        ; implicit-def: $vgpr5
.LBB29_32:
	s_and_saveexec_b64 s[4:5], s[2:3]
	s_xor_b64 s[2:3], exec, s[4:5]
	s_cbranch_execz .LBB29_36
; %bb.33:
	v_subrev_u32_e32 v3, s29, v0
	v_cmp_gt_u32_e32 vcc, s30, v3
	s_and_saveexec_b64 s[4:5], vcc
	s_cbranch_execz .LBB29_35
; %bb.34:
	v_lshlrev_b32_e32 v3, 3, v3
	global_load_dwordx2 v[3:4], v3, s[6:7]
	s_waitcnt vmcnt(0)
	ds_write_b64 v7, v[3:4]
.LBB29_35:
	s_or_b64 exec, exec, s[4:5]
.LBB29_36:
	s_or_saveexec_b64 s[2:3], s[2:3]
	v_mad_u32_u24 v5, v0, 7, v0
	s_xor_b64 exec, exec, s[2:3]
	s_cbranch_execz .LBB29_38
; %bb.37:
	global_load_dwordx2 v[3:4], v7, s[8:9]
	s_waitcnt vmcnt(0)
	ds_write_b64 v5, v[3:4]
.LBB29_38:
	s_or_b64 exec, exec, s[2:3]
	v_or_b32_e32 v6, 0x80, v0
	v_mov_b32_e32 v3, s24
	v_cmp_le_u32_e32 vcc, s29, v6
	s_mov_b64 s[2:3], -1
	v_mov_b32_e32 v4, s25
	s_and_saveexec_b64 s[4:5], vcc
; %bb.39:
	v_subrev_u32_e32 v6, s29, v6
	v_cmp_gt_u32_e32 vcc, s30, v6
	v_mov_b32_e32 v3, s26
	v_mov_b32_e32 v4, s27
	s_orn2_b64 s[2:3], vcc, exec
; %bb.40:
	s_or_b64 exec, exec, s[4:5]
	s_and_saveexec_b64 s[4:5], s[2:3]
	s_cbranch_execz .LBB29_42
; %bb.41:
	v_lshlrev_b64 v[3:4], 3, v[3:4]
	v_mov_b32_e32 v16, s17
	v_add_co_u32_e32 v3, vcc, s16, v3
	v_addc_co_u32_e32 v4, vcc, v16, v4, vcc
	v_lshlrev_b32_e32 v6, 3, v6
	v_add_co_u32_e32 v3, vcc, v3, v6
	v_addc_co_u32_e32 v4, vcc, 0, v4, vcc
	global_load_dwordx2 v[3:4], v[3:4], off
	s_waitcnt vmcnt(0)
	ds_write_b64 v5, v[3:4] offset:1024
.LBB29_42:
	s_or_b64 exec, exec, s[4:5]
	v_or_b32_e32 v6, 0x100, v0
	v_mov_b32_e32 v3, s24
	v_cmp_le_u32_e32 vcc, s29, v6
	s_mov_b64 s[2:3], -1
	v_mov_b32_e32 v4, s25
	s_and_saveexec_b64 s[4:5], vcc
; %bb.43:
	v_subrev_u32_e32 v6, s29, v6
	v_cmp_gt_u32_e32 vcc, s30, v6
	v_mov_b32_e32 v3, s26
	v_mov_b32_e32 v4, s27
	s_orn2_b64 s[2:3], vcc, exec
; %bb.44:
	s_or_b64 exec, exec, s[4:5]
	s_and_saveexec_b64 s[4:5], s[2:3]
	s_cbranch_execz .LBB29_46
; %bb.45:
	v_lshlrev_b64 v[3:4], 3, v[3:4]
	v_mov_b32_e32 v16, s17
	v_add_co_u32_e32 v3, vcc, s16, v3
	v_addc_co_u32_e32 v4, vcc, v16, v4, vcc
	v_lshlrev_b32_e32 v6, 3, v6
	v_add_co_u32_e32 v3, vcc, v3, v6
	v_addc_co_u32_e32 v4, vcc, 0, v4, vcc
	global_load_dwordx2 v[3:4], v[3:4], off
	s_waitcnt vmcnt(0)
	ds_write_b64 v5, v[3:4] offset:2048
.LBB29_46:
	;; [unrolled: 29-line block ×6, first 2 shown]
	s_or_b64 exec, exec, s[4:5]
	v_or_b32_e32 v16, 0x380, v0
	v_mov_b32_e32 v3, s8
	v_cmp_le_u32_e32 vcc, s29, v16
	s_mov_b64 s[4:5], -1
	v_mov_b32_e32 v4, s9
	v_mov_b32_e32 v5, v16
	s_and_saveexec_b64 s[2:3], vcc
; %bb.63:
	v_subrev_u32_e32 v5, s29, v16
	v_cmp_gt_u32_e32 vcc, s30, v5
	v_mov_b32_e32 v3, s6
	v_mov_b32_e32 v4, s7
	s_orn2_b64 s[4:5], vcc, exec
; %bb.64:
	s_or_b64 exec, exec, s[2:3]
.LBB29_65:
	s_and_saveexec_b64 s[2:3], s[4:5]
	s_cbranch_execz .LBB29_67
; %bb.66:
	v_mov_b32_e32 v6, 0
	v_lshlrev_b64 v[5:6], 3, v[5:6]
	v_add_co_u32_e32 v3, vcc, v3, v5
	v_addc_co_u32_e32 v4, vcc, v4, v6, vcc
	global_load_dwordx2 v[3:4], v[3:4], off
	v_lshlrev_b32_e32 v5, 3, v16
	s_waitcnt vmcnt(0)
	ds_write_b64 v5, v[3:4]
.LBB29_67:
	s_or_b64 exec, exec, s[2:3]
	s_and_b64 vcc, exec, s[0:1]
	v_add_u32_e32 v3, s28, v7
	s_waitcnt lgkmcnt(0)
	s_barrier
	s_cbranch_vccnz .LBB29_69
; %bb.68:
	v_lshlrev_b32_e32 v16, 3, v15
	v_lshlrev_b32_e32 v18, 3, v14
	v_lshlrev_b32_e32 v20, 3, v13
	v_lshlrev_b32_e32 v22, 3, v12
	v_lshlrev_b32_e32 v24, 3, v11
	v_lshlrev_b32_e32 v26, 3, v10
	v_lshlrev_b32_e32 v28, 3, v9
	v_mov_b32_e32 v4, 0
	ds_read_b64 v[16:17], v16
	ds_read_b64 v[18:19], v18
	;; [unrolled: 1-line block ×7, first 2 shown]
	v_lshlrev_b64 v[5:6], 3, v[3:4]
	v_mov_b32_e32 v30, s19
	v_add_co_u32_e32 v5, vcc, s18, v5
	v_addc_co_u32_e32 v6, vcc, v30, v6, vcc
	s_mov_b64 s[0:1], -1
	s_waitcnt lgkmcnt(5)
	global_store_dwordx4 v[5:6], v[16:19], off
	s_waitcnt lgkmcnt(3)
	global_store_dwordx4 v[5:6], v[20:23], off offset:16
	s_waitcnt lgkmcnt(1)
	global_store_dwordx4 v[5:6], v[24:27], off offset:32
	s_waitcnt lgkmcnt(0)
	global_store_dwordx2 v[5:6], v[28:29], off offset:48
	s_cbranch_execz .LBB29_70
	s_branch .LBB29_87
.LBB29_69:
	s_mov_b64 s[0:1], 0
.LBB29_70:
	v_cmp_gt_u32_e32 vcc, s21, v7
	s_and_saveexec_b64 s[2:3], vcc
	s_cbranch_execz .LBB29_72
; %bb.71:
	v_lshlrev_b32_e32 v6, 3, v15
	v_mov_b32_e32 v4, 0
	ds_read_b64 v[15:16], v6
	v_lshlrev_b64 v[4:5], 3, v[3:4]
	v_mov_b32_e32 v17, s19
	v_add_co_u32_e32 v4, vcc, s18, v4
	v_addc_co_u32_e32 v5, vcc, v17, v5, vcc
	s_waitcnt lgkmcnt(0)
	global_store_dwordx2 v[4:5], v[15:16], off
.LBB29_72:
	s_or_b64 exec, exec, s[2:3]
	v_or_b32_e32 v4, 1, v7
	v_cmp_gt_u32_e32 vcc, s21, v4
	s_and_saveexec_b64 s[2:3], vcc
	s_cbranch_execz .LBB29_74
; %bb.73:
	v_lshlrev_b32_e32 v6, 3, v14
	v_mov_b32_e32 v4, 0
	ds_read_b64 v[14:15], v6
	v_lshlrev_b64 v[4:5], 3, v[3:4]
	v_mov_b32_e32 v16, s19
	v_add_co_u32_e32 v4, vcc, s18, v4
	v_addc_co_u32_e32 v5, vcc, v16, v5, vcc
	s_waitcnt lgkmcnt(0)
	global_store_dwordx2 v[4:5], v[14:15], off offset:8
.LBB29_74:
	s_or_b64 exec, exec, s[2:3]
	v_or_b32_e32 v4, 2, v7
	v_cmp_gt_u32_e32 vcc, s21, v4
	s_and_saveexec_b64 s[2:3], vcc
	s_cbranch_execz .LBB29_76
; %bb.75:
	v_lshlrev_b32_e32 v6, 3, v13
	v_mov_b32_e32 v4, 0
	ds_read_b64 v[13:14], v6
	v_lshlrev_b64 v[4:5], 3, v[3:4]
	v_mov_b32_e32 v15, s19
	v_add_co_u32_e32 v4, vcc, s18, v4
	v_addc_co_u32_e32 v5, vcc, v15, v5, vcc
	s_waitcnt lgkmcnt(0)
	global_store_dwordx2 v[4:5], v[13:14], off offset:16
.LBB29_76:
	;; [unrolled: 16-line block ×6, first 2 shown]
	s_or_b64 exec, exec, s[2:3]
	v_or_b32_e32 v4, 7, v7
	v_cmp_gt_u32_e32 vcc, s21, v4
	s_and_saveexec_b64 s[2:3], vcc
; %bb.85:
	v_mov_b32_e32 v4, 0
	s_or_b64 s[0:1], s[0:1], exec
; %bb.86:
	s_or_b64 exec, exec, s[2:3]
.LBB29_87:
	s_and_saveexec_b64 s[2:3], s[0:1]
	s_cbranch_execz .LBB29_89
; %bb.88:
	v_lshlrev_b32_e32 v5, 3, v8
	ds_read_b64 v[5:6], v5
	v_lshlrev_b64 v[3:4], 3, v[3:4]
	v_mov_b32_e32 v8, s19
	v_add_co_u32_e32 v3, vcc, s18, v3
	v_addc_co_u32_e32 v4, vcc, v8, v4, vcc
	s_waitcnt lgkmcnt(0)
	global_store_dwordx2 v[3:4], v[5:6], off offset:56
.LBB29_89:
	s_or_b64 exec, exec, s[2:3]
	v_lshrrev_b32_e32 v3, 2, v0
	s_add_u32 s0, s14, s28
	v_and_b32_e32 v3, 28, v3
	s_addc_u32 s1, s15, 0
	v_add_u32_e32 v3, v3, v7
	s_waitcnt vmcnt(0)
	s_barrier
	s_barrier
	ds_write2_b32 v3, v1, v2 offset1:1
	v_mov_b32_e32 v2, s1
	v_add_co_u32_e32 v1, vcc, s0, v0
	v_addc_co_u32_e32 v2, vcc, 0, v2, vcc
	s_and_b64 vcc, exec, s[22:23]
	v_add_u32_e32 v4, 4, v0
	v_add_u32_e32 v5, 8, v0
	;; [unrolled: 1-line block ×7, first 2 shown]
	s_waitcnt lgkmcnt(0)
	s_cbranch_vccz .LBB29_91
; %bb.90:
	s_barrier
	ds_read_u8 v11, v0
	ds_read_u8 v12, v4 offset:128
	ds_read_u8 v13, v5 offset:256
	;; [unrolled: 1-line block ×7, first 2 shown]
	s_waitcnt lgkmcnt(7)
	global_store_byte v[1:2], v11, off
	s_waitcnt lgkmcnt(6)
	global_store_byte v[1:2], v12, off offset:128
	s_waitcnt lgkmcnt(5)
	global_store_byte v[1:2], v13, off offset:256
	;; [unrolled: 2-line block ×6, first 2 shown]
	s_mov_b64 s[0:1], -1
	s_cbranch_execz .LBB29_92
	s_branch .LBB29_107
.LBB29_91:
	s_mov_b64 s[0:1], 0
                                        ; implicit-def: $vgpr3
.LBB29_92:
	s_waitcnt vmcnt(0) lgkmcnt(0)
	s_barrier
	ds_read_u8 v13, v4 offset:128
	ds_read_u8 v12, v5 offset:256
	;; [unrolled: 1-line block ×7, first 2 shown]
	s_sub_i32 s2, s20, s28
	v_or_b32_e32 v7, 0x80, v0
	v_cmp_gt_u32_e32 vcc, s2, v0
	s_and_saveexec_b64 s[0:1], vcc
	s_cbranch_execz .LBB29_94
; %bb.93:
	ds_read_u8 v8, v0
	s_waitcnt lgkmcnt(0)
	global_store_byte v[1:2], v8, off
.LBB29_94:
	s_or_b64 exec, exec, s[0:1]
	v_or_b32_e32 v8, 0x100, v0
	v_cmp_gt_u32_e32 vcc, s2, v7
	s_and_saveexec_b64 s[0:1], vcc
	s_cbranch_execz .LBB29_96
; %bb.95:
	s_waitcnt lgkmcnt(6)
	global_store_byte v[1:2], v13, off offset:128
.LBB29_96:
	s_or_b64 exec, exec, s[0:1]
	v_or_b32_e32 v7, 0x180, v0
	v_cmp_gt_u32_e32 vcc, s2, v8
	s_and_saveexec_b64 s[0:1], vcc
	s_cbranch_execz .LBB29_98
; %bb.97:
	s_waitcnt lgkmcnt(5)
	global_store_byte v[1:2], v12, off offset:256
.LBB29_98:
	;; [unrolled: 9-line block ×4, first 2 shown]
	s_or_b64 exec, exec, s[0:1]
	s_waitcnt lgkmcnt(3)
	v_or_b32_e32 v6, 0x300, v0
	v_cmp_gt_u32_e32 vcc, s2, v7
	s_and_saveexec_b64 s[0:1], vcc
	s_cbranch_execz .LBB29_104
; %bb.103:
	s_waitcnt lgkmcnt(2)
	global_store_byte v[1:2], v5, off offset:640
.LBB29_104:
	s_or_b64 exec, exec, s[0:1]
	v_or_b32_e32 v0, 0x380, v0
	v_cmp_gt_u32_e32 vcc, s2, v6
	s_and_saveexec_b64 s[0:1], vcc
	s_cbranch_execz .LBB29_106
; %bb.105:
	s_waitcnt lgkmcnt(1)
	global_store_byte v[1:2], v4, off offset:768
.LBB29_106:
	s_or_b64 exec, exec, s[0:1]
	v_cmp_gt_u32_e64 s[0:1], s2, v0
.LBB29_107:
	s_and_saveexec_b64 s[2:3], s[0:1]
	s_cbranch_execz .LBB29_109
; %bb.108:
	s_waitcnt lgkmcnt(0)
	global_store_byte v[1:2], v3, off offset:896
.LBB29_109:
	s_endpgm
.LBB29_110:
	v_mov_b32_e32 v1, s7
	v_add_co_u32_e32 v6, vcc, s5, v0
	v_addc_co_u32_e32 v1, vcc, 0, v1, vcc
	v_subrev_co_u32_e32 v2, vcc, s29, v0
	v_mov_b32_e32 v7, s8
	v_add_co_u32_e64 v8, s[0:1], s4, v2
	v_addc_co_u32_e64 v2, s[0:1], 0, v7, s[0:1]
	v_cndmask_b32_e32 v2, v2, v1, vcc
	v_cndmask_b32_e32 v1, v8, v6, vcc
	global_load_ubyte v1, v[1:2], off
	v_mov_b32_e32 v2, s6
	s_waitcnt vmcnt(0)
	v_and_b32_e32 v1, 0xffff, v1
	s_or_b64 exec, exec, s[2:3]
	v_cmp_gt_u32_e32 vcc, s21, v5
	s_and_saveexec_b64 s[2:3], vcc
	s_cbranch_execz .LBB29_6
.LBB29_111:
	v_mov_b32_e32 v6, s7
	v_add_co_u32_e32 v7, vcc, s5, v5
	v_addc_co_u32_e32 v6, vcc, 0, v6, vcc
	v_subrev_co_u32_e32 v5, vcc, s29, v5
	v_mov_b32_e32 v8, s8
	v_add_co_u32_e64 v5, s[0:1], s4, v5
	v_addc_co_u32_e64 v8, s[0:1], 0, v8, s[0:1]
	v_cndmask_b32_e32 v6, v8, v6, vcc
	v_cndmask_b32_e32 v5, v5, v7, vcc
	global_load_ubyte v5, v[5:6], off
	s_mov_b32 s0, 0x7060004
	s_waitcnt vmcnt(0)
	v_perm_b32 v1, v1, v5, s0
	s_or_b64 exec, exec, s[2:3]
	v_cmp_gt_u32_e32 vcc, s21, v4
	s_and_saveexec_b64 s[2:3], vcc
	s_cbranch_execnz .LBB29_7
	s_branch .LBB29_8
	.section	.rodata,"a",@progbits
	.p2align	6, 0x0
	.amdhsa_kernel _ZN7rocprim17ROCPRIM_304000_NS6detail35device_block_merge_mergepath_kernelINS1_37wrapped_merge_sort_block_merge_configINS0_14default_configEaN2at4cuda3cub6detail10OpaqueTypeILi8EEEEEPaSC_PSA_SD_jNS1_19radix_merge_compareILb1ELb0EaNS0_19identity_decomposerEEEEEvT0_T1_T2_T3_T4_SL_jT5_PKSL_NS1_7vsmem_tE
		.amdhsa_group_segment_fixed_size 8208
		.amdhsa_private_segment_fixed_size 0
		.amdhsa_kernarg_size 320
		.amdhsa_user_sgpr_count 6
		.amdhsa_user_sgpr_private_segment_buffer 1
		.amdhsa_user_sgpr_dispatch_ptr 0
		.amdhsa_user_sgpr_queue_ptr 0
		.amdhsa_user_sgpr_kernarg_segment_ptr 1
		.amdhsa_user_sgpr_dispatch_id 0
		.amdhsa_user_sgpr_flat_scratch_init 0
		.amdhsa_user_sgpr_private_segment_size 0
		.amdhsa_uses_dynamic_stack 0
		.amdhsa_system_sgpr_private_segment_wavefront_offset 0
		.amdhsa_system_sgpr_workgroup_id_x 1
		.amdhsa_system_sgpr_workgroup_id_y 1
		.amdhsa_system_sgpr_workgroup_id_z 1
		.amdhsa_system_sgpr_workgroup_info 0
		.amdhsa_system_vgpr_workitem_id 0
		.amdhsa_next_free_vgpr 49
		.amdhsa_next_free_sgpr 98
		.amdhsa_reserve_vcc 1
		.amdhsa_reserve_flat_scratch 0
		.amdhsa_float_round_mode_32 0
		.amdhsa_float_round_mode_16_64 0
		.amdhsa_float_denorm_mode_32 3
		.amdhsa_float_denorm_mode_16_64 3
		.amdhsa_dx10_clamp 1
		.amdhsa_ieee_mode 1
		.amdhsa_fp16_overflow 0
		.amdhsa_exception_fp_ieee_invalid_op 0
		.amdhsa_exception_fp_denorm_src 0
		.amdhsa_exception_fp_ieee_div_zero 0
		.amdhsa_exception_fp_ieee_overflow 0
		.amdhsa_exception_fp_ieee_underflow 0
		.amdhsa_exception_fp_ieee_inexact 0
		.amdhsa_exception_int_div_zero 0
	.end_amdhsa_kernel
	.section	.text._ZN7rocprim17ROCPRIM_304000_NS6detail35device_block_merge_mergepath_kernelINS1_37wrapped_merge_sort_block_merge_configINS0_14default_configEaN2at4cuda3cub6detail10OpaqueTypeILi8EEEEEPaSC_PSA_SD_jNS1_19radix_merge_compareILb1ELb0EaNS0_19identity_decomposerEEEEEvT0_T1_T2_T3_T4_SL_jT5_PKSL_NS1_7vsmem_tE,"axG",@progbits,_ZN7rocprim17ROCPRIM_304000_NS6detail35device_block_merge_mergepath_kernelINS1_37wrapped_merge_sort_block_merge_configINS0_14default_configEaN2at4cuda3cub6detail10OpaqueTypeILi8EEEEEPaSC_PSA_SD_jNS1_19radix_merge_compareILb1ELb0EaNS0_19identity_decomposerEEEEEvT0_T1_T2_T3_T4_SL_jT5_PKSL_NS1_7vsmem_tE,comdat
.Lfunc_end29:
	.size	_ZN7rocprim17ROCPRIM_304000_NS6detail35device_block_merge_mergepath_kernelINS1_37wrapped_merge_sort_block_merge_configINS0_14default_configEaN2at4cuda3cub6detail10OpaqueTypeILi8EEEEEPaSC_PSA_SD_jNS1_19radix_merge_compareILb1ELb0EaNS0_19identity_decomposerEEEEEvT0_T1_T2_T3_T4_SL_jT5_PKSL_NS1_7vsmem_tE, .Lfunc_end29-_ZN7rocprim17ROCPRIM_304000_NS6detail35device_block_merge_mergepath_kernelINS1_37wrapped_merge_sort_block_merge_configINS0_14default_configEaN2at4cuda3cub6detail10OpaqueTypeILi8EEEEEPaSC_PSA_SD_jNS1_19radix_merge_compareILb1ELb0EaNS0_19identity_decomposerEEEEEvT0_T1_T2_T3_T4_SL_jT5_PKSL_NS1_7vsmem_tE
                                        ; -- End function
	.set _ZN7rocprim17ROCPRIM_304000_NS6detail35device_block_merge_mergepath_kernelINS1_37wrapped_merge_sort_block_merge_configINS0_14default_configEaN2at4cuda3cub6detail10OpaqueTypeILi8EEEEEPaSC_PSA_SD_jNS1_19radix_merge_compareILb1ELb0EaNS0_19identity_decomposerEEEEEvT0_T1_T2_T3_T4_SL_jT5_PKSL_NS1_7vsmem_tE.num_vgpr, 31
	.set _ZN7rocprim17ROCPRIM_304000_NS6detail35device_block_merge_mergepath_kernelINS1_37wrapped_merge_sort_block_merge_configINS0_14default_configEaN2at4cuda3cub6detail10OpaqueTypeILi8EEEEEPaSC_PSA_SD_jNS1_19radix_merge_compareILb1ELb0EaNS0_19identity_decomposerEEEEEvT0_T1_T2_T3_T4_SL_jT5_PKSL_NS1_7vsmem_tE.num_agpr, 0
	.set _ZN7rocprim17ROCPRIM_304000_NS6detail35device_block_merge_mergepath_kernelINS1_37wrapped_merge_sort_block_merge_configINS0_14default_configEaN2at4cuda3cub6detail10OpaqueTypeILi8EEEEEPaSC_PSA_SD_jNS1_19radix_merge_compareILb1ELb0EaNS0_19identity_decomposerEEEEEvT0_T1_T2_T3_T4_SL_jT5_PKSL_NS1_7vsmem_tE.numbered_sgpr, 36
	.set _ZN7rocprim17ROCPRIM_304000_NS6detail35device_block_merge_mergepath_kernelINS1_37wrapped_merge_sort_block_merge_configINS0_14default_configEaN2at4cuda3cub6detail10OpaqueTypeILi8EEEEEPaSC_PSA_SD_jNS1_19radix_merge_compareILb1ELb0EaNS0_19identity_decomposerEEEEEvT0_T1_T2_T3_T4_SL_jT5_PKSL_NS1_7vsmem_tE.num_named_barrier, 0
	.set _ZN7rocprim17ROCPRIM_304000_NS6detail35device_block_merge_mergepath_kernelINS1_37wrapped_merge_sort_block_merge_configINS0_14default_configEaN2at4cuda3cub6detail10OpaqueTypeILi8EEEEEPaSC_PSA_SD_jNS1_19radix_merge_compareILb1ELb0EaNS0_19identity_decomposerEEEEEvT0_T1_T2_T3_T4_SL_jT5_PKSL_NS1_7vsmem_tE.private_seg_size, 0
	.set _ZN7rocprim17ROCPRIM_304000_NS6detail35device_block_merge_mergepath_kernelINS1_37wrapped_merge_sort_block_merge_configINS0_14default_configEaN2at4cuda3cub6detail10OpaqueTypeILi8EEEEEPaSC_PSA_SD_jNS1_19radix_merge_compareILb1ELb0EaNS0_19identity_decomposerEEEEEvT0_T1_T2_T3_T4_SL_jT5_PKSL_NS1_7vsmem_tE.uses_vcc, 1
	.set _ZN7rocprim17ROCPRIM_304000_NS6detail35device_block_merge_mergepath_kernelINS1_37wrapped_merge_sort_block_merge_configINS0_14default_configEaN2at4cuda3cub6detail10OpaqueTypeILi8EEEEEPaSC_PSA_SD_jNS1_19radix_merge_compareILb1ELb0EaNS0_19identity_decomposerEEEEEvT0_T1_T2_T3_T4_SL_jT5_PKSL_NS1_7vsmem_tE.uses_flat_scratch, 0
	.set _ZN7rocprim17ROCPRIM_304000_NS6detail35device_block_merge_mergepath_kernelINS1_37wrapped_merge_sort_block_merge_configINS0_14default_configEaN2at4cuda3cub6detail10OpaqueTypeILi8EEEEEPaSC_PSA_SD_jNS1_19radix_merge_compareILb1ELb0EaNS0_19identity_decomposerEEEEEvT0_T1_T2_T3_T4_SL_jT5_PKSL_NS1_7vsmem_tE.has_dyn_sized_stack, 0
	.set _ZN7rocprim17ROCPRIM_304000_NS6detail35device_block_merge_mergepath_kernelINS1_37wrapped_merge_sort_block_merge_configINS0_14default_configEaN2at4cuda3cub6detail10OpaqueTypeILi8EEEEEPaSC_PSA_SD_jNS1_19radix_merge_compareILb1ELb0EaNS0_19identity_decomposerEEEEEvT0_T1_T2_T3_T4_SL_jT5_PKSL_NS1_7vsmem_tE.has_recursion, 0
	.set _ZN7rocprim17ROCPRIM_304000_NS6detail35device_block_merge_mergepath_kernelINS1_37wrapped_merge_sort_block_merge_configINS0_14default_configEaN2at4cuda3cub6detail10OpaqueTypeILi8EEEEEPaSC_PSA_SD_jNS1_19radix_merge_compareILb1ELb0EaNS0_19identity_decomposerEEEEEvT0_T1_T2_T3_T4_SL_jT5_PKSL_NS1_7vsmem_tE.has_indirect_call, 0
	.section	.AMDGPU.csdata,"",@progbits
; Kernel info:
; codeLenInByte = 5600
; TotalNumSgprs: 40
; NumVgprs: 31
; ScratchSize: 0
; MemoryBound: 0
; FloatMode: 240
; IeeeMode: 1
; LDSByteSize: 8208 bytes/workgroup (compile time only)
; SGPRBlocks: 12
; VGPRBlocks: 12
; NumSGPRsForWavesPerEU: 102
; NumVGPRsForWavesPerEU: 49
; Occupancy: 4
; WaveLimiterHint : 1
; COMPUTE_PGM_RSRC2:SCRATCH_EN: 0
; COMPUTE_PGM_RSRC2:USER_SGPR: 6
; COMPUTE_PGM_RSRC2:TRAP_HANDLER: 0
; COMPUTE_PGM_RSRC2:TGID_X_EN: 1
; COMPUTE_PGM_RSRC2:TGID_Y_EN: 1
; COMPUTE_PGM_RSRC2:TGID_Z_EN: 1
; COMPUTE_PGM_RSRC2:TIDIG_COMP_CNT: 0
	.section	.text._ZN7rocprim17ROCPRIM_304000_NS6detail33device_block_merge_oddeven_kernelINS1_37wrapped_merge_sort_block_merge_configINS0_14default_configEaN2at4cuda3cub6detail10OpaqueTypeILi8EEEEEPaSC_PSA_SD_jNS1_19radix_merge_compareILb1ELb0EaNS0_19identity_decomposerEEEEEvT0_T1_T2_T3_T4_SL_T5_,"axG",@progbits,_ZN7rocprim17ROCPRIM_304000_NS6detail33device_block_merge_oddeven_kernelINS1_37wrapped_merge_sort_block_merge_configINS0_14default_configEaN2at4cuda3cub6detail10OpaqueTypeILi8EEEEEPaSC_PSA_SD_jNS1_19radix_merge_compareILb1ELb0EaNS0_19identity_decomposerEEEEEvT0_T1_T2_T3_T4_SL_T5_,comdat
	.protected	_ZN7rocprim17ROCPRIM_304000_NS6detail33device_block_merge_oddeven_kernelINS1_37wrapped_merge_sort_block_merge_configINS0_14default_configEaN2at4cuda3cub6detail10OpaqueTypeILi8EEEEEPaSC_PSA_SD_jNS1_19radix_merge_compareILb1ELb0EaNS0_19identity_decomposerEEEEEvT0_T1_T2_T3_T4_SL_T5_ ; -- Begin function _ZN7rocprim17ROCPRIM_304000_NS6detail33device_block_merge_oddeven_kernelINS1_37wrapped_merge_sort_block_merge_configINS0_14default_configEaN2at4cuda3cub6detail10OpaqueTypeILi8EEEEEPaSC_PSA_SD_jNS1_19radix_merge_compareILb1ELb0EaNS0_19identity_decomposerEEEEEvT0_T1_T2_T3_T4_SL_T5_
	.globl	_ZN7rocprim17ROCPRIM_304000_NS6detail33device_block_merge_oddeven_kernelINS1_37wrapped_merge_sort_block_merge_configINS0_14default_configEaN2at4cuda3cub6detail10OpaqueTypeILi8EEEEEPaSC_PSA_SD_jNS1_19radix_merge_compareILb1ELb0EaNS0_19identity_decomposerEEEEEvT0_T1_T2_T3_T4_SL_T5_
	.p2align	8
	.type	_ZN7rocprim17ROCPRIM_304000_NS6detail33device_block_merge_oddeven_kernelINS1_37wrapped_merge_sort_block_merge_configINS0_14default_configEaN2at4cuda3cub6detail10OpaqueTypeILi8EEEEEPaSC_PSA_SD_jNS1_19radix_merge_compareILb1ELb0EaNS0_19identity_decomposerEEEEEvT0_T1_T2_T3_T4_SL_T5_,@function
_ZN7rocprim17ROCPRIM_304000_NS6detail33device_block_merge_oddeven_kernelINS1_37wrapped_merge_sort_block_merge_configINS0_14default_configEaN2at4cuda3cub6detail10OpaqueTypeILi8EEEEEPaSC_PSA_SD_jNS1_19radix_merge_compareILb1ELb0EaNS0_19identity_decomposerEEEEEvT0_T1_T2_T3_T4_SL_T5_: ; @_ZN7rocprim17ROCPRIM_304000_NS6detail33device_block_merge_oddeven_kernelINS1_37wrapped_merge_sort_block_merge_configINS0_14default_configEaN2at4cuda3cub6detail10OpaqueTypeILi8EEEEEPaSC_PSA_SD_jNS1_19radix_merge_compareILb1ELb0EaNS0_19identity_decomposerEEEEEvT0_T1_T2_T3_T4_SL_T5_
; %bb.0:
	s_load_dwordx2 s[18:19], s[4:5], 0x20
	s_waitcnt lgkmcnt(0)
	s_lshr_b32 s0, s18, 8
	s_cmp_eq_u32 s6, s0
	s_cselect_b64 s[16:17], -1, 0
	s_cmp_lg_u32 s6, s0
	s_cselect_b64 s[0:1], -1, 0
	s_lshl_b32 s20, s6, 8
	s_sub_i32 s2, s18, s20
	v_cmp_gt_u32_e64 s[2:3], s2, v0
	s_or_b64 s[0:1], s[0:1], s[2:3]
	s_and_saveexec_b64 s[8:9], s[0:1]
	s_cbranch_execz .LBB30_24
; %bb.1:
	s_load_dwordx8 s[8:15], s[4:5], 0x0
	s_mov_b32 s21, 0
	v_lshlrev_b32_e32 v3, 3, v0
	s_waitcnt lgkmcnt(0)
	s_add_u32 s0, s8, s20
	s_addc_u32 s1, s9, 0
	s_lshl_b64 s[4:5], s[20:21], 3
	s_add_u32 s4, s12, s4
	s_addc_u32 s5, s13, s5
	global_load_dwordx2 v[1:2], v3, s[4:5]
	global_load_sbyte v5, v0, s[0:1]
	s_lshr_b32 s0, s19, 8
	s_sub_i32 s1, 0, s0
	s_and_b32 s1, s6, s1
	s_and_b32 s0, s1, s0
	s_lshl_b32 s13, s1, 8
	s_sub_i32 s6, 0, s19
	s_cmp_eq_u32 s0, 0
	s_cselect_b64 s[0:1], -1, 0
	s_and_b64 s[4:5], s[0:1], exec
	s_cselect_b32 s6, s19, s6
	s_add_i32 s6, s6, s13
	s_mov_b64 s[4:5], -1
	s_cmp_gt_u32 s18, s6
	v_add_u32_e32 v3, s20, v0
	s_cbranch_scc1 .LBB30_9
; %bb.2:
	s_and_b64 vcc, exec, s[16:17]
	s_cbranch_vccz .LBB30_6
; %bb.3:
	v_cmp_gt_u32_e32 vcc, s18, v3
	s_and_saveexec_b64 s[4:5], vcc
	s_cbranch_execz .LBB30_5
; %bb.4:
	v_mov_b32_e32 v4, 0
	v_lshlrev_b64 v[6:7], 3, v[3:4]
	v_mov_b32_e32 v0, s15
	v_add_co_u32_e32 v6, vcc, s14, v6
	v_addc_co_u32_e32 v7, vcc, v0, v7, vcc
	s_waitcnt vmcnt(0)
	global_store_byte v3, v5, s[10:11]
	global_store_dwordx2 v[6:7], v[1:2], off
.LBB30_5:
	s_or_b64 exec, exec, s[4:5]
	s_mov_b64 s[4:5], 0
.LBB30_6:
	s_andn2_b64 vcc, exec, s[4:5]
	s_cbranch_vccnz .LBB30_8
; %bb.7:
	v_mov_b32_e32 v4, 0
	v_lshlrev_b64 v[6:7], 3, v[3:4]
	v_mov_b32_e32 v0, s15
	v_add_co_u32_e32 v6, vcc, s14, v6
	v_addc_co_u32_e32 v7, vcc, v0, v7, vcc
	s_waitcnt vmcnt(0)
	global_store_byte v3, v5, s[10:11]
	global_store_dwordx2 v[6:7], v[1:2], off
.LBB30_8:
	s_mov_b64 s[4:5], 0
.LBB30_9:
	s_andn2_b64 vcc, exec, s[4:5]
	s_cbranch_vccnz .LBB30_24
; %bb.10:
	s_min_u32 s7, s6, s18
	s_add_i32 s4, s7, s19
	s_min_u32 s12, s4, s18
	s_min_u32 s4, s13, s7
	s_add_i32 s13, s13, s7
	v_subrev_u32_e32 v0, s13, v3
	v_add_u32_e32 v0, s4, v0
	s_andn2_b64 vcc, exec, s[16:17]
	s_mov_b64 s[4:5], -1
	s_cbranch_vccnz .LBB30_18
; %bb.11:
	s_and_saveexec_b64 s[4:5], s[2:3]
	s_cbranch_execz .LBB30_17
; %bb.12:
	s_cmp_ge_u32 s6, s12
	v_mov_b32_e32 v3, s7
	s_cbranch_scc1 .LBB30_16
; %bb.13:
	s_mov_b64 s[2:3], 0
	v_mov_b32_e32 v4, s12
	v_mov_b32_e32 v3, s7
.LBB30_14:                              ; =>This Inner Loop Header: Depth=1
	v_add_u32_e32 v6, v3, v4
	v_lshrrev_b32_e32 v6, 1, v6
	global_load_sbyte v7, v6, s[8:9]
	v_add_u32_e32 v8, 1, v6
	s_waitcnt vmcnt(0)
	v_cmp_gt_i16_e32 vcc, v7, v5
	v_cndmask_b32_e64 v9, 0, 1, vcc
	v_cmp_le_i16_e32 vcc, v5, v7
	v_cndmask_b32_e64 v7, 0, 1, vcc
	v_cndmask_b32_e64 v7, v7, v9, s[0:1]
	v_and_b32_e32 v7, 1, v7
	v_cmp_eq_u32_e32 vcc, 1, v7
	v_cndmask_b32_e32 v4, v6, v4, vcc
	v_cndmask_b32_e32 v3, v3, v8, vcc
	v_cmp_ge_u32_e32 vcc, v3, v4
	s_or_b64 s[2:3], vcc, s[2:3]
	s_andn2_b64 exec, exec, s[2:3]
	s_cbranch_execnz .LBB30_14
; %bb.15:
	s_or_b64 exec, exec, s[2:3]
.LBB30_16:
	v_add_u32_e32 v3, v3, v0
	v_mov_b32_e32 v4, 0
	s_waitcnt vmcnt(0)
	global_store_byte v3, v5, s[10:11]
	v_lshlrev_b64 v[3:4], 3, v[3:4]
	v_mov_b32_e32 v6, s15
	v_add_co_u32_e32 v3, vcc, s14, v3
	v_addc_co_u32_e32 v4, vcc, v6, v4, vcc
	global_store_dwordx2 v[3:4], v[1:2], off
.LBB30_17:
	s_or_b64 exec, exec, s[4:5]
	s_mov_b64 s[4:5], 0
.LBB30_18:
	s_andn2_b64 vcc, exec, s[4:5]
	s_cbranch_vccnz .LBB30_24
; %bb.19:
	s_cmp_ge_u32 s6, s12
	v_mov_b32_e32 v3, s7
	s_cbranch_scc1 .LBB30_23
; %bb.20:
	s_mov_b64 s[2:3], 0
	v_mov_b32_e32 v4, s12
	v_mov_b32_e32 v3, s7
.LBB30_21:                              ; =>This Inner Loop Header: Depth=1
	v_add_u32_e32 v6, v3, v4
	v_lshrrev_b32_e32 v6, 1, v6
	global_load_sbyte v7, v6, s[8:9]
	v_add_u32_e32 v8, 1, v6
	s_waitcnt vmcnt(0)
	v_cmp_gt_i16_e32 vcc, v7, v5
	v_cndmask_b32_e64 v9, 0, 1, vcc
	v_cmp_le_i16_e32 vcc, v5, v7
	v_cndmask_b32_e64 v7, 0, 1, vcc
	v_cndmask_b32_e64 v7, v7, v9, s[0:1]
	v_and_b32_e32 v7, 1, v7
	v_cmp_eq_u32_e32 vcc, 1, v7
	v_cndmask_b32_e32 v4, v6, v4, vcc
	v_cndmask_b32_e32 v3, v3, v8, vcc
	v_cmp_ge_u32_e32 vcc, v3, v4
	s_or_b64 s[2:3], vcc, s[2:3]
	s_andn2_b64 exec, exec, s[2:3]
	s_cbranch_execnz .LBB30_21
; %bb.22:
	s_or_b64 exec, exec, s[2:3]
.LBB30_23:
	v_add_u32_e32 v3, v3, v0
	v_mov_b32_e32 v4, 0
	s_waitcnt vmcnt(0)
	global_store_byte v3, v5, s[10:11]
	v_lshlrev_b64 v[3:4], 3, v[3:4]
	v_mov_b32_e32 v0, s15
	v_add_co_u32_e32 v3, vcc, s14, v3
	v_addc_co_u32_e32 v4, vcc, v0, v4, vcc
	global_store_dwordx2 v[3:4], v[1:2], off
.LBB30_24:
	s_endpgm
	.section	.rodata,"a",@progbits
	.p2align	6, 0x0
	.amdhsa_kernel _ZN7rocprim17ROCPRIM_304000_NS6detail33device_block_merge_oddeven_kernelINS1_37wrapped_merge_sort_block_merge_configINS0_14default_configEaN2at4cuda3cub6detail10OpaqueTypeILi8EEEEEPaSC_PSA_SD_jNS1_19radix_merge_compareILb1ELb0EaNS0_19identity_decomposerEEEEEvT0_T1_T2_T3_T4_SL_T5_
		.amdhsa_group_segment_fixed_size 0
		.amdhsa_private_segment_fixed_size 0
		.amdhsa_kernarg_size 44
		.amdhsa_user_sgpr_count 6
		.amdhsa_user_sgpr_private_segment_buffer 1
		.amdhsa_user_sgpr_dispatch_ptr 0
		.amdhsa_user_sgpr_queue_ptr 0
		.amdhsa_user_sgpr_kernarg_segment_ptr 1
		.amdhsa_user_sgpr_dispatch_id 0
		.amdhsa_user_sgpr_flat_scratch_init 0
		.amdhsa_user_sgpr_private_segment_size 0
		.amdhsa_uses_dynamic_stack 0
		.amdhsa_system_sgpr_private_segment_wavefront_offset 0
		.amdhsa_system_sgpr_workgroup_id_x 1
		.amdhsa_system_sgpr_workgroup_id_y 0
		.amdhsa_system_sgpr_workgroup_id_z 0
		.amdhsa_system_sgpr_workgroup_info 0
		.amdhsa_system_vgpr_workitem_id 0
		.amdhsa_next_free_vgpr 10
		.amdhsa_next_free_sgpr 22
		.amdhsa_reserve_vcc 1
		.amdhsa_reserve_flat_scratch 0
		.amdhsa_float_round_mode_32 0
		.amdhsa_float_round_mode_16_64 0
		.amdhsa_float_denorm_mode_32 3
		.amdhsa_float_denorm_mode_16_64 3
		.amdhsa_dx10_clamp 1
		.amdhsa_ieee_mode 1
		.amdhsa_fp16_overflow 0
		.amdhsa_exception_fp_ieee_invalid_op 0
		.amdhsa_exception_fp_denorm_src 0
		.amdhsa_exception_fp_ieee_div_zero 0
		.amdhsa_exception_fp_ieee_overflow 0
		.amdhsa_exception_fp_ieee_underflow 0
		.amdhsa_exception_fp_ieee_inexact 0
		.amdhsa_exception_int_div_zero 0
	.end_amdhsa_kernel
	.section	.text._ZN7rocprim17ROCPRIM_304000_NS6detail33device_block_merge_oddeven_kernelINS1_37wrapped_merge_sort_block_merge_configINS0_14default_configEaN2at4cuda3cub6detail10OpaqueTypeILi8EEEEEPaSC_PSA_SD_jNS1_19radix_merge_compareILb1ELb0EaNS0_19identity_decomposerEEEEEvT0_T1_T2_T3_T4_SL_T5_,"axG",@progbits,_ZN7rocprim17ROCPRIM_304000_NS6detail33device_block_merge_oddeven_kernelINS1_37wrapped_merge_sort_block_merge_configINS0_14default_configEaN2at4cuda3cub6detail10OpaqueTypeILi8EEEEEPaSC_PSA_SD_jNS1_19radix_merge_compareILb1ELb0EaNS0_19identity_decomposerEEEEEvT0_T1_T2_T3_T4_SL_T5_,comdat
.Lfunc_end30:
	.size	_ZN7rocprim17ROCPRIM_304000_NS6detail33device_block_merge_oddeven_kernelINS1_37wrapped_merge_sort_block_merge_configINS0_14default_configEaN2at4cuda3cub6detail10OpaqueTypeILi8EEEEEPaSC_PSA_SD_jNS1_19radix_merge_compareILb1ELb0EaNS0_19identity_decomposerEEEEEvT0_T1_T2_T3_T4_SL_T5_, .Lfunc_end30-_ZN7rocprim17ROCPRIM_304000_NS6detail33device_block_merge_oddeven_kernelINS1_37wrapped_merge_sort_block_merge_configINS0_14default_configEaN2at4cuda3cub6detail10OpaqueTypeILi8EEEEEPaSC_PSA_SD_jNS1_19radix_merge_compareILb1ELb0EaNS0_19identity_decomposerEEEEEvT0_T1_T2_T3_T4_SL_T5_
                                        ; -- End function
	.set _ZN7rocprim17ROCPRIM_304000_NS6detail33device_block_merge_oddeven_kernelINS1_37wrapped_merge_sort_block_merge_configINS0_14default_configEaN2at4cuda3cub6detail10OpaqueTypeILi8EEEEEPaSC_PSA_SD_jNS1_19radix_merge_compareILb1ELb0EaNS0_19identity_decomposerEEEEEvT0_T1_T2_T3_T4_SL_T5_.num_vgpr, 10
	.set _ZN7rocprim17ROCPRIM_304000_NS6detail33device_block_merge_oddeven_kernelINS1_37wrapped_merge_sort_block_merge_configINS0_14default_configEaN2at4cuda3cub6detail10OpaqueTypeILi8EEEEEPaSC_PSA_SD_jNS1_19radix_merge_compareILb1ELb0EaNS0_19identity_decomposerEEEEEvT0_T1_T2_T3_T4_SL_T5_.num_agpr, 0
	.set _ZN7rocprim17ROCPRIM_304000_NS6detail33device_block_merge_oddeven_kernelINS1_37wrapped_merge_sort_block_merge_configINS0_14default_configEaN2at4cuda3cub6detail10OpaqueTypeILi8EEEEEPaSC_PSA_SD_jNS1_19radix_merge_compareILb1ELb0EaNS0_19identity_decomposerEEEEEvT0_T1_T2_T3_T4_SL_T5_.numbered_sgpr, 22
	.set _ZN7rocprim17ROCPRIM_304000_NS6detail33device_block_merge_oddeven_kernelINS1_37wrapped_merge_sort_block_merge_configINS0_14default_configEaN2at4cuda3cub6detail10OpaqueTypeILi8EEEEEPaSC_PSA_SD_jNS1_19radix_merge_compareILb1ELb0EaNS0_19identity_decomposerEEEEEvT0_T1_T2_T3_T4_SL_T5_.num_named_barrier, 0
	.set _ZN7rocprim17ROCPRIM_304000_NS6detail33device_block_merge_oddeven_kernelINS1_37wrapped_merge_sort_block_merge_configINS0_14default_configEaN2at4cuda3cub6detail10OpaqueTypeILi8EEEEEPaSC_PSA_SD_jNS1_19radix_merge_compareILb1ELb0EaNS0_19identity_decomposerEEEEEvT0_T1_T2_T3_T4_SL_T5_.private_seg_size, 0
	.set _ZN7rocprim17ROCPRIM_304000_NS6detail33device_block_merge_oddeven_kernelINS1_37wrapped_merge_sort_block_merge_configINS0_14default_configEaN2at4cuda3cub6detail10OpaqueTypeILi8EEEEEPaSC_PSA_SD_jNS1_19radix_merge_compareILb1ELb0EaNS0_19identity_decomposerEEEEEvT0_T1_T2_T3_T4_SL_T5_.uses_vcc, 1
	.set _ZN7rocprim17ROCPRIM_304000_NS6detail33device_block_merge_oddeven_kernelINS1_37wrapped_merge_sort_block_merge_configINS0_14default_configEaN2at4cuda3cub6detail10OpaqueTypeILi8EEEEEPaSC_PSA_SD_jNS1_19radix_merge_compareILb1ELb0EaNS0_19identity_decomposerEEEEEvT0_T1_T2_T3_T4_SL_T5_.uses_flat_scratch, 0
	.set _ZN7rocprim17ROCPRIM_304000_NS6detail33device_block_merge_oddeven_kernelINS1_37wrapped_merge_sort_block_merge_configINS0_14default_configEaN2at4cuda3cub6detail10OpaqueTypeILi8EEEEEPaSC_PSA_SD_jNS1_19radix_merge_compareILb1ELb0EaNS0_19identity_decomposerEEEEEvT0_T1_T2_T3_T4_SL_T5_.has_dyn_sized_stack, 0
	.set _ZN7rocprim17ROCPRIM_304000_NS6detail33device_block_merge_oddeven_kernelINS1_37wrapped_merge_sort_block_merge_configINS0_14default_configEaN2at4cuda3cub6detail10OpaqueTypeILi8EEEEEPaSC_PSA_SD_jNS1_19radix_merge_compareILb1ELb0EaNS0_19identity_decomposerEEEEEvT0_T1_T2_T3_T4_SL_T5_.has_recursion, 0
	.set _ZN7rocprim17ROCPRIM_304000_NS6detail33device_block_merge_oddeven_kernelINS1_37wrapped_merge_sort_block_merge_configINS0_14default_configEaN2at4cuda3cub6detail10OpaqueTypeILi8EEEEEPaSC_PSA_SD_jNS1_19radix_merge_compareILb1ELb0EaNS0_19identity_decomposerEEEEEvT0_T1_T2_T3_T4_SL_T5_.has_indirect_call, 0
	.section	.AMDGPU.csdata,"",@progbits
; Kernel info:
; codeLenInByte = 708
; TotalNumSgprs: 26
; NumVgprs: 10
; ScratchSize: 0
; MemoryBound: 0
; FloatMode: 240
; IeeeMode: 1
; LDSByteSize: 0 bytes/workgroup (compile time only)
; SGPRBlocks: 3
; VGPRBlocks: 2
; NumSGPRsForWavesPerEU: 26
; NumVGPRsForWavesPerEU: 10
; Occupancy: 10
; WaveLimiterHint : 0
; COMPUTE_PGM_RSRC2:SCRATCH_EN: 0
; COMPUTE_PGM_RSRC2:USER_SGPR: 6
; COMPUTE_PGM_RSRC2:TRAP_HANDLER: 0
; COMPUTE_PGM_RSRC2:TGID_X_EN: 1
; COMPUTE_PGM_RSRC2:TGID_Y_EN: 0
; COMPUTE_PGM_RSRC2:TGID_Z_EN: 0
; COMPUTE_PGM_RSRC2:TIDIG_COMP_CNT: 0
	.section	.text._ZN7rocprim17ROCPRIM_304000_NS6detail16transform_kernelINS1_24wrapped_transform_configINS0_14default_configEaEEaPaS6_NS0_8identityIaEEEEvT1_mT2_T3_,"axG",@progbits,_ZN7rocprim17ROCPRIM_304000_NS6detail16transform_kernelINS1_24wrapped_transform_configINS0_14default_configEaEEaPaS6_NS0_8identityIaEEEEvT1_mT2_T3_,comdat
	.protected	_ZN7rocprim17ROCPRIM_304000_NS6detail16transform_kernelINS1_24wrapped_transform_configINS0_14default_configEaEEaPaS6_NS0_8identityIaEEEEvT1_mT2_T3_ ; -- Begin function _ZN7rocprim17ROCPRIM_304000_NS6detail16transform_kernelINS1_24wrapped_transform_configINS0_14default_configEaEEaPaS6_NS0_8identityIaEEEEvT1_mT2_T3_
	.globl	_ZN7rocprim17ROCPRIM_304000_NS6detail16transform_kernelINS1_24wrapped_transform_configINS0_14default_configEaEEaPaS6_NS0_8identityIaEEEEvT1_mT2_T3_
	.p2align	8
	.type	_ZN7rocprim17ROCPRIM_304000_NS6detail16transform_kernelINS1_24wrapped_transform_configINS0_14default_configEaEEaPaS6_NS0_8identityIaEEEEvT1_mT2_T3_,@function
_ZN7rocprim17ROCPRIM_304000_NS6detail16transform_kernelINS1_24wrapped_transform_configINS0_14default_configEaEEaPaS6_NS0_8identityIaEEEEvT1_mT2_T3_: ; @_ZN7rocprim17ROCPRIM_304000_NS6detail16transform_kernelINS1_24wrapped_transform_configINS0_14default_configEaEEaPaS6_NS0_8identityIaEEEEvT1_mT2_T3_
; %bb.0:
	s_load_dword s7, s[4:5], 0x20
	s_load_dwordx4 s[0:3], s[4:5], 0x0
	s_load_dwordx2 s[34:35], s[4:5], 0x10
	s_lshl_b32 s33, s6, 10
	s_waitcnt lgkmcnt(0)
	s_add_i32 s7, s7, -1
	s_add_u32 s0, s0, s33
	s_addc_u32 s1, s1, 0
	v_mov_b32_e32 v2, s1
	v_add_co_u32_e32 v1, vcc, s0, v0
	s_cmp_lg_u32 s6, s7
	v_addc_co_u32_e32 v2, vcc, 0, v2, vcc
	s_cbranch_scc0 .LBB31_2
; %bb.1:
	global_load_ubyte v6, v[1:2], off
	global_load_ubyte v7, v[1:2], off offset:64
	global_load_ubyte v8, v[1:2], off offset:128
	;; [unrolled: 1-line block ×15, first 2 shown]
	s_add_u32 s3, s34, s33
	s_addc_u32 s4, s35, 0
	v_mov_b32_e32 v5, s4
	v_add_co_u32_e32 v4, vcc, s3, v0
	v_addc_co_u32_e32 v5, vcc, 0, v5, vcc
	s_mov_b64 s[36:37], -1
	s_waitcnt vmcnt(15)
	global_store_byte v[4:5], v6, off
	s_waitcnt vmcnt(15)
	global_store_byte v[4:5], v7, off offset:64
	s_waitcnt vmcnt(15)
	global_store_byte v[4:5], v8, off offset:128
	;; [unrolled: 2-line block ×14, first 2 shown]
	s_cbranch_execz .LBB31_3
	s_branch .LBB31_66
.LBB31_2:
	s_mov_b64 s[36:37], 0
                                        ; implicit-def: $vgpr3
.LBB31_3:
	s_sub_i32 s30, s2, s33
	v_cmp_gt_u32_e32 vcc, s30, v0
	v_mov_b32_e32 v20, 0
	v_mov_b32_e32 v21, 0
	v_mov_b32_e32 v22, 0
	v_mov_b32_e32 v16, 0
	v_mov_b32_e32 v17, 0
	v_mov_b32_e32 v18, 0
	v_mov_b32_e32 v19, 0
	v_mov_b32_e32 v12, 0
	v_mov_b32_e32 v13, 0
	v_mov_b32_e32 v14, 0
	v_mov_b32_e32 v15, 0
	v_mov_b32_e32 v8, 0
	v_mov_b32_e32 v9, 0
	v_mov_b32_e32 v10, 0
	v_mov_b32_e32 v11, 0
	s_and_saveexec_b64 s[0:1], vcc
	s_cbranch_execz .LBB31_5
; %bb.4:
	global_load_ubyte v21, v[1:2], off
	v_mov_b32_e32 v22, 0
	v_mov_b32_e32 v16, 0
	;; [unrolled: 1-line block ×13, first 2 shown]
.LBB31_5:
	s_or_b64 exec, exec, s[0:1]
	s_waitcnt vmcnt(15)
	v_or_b32_e32 v3, 64, v0
	v_cmp_gt_u32_e64 s[0:1], s30, v3
	v_mov_b32_e32 v23, v20
	s_and_saveexec_b64 s[2:3], s[0:1]
	s_cbranch_execz .LBB31_7
; %bb.6:
	global_load_ubyte v23, v[1:2], off offset:64
.LBB31_7:
	s_or_b64 exec, exec, s[2:3]
	v_or_b32_e32 v3, 0x80, v0
	v_cmp_gt_u32_e64 s[2:3], s30, v3
	s_and_saveexec_b64 s[4:5], s[2:3]
	s_cbranch_execz .LBB31_9
; %bb.8:
	global_load_ubyte v20, v[1:2], off offset:128
.LBB31_9:
	s_or_b64 exec, exec, s[4:5]
	v_or_b32_e32 v3, 0xc0, v0
	v_cmp_gt_u32_e64 s[4:5], s30, v3
	s_and_saveexec_b64 s[6:7], s[4:5]
	s_cbranch_execz .LBB31_11
; %bb.10:
	global_load_ubyte v22, v[1:2], off offset:192
.LBB31_11:
	s_or_b64 exec, exec, s[6:7]
	v_or_b32_e32 v3, 0x100, v0
	v_cmp_gt_u32_e64 s[6:7], s30, v3
	s_and_saveexec_b64 s[8:9], s[6:7]
	s_cbranch_execz .LBB31_13
; %bb.12:
	global_load_ubyte v16, v[1:2], off offset:256
.LBB31_13:
	s_or_b64 exec, exec, s[8:9]
	v_or_b32_e32 v3, 0x140, v0
	v_cmp_gt_u32_e64 s[8:9], s30, v3
	s_and_saveexec_b64 s[10:11], s[8:9]
	s_cbranch_execz .LBB31_15
; %bb.14:
	global_load_ubyte v17, v[1:2], off offset:320
.LBB31_15:
	s_or_b64 exec, exec, s[10:11]
	v_or_b32_e32 v3, 0x180, v0
	v_cmp_gt_u32_e64 s[10:11], s30, v3
	s_and_saveexec_b64 s[12:13], s[10:11]
	s_cbranch_execz .LBB31_17
; %bb.16:
	global_load_ubyte v18, v[1:2], off offset:384
.LBB31_17:
	s_or_b64 exec, exec, s[12:13]
	v_or_b32_e32 v3, 0x1c0, v0
	v_cmp_gt_u32_e64 s[12:13], s30, v3
	s_and_saveexec_b64 s[14:15], s[12:13]
	s_cbranch_execz .LBB31_19
; %bb.18:
	global_load_ubyte v19, v[1:2], off offset:448
.LBB31_19:
	s_or_b64 exec, exec, s[14:15]
	v_or_b32_e32 v3, 0x200, v0
	v_cmp_gt_u32_e64 s[14:15], s30, v3
	s_and_saveexec_b64 s[16:17], s[14:15]
	s_cbranch_execz .LBB31_21
; %bb.20:
	global_load_ubyte v12, v[1:2], off offset:512
.LBB31_21:
	s_or_b64 exec, exec, s[16:17]
	v_or_b32_e32 v3, 0x240, v0
	v_cmp_gt_u32_e64 s[16:17], s30, v3
	s_and_saveexec_b64 s[18:19], s[16:17]
	s_cbranch_execz .LBB31_23
; %bb.22:
	global_load_ubyte v13, v[1:2], off offset:576
.LBB31_23:
	s_or_b64 exec, exec, s[18:19]
	v_or_b32_e32 v3, 0x280, v0
	v_cmp_gt_u32_e64 s[18:19], s30, v3
	s_and_saveexec_b64 s[20:21], s[18:19]
	s_cbranch_execz .LBB31_25
; %bb.24:
	global_load_ubyte v14, v[1:2], off offset:640
.LBB31_25:
	s_or_b64 exec, exec, s[20:21]
	v_or_b32_e32 v3, 0x2c0, v0
	v_cmp_gt_u32_e64 s[20:21], s30, v3
	s_and_saveexec_b64 s[22:23], s[20:21]
	s_cbranch_execz .LBB31_27
; %bb.26:
	global_load_ubyte v15, v[1:2], off offset:704
.LBB31_27:
	s_or_b64 exec, exec, s[22:23]
	v_or_b32_e32 v3, 0x300, v0
	v_cmp_gt_u32_e64 s[22:23], s30, v3
	s_and_saveexec_b64 s[24:25], s[22:23]
	s_cbranch_execz .LBB31_29
; %bb.28:
	global_load_ubyte v8, v[1:2], off offset:768
.LBB31_29:
	s_or_b64 exec, exec, s[24:25]
	v_or_b32_e32 v3, 0x340, v0
	v_cmp_gt_u32_e64 s[24:25], s30, v3
	s_and_saveexec_b64 s[26:27], s[24:25]
	s_cbranch_execz .LBB31_31
; %bb.30:
	global_load_ubyte v9, v[1:2], off offset:832
.LBB31_31:
	s_or_b64 exec, exec, s[26:27]
	v_or_b32_e32 v3, 0x380, v0
	v_cmp_gt_u32_e64 s[26:27], s30, v3
	s_and_saveexec_b64 s[28:29], s[26:27]
	s_cbranch_execz .LBB31_33
; %bb.32:
	global_load_ubyte v10, v[1:2], off offset:896
.LBB31_33:
	s_or_b64 exec, exec, s[28:29]
	v_or_b32_e32 v3, 0x3c0, v0
	v_cmp_gt_u32_e64 s[28:29], s30, v3
	s_and_saveexec_b64 s[30:31], s[28:29]
	s_cbranch_execz .LBB31_35
; %bb.34:
	global_load_ubyte v11, v[1:2], off offset:960
.LBB31_35:
	s_or_b64 exec, exec, s[30:31]
	s_mov_b32 s30, 0xffff
	s_waitcnt vmcnt(0)
	v_and_b32_sdwa v1, s30, v21 dst_sel:DWORD dst_unused:UNUSED_PAD src0_sel:DWORD src1_sel:BYTE_0
	s_add_u32 s30, s34, s33
	s_addc_u32 s31, s35, 0
	v_cndmask_b32_e32 v5, 0, v1, vcc
	v_mov_b32_e32 v2, s31
	v_add_co_u32_e64 v1, s[30:31], s30, v0
	v_mov_b32_e32 v6, 0
	v_addc_co_u32_e64 v2, s[30:31], 0, v2, s[30:31]
	s_and_saveexec_b64 s[30:31], vcc
	s_cbranch_execz .LBB31_37
; %bb.36:
	global_store_byte v[1:2], v5, off
.LBB31_37:
	s_or_b64 exec, exec, s[30:31]
	s_mov_b32 s30, 0xc0c0004
	v_perm_b32 v3, v21, v23, s30
	v_perm_b32 v4, v20, v22, s30
	v_lshl_or_b32 v24, v4, 16, v3
	v_cndmask_b32_e64 v3, v5, v24, s[0:1]
	s_and_saveexec_b64 s[30:31], s[0:1]
	s_cbranch_execz .LBB31_39
; %bb.38:
	v_lshrrev_b32_e32 v4, 8, v3
	global_store_byte v[1:2], v4, off offset:64
.LBB31_39:
	s_or_b64 exec, exec, s[30:31]
	v_and_b32_e32 v4, 0xffffff00, v3
	v_or_b32_e32 v26, v5, v4
	v_mov_b32_e32 v4, 8
	s_mov_b64 vcc, s[2:3]
	v_lshrrev_b32_sdwa v25, v4, v3 dst_sel:BYTE_1 dst_unused:UNUSED_PAD src0_sel:DWORD src1_sel:DWORD
	v_lshrrev_b64 v[3:4], 24, 0
	v_lshrrev_b64 v[6:7], 24, v[5:6]
	v_cndmask_b32_sdwa v4, v26, v24, vcc dst_sel:DWORD dst_unused:UNUSED_PAD src0_sel:WORD_0 src1_sel:DWORD
	s_and_saveexec_b64 s[0:1], s[2:3]
	s_cbranch_execz .LBB31_41
; %bb.40:
	global_store_byte_d16_hi v[1:2], v4, off offset:128
.LBB31_41:
	s_or_b64 exec, exec, s[0:1]
	s_mov_b32 s0, 0xc0c0006
	v_or_b32_e32 v5, v5, v25
	v_perm_b32 v4, v4, v6, s0
	v_and_b32_e32 v5, 0xffff, v5
	s_mov_b32 s0, 0xc0c0004
	v_lshl_or_b32 v4, v4, 16, v5
	v_perm_b32 v5, v21, v23, s0
	v_perm_b32 v6, v20, v22, s0
	v_lshl_or_b32 v5, v6, 16, v5
	v_cndmask_b32_e64 v5, v4, v5, s[4:5]
	v_perm_b32 v4, v16, v17, s0
	v_perm_b32 v6, v18, v19, s0
	v_lshl_or_b32 v4, v6, 16, v4
	s_and_saveexec_b64 s[0:1], s[4:5]
	s_cbranch_execz .LBB31_43
; %bb.42:
	v_lshrrev_b32_e32 v5, 24, v5
	global_store_byte v[1:2], v5, off offset:192
.LBB31_43:
	s_or_b64 exec, exec, s[0:1]
	v_cndmask_b32_e64 v4, 0, v4, s[6:7]
	s_and_saveexec_b64 s[0:1], s[6:7]
	s_cbranch_execz .LBB31_45
; %bb.44:
	global_store_byte v[1:2], v4, off offset:256
.LBB31_45:
	s_or_b64 exec, exec, s[0:1]
	s_mov_b32 s0, 0xc0c0004
	v_perm_b32 v5, v16, v17, s0
	v_perm_b32 v7, v18, v19, s0
	v_and_b32_e32 v6, 0xff, v4
	v_lshl_or_b32 v7, v7, 16, v5
	v_cndmask_b32_e64 v20, v6, v7, s[8:9]
	v_lshrrev_b32_e32 v5, 8, v20
	s_and_saveexec_b64 s[0:1], s[8:9]
	s_cbranch_execz .LBB31_47
; %bb.46:
	global_store_byte v[1:2], v5, off offset:320
.LBB31_47:
	s_or_b64 exec, exec, s[0:1]
	v_and_b32_e32 v20, 0xffffff00, v20
	v_or_b32_e32 v6, v6, v20
	s_mov_b64 vcc, s[10:11]
	v_cndmask_b32_sdwa v6, v6, v7, vcc dst_sel:DWORD dst_unused:UNUSED_PAD src0_sel:WORD_0 src1_sel:DWORD
	s_and_saveexec_b64 s[0:1], s[10:11]
	s_cbranch_execz .LBB31_49
; %bb.48:
	global_store_byte_d16_hi v[1:2], v6, off offset:384
.LBB31_49:
	s_or_b64 exec, exec, s[0:1]
	s_mov_b32 s0, 0xc0c0004
	v_perm_b32 v4, v4, v5, s0
	s_mov_b32 s1, 0xff0000
	v_and_or_b32 v4, v6, s1, v4
	v_perm_b32 v5, v16, v17, s0
	v_perm_b32 v6, v18, v19, s0
	v_lshl_or_b32 v5, v6, 16, v5
	v_cndmask_b32_e64 v5, v4, v5, s[12:13]
	v_perm_b32 v4, v12, v13, s0
	v_perm_b32 v6, v14, v15, s0
	v_lshl_or_b32 v4, v6, 16, v4
	s_and_saveexec_b64 s[0:1], s[12:13]
	s_cbranch_execz .LBB31_51
; %bb.50:
	v_lshrrev_b32_e32 v5, 24, v5
	global_store_byte v[1:2], v5, off offset:448
.LBB31_51:
	s_or_b64 exec, exec, s[0:1]
	v_lshl_or_b32 v5, v3, 24, 0
	v_cndmask_b32_e64 v4, v5, v4, s[14:15]
	s_and_saveexec_b64 s[0:1], s[14:15]
	s_cbranch_execz .LBB31_53
; %bb.52:
	global_store_byte v[1:2], v4, off offset:512
.LBB31_53:
	s_or_b64 exec, exec, s[0:1]
	s_mov_b32 s0, 0xc0c0004
	s_mov_b32 s1, 0x40c0c00
	v_perm_b32 v6, v12, v13, s0
	v_perm_b32 v7, v14, v15, s0
	;; [unrolled: 1-line block ×3, first 2 shown]
	v_lshl_or_b32 v6, v7, 16, v6
	v_cndmask_b32_e64 v7, v5, v6, s[16:17]
	v_lshrrev_b32_e32 v5, 8, v7
	s_and_saveexec_b64 s[0:1], s[16:17]
	s_cbranch_execz .LBB31_55
; %bb.54:
	global_store_byte v[1:2], v5, off offset:576
.LBB31_55:
	s_or_b64 exec, exec, s[0:1]
	s_mov_b32 s0, 0xc0c0104
	v_perm_b32 v7, v4, v7, s0
	v_lshl_or_b32 v7, v3, 24, v7
	v_cndmask_b32_e64 v6, v7, v6, s[18:19]
	s_and_saveexec_b64 s[0:1], s[18:19]
	s_cbranch_execz .LBB31_57
; %bb.56:
	global_store_byte_d16_hi v[1:2], v6, off offset:640
.LBB31_57:
	s_or_b64 exec, exec, s[0:1]
	s_mov_b32 s0, 0xc0c0004
	s_mov_b32 s1, 0xc0c0006
	v_perm_b32 v4, v4, v5, s0
	v_perm_b32 v3, v6, v3, s1
	v_lshl_or_b32 v3, v3, 16, v4
	v_perm_b32 v4, v12, v13, s0
	v_perm_b32 v5, v14, v15, s0
	v_lshl_or_b32 v4, v5, 16, v4
	v_cndmask_b32_e64 v4, v3, v4, s[20:21]
	v_perm_b32 v3, v8, v9, s0
	v_perm_b32 v5, v10, v11, s0
	v_lshl_or_b32 v3, v5, 16, v3
	s_and_saveexec_b64 s[0:1], s[20:21]
	s_cbranch_execz .LBB31_59
; %bb.58:
	v_lshrrev_b32_e32 v4, 24, v4
	global_store_byte v[1:2], v4, off offset:704
.LBB31_59:
	s_or_b64 exec, exec, s[0:1]
	v_cndmask_b32_e64 v4, 0, v3, s[22:23]
	s_and_saveexec_b64 s[0:1], s[22:23]
	s_cbranch_execz .LBB31_61
; %bb.60:
	global_store_byte v[1:2], v4, off offset:768
.LBB31_61:
	s_or_b64 exec, exec, s[0:1]
	s_mov_b32 s0, 0xc0c0004
	v_perm_b32 v3, v8, v9, s0
	v_perm_b32 v5, v10, v11, s0
	v_lshl_or_b32 v3, v5, 16, v3
	s_mov_b64 vcc, s[24:25]
	v_cndmask_b32_sdwa v3, v4, v3, vcc dst_sel:DWORD dst_unused:UNUSED_PAD src0_sel:BYTE_0 src1_sel:DWORD
	v_lshrrev_b32_e32 v5, 8, v3
	s_and_saveexec_b64 s[0:1], s[24:25]
	s_cbranch_execnz .LBB31_69
; %bb.62:
	s_or_b64 exec, exec, s[0:1]
	s_and_saveexec_b64 s[0:1], s[26:27]
	s_cbranch_execnz .LBB31_70
.LBB31_63:
	s_or_b64 exec, exec, s[0:1]
                                        ; implicit-def: $vgpr3
	s_and_saveexec_b64 s[0:1], s[28:29]
.LBB31_64:
	s_mov_b32 s2, 0xc0c0004
	v_perm_b32 v1, v8, v9, s2
	v_perm_b32 v2, v10, v11, s2
	v_lshl_or_b32 v1, v2, 16, v1
	v_perm_b32 v2, v4, v5, s2
	v_cndmask_b32_e64 v1, v2, v1, s[28:29]
	v_lshrrev_b32_e32 v3, 24, v1
	s_or_b64 s[36:37], s[36:37], exec
.LBB31_65:
	s_or_b64 exec, exec, s[0:1]
.LBB31_66:
	s_and_saveexec_b64 s[0:1], s[36:37]
	s_cbranch_execnz .LBB31_68
; %bb.67:
	s_endpgm
.LBB31_68:
	s_add_u32 s0, s34, s33
	s_addc_u32 s1, s35, 0
	v_mov_b32_e32 v1, s1
	v_add_co_u32_e32 v0, vcc, s0, v0
	v_addc_co_u32_e32 v1, vcc, 0, v1, vcc
	s_waitcnt vmcnt(15)
	global_store_byte v[0:1], v3, off offset:960
	s_endpgm
.LBB31_69:
	global_store_byte v[1:2], v5, off offset:832
	s_or_b64 exec, exec, s[0:1]
	s_and_saveexec_b64 s[0:1], s[26:27]
	s_cbranch_execz .LBB31_63
.LBB31_70:
	s_mov_b32 s2, 0xc0c0004
	v_perm_b32 v3, v8, v9, s2
	v_perm_b32 v6, v10, v11, s2
	v_lshl_or_b32 v3, v6, 16, v3
	v_perm_b32 v6, v4, v5, s2
	v_cndmask_b32_e64 v3, v6, v3, s[26:27]
	global_store_byte_d16_hi v[1:2], v3, off offset:896
	s_or_b64 exec, exec, s[0:1]
                                        ; implicit-def: $vgpr3
	s_and_saveexec_b64 s[0:1], s[28:29]
	s_cbranch_execnz .LBB31_64
	s_branch .LBB31_65
	.section	.rodata,"a",@progbits
	.p2align	6, 0x0
	.amdhsa_kernel _ZN7rocprim17ROCPRIM_304000_NS6detail16transform_kernelINS1_24wrapped_transform_configINS0_14default_configEaEEaPaS6_NS0_8identityIaEEEEvT1_mT2_T3_
		.amdhsa_group_segment_fixed_size 0
		.amdhsa_private_segment_fixed_size 0
		.amdhsa_kernarg_size 288
		.amdhsa_user_sgpr_count 6
		.amdhsa_user_sgpr_private_segment_buffer 1
		.amdhsa_user_sgpr_dispatch_ptr 0
		.amdhsa_user_sgpr_queue_ptr 0
		.amdhsa_user_sgpr_kernarg_segment_ptr 1
		.amdhsa_user_sgpr_dispatch_id 0
		.amdhsa_user_sgpr_flat_scratch_init 0
		.amdhsa_user_sgpr_private_segment_size 0
		.amdhsa_uses_dynamic_stack 0
		.amdhsa_system_sgpr_private_segment_wavefront_offset 0
		.amdhsa_system_sgpr_workgroup_id_x 1
		.amdhsa_system_sgpr_workgroup_id_y 0
		.amdhsa_system_sgpr_workgroup_id_z 0
		.amdhsa_system_sgpr_workgroup_info 0
		.amdhsa_system_vgpr_workitem_id 0
		.amdhsa_next_free_vgpr 27
		.amdhsa_next_free_sgpr 38
		.amdhsa_reserve_vcc 1
		.amdhsa_reserve_flat_scratch 0
		.amdhsa_float_round_mode_32 0
		.amdhsa_float_round_mode_16_64 0
		.amdhsa_float_denorm_mode_32 3
		.amdhsa_float_denorm_mode_16_64 3
		.amdhsa_dx10_clamp 1
		.amdhsa_ieee_mode 1
		.amdhsa_fp16_overflow 0
		.amdhsa_exception_fp_ieee_invalid_op 0
		.amdhsa_exception_fp_denorm_src 0
		.amdhsa_exception_fp_ieee_div_zero 0
		.amdhsa_exception_fp_ieee_overflow 0
		.amdhsa_exception_fp_ieee_underflow 0
		.amdhsa_exception_fp_ieee_inexact 0
		.amdhsa_exception_int_div_zero 0
	.end_amdhsa_kernel
	.section	.text._ZN7rocprim17ROCPRIM_304000_NS6detail16transform_kernelINS1_24wrapped_transform_configINS0_14default_configEaEEaPaS6_NS0_8identityIaEEEEvT1_mT2_T3_,"axG",@progbits,_ZN7rocprim17ROCPRIM_304000_NS6detail16transform_kernelINS1_24wrapped_transform_configINS0_14default_configEaEEaPaS6_NS0_8identityIaEEEEvT1_mT2_T3_,comdat
.Lfunc_end31:
	.size	_ZN7rocprim17ROCPRIM_304000_NS6detail16transform_kernelINS1_24wrapped_transform_configINS0_14default_configEaEEaPaS6_NS0_8identityIaEEEEvT1_mT2_T3_, .Lfunc_end31-_ZN7rocprim17ROCPRIM_304000_NS6detail16transform_kernelINS1_24wrapped_transform_configINS0_14default_configEaEEaPaS6_NS0_8identityIaEEEEvT1_mT2_T3_
                                        ; -- End function
	.set _ZN7rocprim17ROCPRIM_304000_NS6detail16transform_kernelINS1_24wrapped_transform_configINS0_14default_configEaEEaPaS6_NS0_8identityIaEEEEvT1_mT2_T3_.num_vgpr, 27
	.set _ZN7rocprim17ROCPRIM_304000_NS6detail16transform_kernelINS1_24wrapped_transform_configINS0_14default_configEaEEaPaS6_NS0_8identityIaEEEEvT1_mT2_T3_.num_agpr, 0
	.set _ZN7rocprim17ROCPRIM_304000_NS6detail16transform_kernelINS1_24wrapped_transform_configINS0_14default_configEaEEaPaS6_NS0_8identityIaEEEEvT1_mT2_T3_.numbered_sgpr, 38
	.set _ZN7rocprim17ROCPRIM_304000_NS6detail16transform_kernelINS1_24wrapped_transform_configINS0_14default_configEaEEaPaS6_NS0_8identityIaEEEEvT1_mT2_T3_.num_named_barrier, 0
	.set _ZN7rocprim17ROCPRIM_304000_NS6detail16transform_kernelINS1_24wrapped_transform_configINS0_14default_configEaEEaPaS6_NS0_8identityIaEEEEvT1_mT2_T3_.private_seg_size, 0
	.set _ZN7rocprim17ROCPRIM_304000_NS6detail16transform_kernelINS1_24wrapped_transform_configINS0_14default_configEaEEaPaS6_NS0_8identityIaEEEEvT1_mT2_T3_.uses_vcc, 1
	.set _ZN7rocprim17ROCPRIM_304000_NS6detail16transform_kernelINS1_24wrapped_transform_configINS0_14default_configEaEEaPaS6_NS0_8identityIaEEEEvT1_mT2_T3_.uses_flat_scratch, 0
	.set _ZN7rocprim17ROCPRIM_304000_NS6detail16transform_kernelINS1_24wrapped_transform_configINS0_14default_configEaEEaPaS6_NS0_8identityIaEEEEvT1_mT2_T3_.has_dyn_sized_stack, 0
	.set _ZN7rocprim17ROCPRIM_304000_NS6detail16transform_kernelINS1_24wrapped_transform_configINS0_14default_configEaEEaPaS6_NS0_8identityIaEEEEvT1_mT2_T3_.has_recursion, 0
	.set _ZN7rocprim17ROCPRIM_304000_NS6detail16transform_kernelINS1_24wrapped_transform_configINS0_14default_configEaEEaPaS6_NS0_8identityIaEEEEvT1_mT2_T3_.has_indirect_call, 0
	.section	.AMDGPU.csdata,"",@progbits
; Kernel info:
; codeLenInByte = 2276
; TotalNumSgprs: 42
; NumVgprs: 27
; ScratchSize: 0
; MemoryBound: 0
; FloatMode: 240
; IeeeMode: 1
; LDSByteSize: 0 bytes/workgroup (compile time only)
; SGPRBlocks: 5
; VGPRBlocks: 6
; NumSGPRsForWavesPerEU: 42
; NumVGPRsForWavesPerEU: 27
; Occupancy: 9
; WaveLimiterHint : 0
; COMPUTE_PGM_RSRC2:SCRATCH_EN: 0
; COMPUTE_PGM_RSRC2:USER_SGPR: 6
; COMPUTE_PGM_RSRC2:TRAP_HANDLER: 0
; COMPUTE_PGM_RSRC2:TGID_X_EN: 1
; COMPUTE_PGM_RSRC2:TGID_Y_EN: 0
; COMPUTE_PGM_RSRC2:TGID_Z_EN: 0
; COMPUTE_PGM_RSRC2:TIDIG_COMP_CNT: 0
	.section	.text._ZN7rocprim17ROCPRIM_304000_NS6detail45device_block_merge_mergepath_partition_kernelINS1_37wrapped_merge_sort_block_merge_configINS0_14default_configEaN2at4cuda3cub6detail10OpaqueTypeILi8EEEEEPajNS1_19radix_merge_compareILb1ELb1EaNS0_19identity_decomposerEEEEEvT0_T1_jPSH_T2_SH_,"axG",@progbits,_ZN7rocprim17ROCPRIM_304000_NS6detail45device_block_merge_mergepath_partition_kernelINS1_37wrapped_merge_sort_block_merge_configINS0_14default_configEaN2at4cuda3cub6detail10OpaqueTypeILi8EEEEEPajNS1_19radix_merge_compareILb1ELb1EaNS0_19identity_decomposerEEEEEvT0_T1_jPSH_T2_SH_,comdat
	.protected	_ZN7rocprim17ROCPRIM_304000_NS6detail45device_block_merge_mergepath_partition_kernelINS1_37wrapped_merge_sort_block_merge_configINS0_14default_configEaN2at4cuda3cub6detail10OpaqueTypeILi8EEEEEPajNS1_19radix_merge_compareILb1ELb1EaNS0_19identity_decomposerEEEEEvT0_T1_jPSH_T2_SH_ ; -- Begin function _ZN7rocprim17ROCPRIM_304000_NS6detail45device_block_merge_mergepath_partition_kernelINS1_37wrapped_merge_sort_block_merge_configINS0_14default_configEaN2at4cuda3cub6detail10OpaqueTypeILi8EEEEEPajNS1_19radix_merge_compareILb1ELb1EaNS0_19identity_decomposerEEEEEvT0_T1_jPSH_T2_SH_
	.globl	_ZN7rocprim17ROCPRIM_304000_NS6detail45device_block_merge_mergepath_partition_kernelINS1_37wrapped_merge_sort_block_merge_configINS0_14default_configEaN2at4cuda3cub6detail10OpaqueTypeILi8EEEEEPajNS1_19radix_merge_compareILb1ELb1EaNS0_19identity_decomposerEEEEEvT0_T1_jPSH_T2_SH_
	.p2align	8
	.type	_ZN7rocprim17ROCPRIM_304000_NS6detail45device_block_merge_mergepath_partition_kernelINS1_37wrapped_merge_sort_block_merge_configINS0_14default_configEaN2at4cuda3cub6detail10OpaqueTypeILi8EEEEEPajNS1_19radix_merge_compareILb1ELb1EaNS0_19identity_decomposerEEEEEvT0_T1_jPSH_T2_SH_,@function
_ZN7rocprim17ROCPRIM_304000_NS6detail45device_block_merge_mergepath_partition_kernelINS1_37wrapped_merge_sort_block_merge_configINS0_14default_configEaN2at4cuda3cub6detail10OpaqueTypeILi8EEEEEPajNS1_19radix_merge_compareILb1ELb1EaNS0_19identity_decomposerEEEEEvT0_T1_jPSH_T2_SH_: ; @_ZN7rocprim17ROCPRIM_304000_NS6detail45device_block_merge_mergepath_partition_kernelINS1_37wrapped_merge_sort_block_merge_configINS0_14default_configEaN2at4cuda3cub6detail10OpaqueTypeILi8EEEEEPajNS1_19radix_merge_compareILb1ELb1EaNS0_19identity_decomposerEEEEEvT0_T1_jPSH_T2_SH_
; %bb.0:
	s_load_dwordx2 s[2:3], s[4:5], 0x8
	v_lshl_or_b32 v0, s6, 7, v0
	s_waitcnt lgkmcnt(0)
	v_cmp_gt_u32_e32 vcc, s3, v0
	s_and_saveexec_b64 s[0:1], vcc
	s_cbranch_execz .LBB32_6
; %bb.1:
	s_load_dwordx2 s[0:1], s[4:5], 0x18
	s_waitcnt lgkmcnt(0)
	s_lshr_b32 s3, s1, 9
	s_and_b32 s3, s3, 0x7ffffe
	s_add_i32 s6, s3, -1
	s_sub_i32 s3, 0, s3
	v_and_b32_e32 v1, s3, v0
	v_lshlrev_b32_e32 v3, 10, v1
	v_min_u32_e32 v1, s2, v3
	v_add_u32_e32 v3, s1, v3
	v_min_u32_e32 v7, s2, v3
	v_add_u32_e32 v3, s1, v7
	v_and_b32_e32 v2, s6, v0
	v_min_u32_e32 v4, s2, v3
	v_lshlrev_b32_e32 v2, 10, v2
	v_sub_u32_e32 v3, v4, v1
	v_min_u32_e32 v3, v3, v2
	v_sub_u32_e32 v5, v7, v1
	v_sub_u32_e32 v2, v4, v7
	v_sub_u32_e64 v2, v3, v2 clamp
	v_min_u32_e32 v4, v3, v5
	v_cmp_lt_u32_e32 vcc, v2, v4
	s_and_saveexec_b64 s[2:3], vcc
	s_cbranch_execz .LBB32_5
; %bb.2:
	s_load_dwordx2 s[6:7], s[4:5], 0x0
	s_waitcnt lgkmcnt(0)
	v_mov_b32_e32 v8, s7
	v_add_co_u32_e32 v5, vcc, s6, v1
	v_addc_co_u32_e32 v6, vcc, 0, v8, vcc
	v_add_co_u32_e32 v7, vcc, s6, v7
	v_addc_co_u32_e32 v8, vcc, 0, v8, vcc
	s_mov_b64 s[6:7], 0
.LBB32_3:                               ; =>This Inner Loop Header: Depth=1
	v_add_u32_e32 v9, v4, v2
	v_lshrrev_b32_e32 v13, 1, v9
	v_add_co_u32_e32 v9, vcc, v5, v13
	v_xad_u32 v11, v13, -1, v3
	v_addc_co_u32_e32 v10, vcc, 0, v6, vcc
	v_add_co_u32_e32 v11, vcc, v7, v11
	v_addc_co_u32_e32 v12, vcc, 0, v8, vcc
	global_load_ubyte v14, v[9:10], off
	global_load_ubyte v15, v[11:12], off
	v_add_u32_e32 v9, 1, v13
	s_waitcnt vmcnt(1)
	v_and_b32_e32 v10, s0, v14
	s_waitcnt vmcnt(0)
	v_and_b32_e32 v11, s0, v15
	v_cmp_gt_i16_sdwa vcc, sext(v11), sext(v10) src0_sel:BYTE_0 src1_sel:BYTE_0
	v_cndmask_b32_e32 v4, v4, v13, vcc
	v_cndmask_b32_e32 v2, v9, v2, vcc
	v_cmp_ge_u32_e32 vcc, v2, v4
	s_or_b64 s[6:7], vcc, s[6:7]
	s_andn2_b64 exec, exec, s[6:7]
	s_cbranch_execnz .LBB32_3
; %bb.4:
	s_or_b64 exec, exec, s[6:7]
.LBB32_5:
	s_or_b64 exec, exec, s[2:3]
	s_load_dwordx2 s[0:1], s[4:5], 0x10
	v_add_u32_e32 v2, v2, v1
	v_mov_b32_e32 v1, 0
	v_lshlrev_b64 v[0:1], 2, v[0:1]
	s_waitcnt lgkmcnt(0)
	v_mov_b32_e32 v3, s1
	v_add_co_u32_e32 v0, vcc, s0, v0
	v_addc_co_u32_e32 v1, vcc, v3, v1, vcc
	global_store_dword v[0:1], v2, off
.LBB32_6:
	s_endpgm
	.section	.rodata,"a",@progbits
	.p2align	6, 0x0
	.amdhsa_kernel _ZN7rocprim17ROCPRIM_304000_NS6detail45device_block_merge_mergepath_partition_kernelINS1_37wrapped_merge_sort_block_merge_configINS0_14default_configEaN2at4cuda3cub6detail10OpaqueTypeILi8EEEEEPajNS1_19radix_merge_compareILb1ELb1EaNS0_19identity_decomposerEEEEEvT0_T1_jPSH_T2_SH_
		.amdhsa_group_segment_fixed_size 0
		.amdhsa_private_segment_fixed_size 0
		.amdhsa_kernarg_size 32
		.amdhsa_user_sgpr_count 6
		.amdhsa_user_sgpr_private_segment_buffer 1
		.amdhsa_user_sgpr_dispatch_ptr 0
		.amdhsa_user_sgpr_queue_ptr 0
		.amdhsa_user_sgpr_kernarg_segment_ptr 1
		.amdhsa_user_sgpr_dispatch_id 0
		.amdhsa_user_sgpr_flat_scratch_init 0
		.amdhsa_user_sgpr_private_segment_size 0
		.amdhsa_uses_dynamic_stack 0
		.amdhsa_system_sgpr_private_segment_wavefront_offset 0
		.amdhsa_system_sgpr_workgroup_id_x 1
		.amdhsa_system_sgpr_workgroup_id_y 0
		.amdhsa_system_sgpr_workgroup_id_z 0
		.amdhsa_system_sgpr_workgroup_info 0
		.amdhsa_system_vgpr_workitem_id 0
		.amdhsa_next_free_vgpr 16
		.amdhsa_next_free_sgpr 8
		.amdhsa_reserve_vcc 1
		.amdhsa_reserve_flat_scratch 0
		.amdhsa_float_round_mode_32 0
		.amdhsa_float_round_mode_16_64 0
		.amdhsa_float_denorm_mode_32 3
		.amdhsa_float_denorm_mode_16_64 3
		.amdhsa_dx10_clamp 1
		.amdhsa_ieee_mode 1
		.amdhsa_fp16_overflow 0
		.amdhsa_exception_fp_ieee_invalid_op 0
		.amdhsa_exception_fp_denorm_src 0
		.amdhsa_exception_fp_ieee_div_zero 0
		.amdhsa_exception_fp_ieee_overflow 0
		.amdhsa_exception_fp_ieee_underflow 0
		.amdhsa_exception_fp_ieee_inexact 0
		.amdhsa_exception_int_div_zero 0
	.end_amdhsa_kernel
	.section	.text._ZN7rocprim17ROCPRIM_304000_NS6detail45device_block_merge_mergepath_partition_kernelINS1_37wrapped_merge_sort_block_merge_configINS0_14default_configEaN2at4cuda3cub6detail10OpaqueTypeILi8EEEEEPajNS1_19radix_merge_compareILb1ELb1EaNS0_19identity_decomposerEEEEEvT0_T1_jPSH_T2_SH_,"axG",@progbits,_ZN7rocprim17ROCPRIM_304000_NS6detail45device_block_merge_mergepath_partition_kernelINS1_37wrapped_merge_sort_block_merge_configINS0_14default_configEaN2at4cuda3cub6detail10OpaqueTypeILi8EEEEEPajNS1_19radix_merge_compareILb1ELb1EaNS0_19identity_decomposerEEEEEvT0_T1_jPSH_T2_SH_,comdat
.Lfunc_end32:
	.size	_ZN7rocprim17ROCPRIM_304000_NS6detail45device_block_merge_mergepath_partition_kernelINS1_37wrapped_merge_sort_block_merge_configINS0_14default_configEaN2at4cuda3cub6detail10OpaqueTypeILi8EEEEEPajNS1_19radix_merge_compareILb1ELb1EaNS0_19identity_decomposerEEEEEvT0_T1_jPSH_T2_SH_, .Lfunc_end32-_ZN7rocprim17ROCPRIM_304000_NS6detail45device_block_merge_mergepath_partition_kernelINS1_37wrapped_merge_sort_block_merge_configINS0_14default_configEaN2at4cuda3cub6detail10OpaqueTypeILi8EEEEEPajNS1_19radix_merge_compareILb1ELb1EaNS0_19identity_decomposerEEEEEvT0_T1_jPSH_T2_SH_
                                        ; -- End function
	.set _ZN7rocprim17ROCPRIM_304000_NS6detail45device_block_merge_mergepath_partition_kernelINS1_37wrapped_merge_sort_block_merge_configINS0_14default_configEaN2at4cuda3cub6detail10OpaqueTypeILi8EEEEEPajNS1_19radix_merge_compareILb1ELb1EaNS0_19identity_decomposerEEEEEvT0_T1_jPSH_T2_SH_.num_vgpr, 16
	.set _ZN7rocprim17ROCPRIM_304000_NS6detail45device_block_merge_mergepath_partition_kernelINS1_37wrapped_merge_sort_block_merge_configINS0_14default_configEaN2at4cuda3cub6detail10OpaqueTypeILi8EEEEEPajNS1_19radix_merge_compareILb1ELb1EaNS0_19identity_decomposerEEEEEvT0_T1_jPSH_T2_SH_.num_agpr, 0
	.set _ZN7rocprim17ROCPRIM_304000_NS6detail45device_block_merge_mergepath_partition_kernelINS1_37wrapped_merge_sort_block_merge_configINS0_14default_configEaN2at4cuda3cub6detail10OpaqueTypeILi8EEEEEPajNS1_19radix_merge_compareILb1ELb1EaNS0_19identity_decomposerEEEEEvT0_T1_jPSH_T2_SH_.numbered_sgpr, 8
	.set _ZN7rocprim17ROCPRIM_304000_NS6detail45device_block_merge_mergepath_partition_kernelINS1_37wrapped_merge_sort_block_merge_configINS0_14default_configEaN2at4cuda3cub6detail10OpaqueTypeILi8EEEEEPajNS1_19radix_merge_compareILb1ELb1EaNS0_19identity_decomposerEEEEEvT0_T1_jPSH_T2_SH_.num_named_barrier, 0
	.set _ZN7rocprim17ROCPRIM_304000_NS6detail45device_block_merge_mergepath_partition_kernelINS1_37wrapped_merge_sort_block_merge_configINS0_14default_configEaN2at4cuda3cub6detail10OpaqueTypeILi8EEEEEPajNS1_19radix_merge_compareILb1ELb1EaNS0_19identity_decomposerEEEEEvT0_T1_jPSH_T2_SH_.private_seg_size, 0
	.set _ZN7rocprim17ROCPRIM_304000_NS6detail45device_block_merge_mergepath_partition_kernelINS1_37wrapped_merge_sort_block_merge_configINS0_14default_configEaN2at4cuda3cub6detail10OpaqueTypeILi8EEEEEPajNS1_19radix_merge_compareILb1ELb1EaNS0_19identity_decomposerEEEEEvT0_T1_jPSH_T2_SH_.uses_vcc, 1
	.set _ZN7rocprim17ROCPRIM_304000_NS6detail45device_block_merge_mergepath_partition_kernelINS1_37wrapped_merge_sort_block_merge_configINS0_14default_configEaN2at4cuda3cub6detail10OpaqueTypeILi8EEEEEPajNS1_19radix_merge_compareILb1ELb1EaNS0_19identity_decomposerEEEEEvT0_T1_jPSH_T2_SH_.uses_flat_scratch, 0
	.set _ZN7rocprim17ROCPRIM_304000_NS6detail45device_block_merge_mergepath_partition_kernelINS1_37wrapped_merge_sort_block_merge_configINS0_14default_configEaN2at4cuda3cub6detail10OpaqueTypeILi8EEEEEPajNS1_19radix_merge_compareILb1ELb1EaNS0_19identity_decomposerEEEEEvT0_T1_jPSH_T2_SH_.has_dyn_sized_stack, 0
	.set _ZN7rocprim17ROCPRIM_304000_NS6detail45device_block_merge_mergepath_partition_kernelINS1_37wrapped_merge_sort_block_merge_configINS0_14default_configEaN2at4cuda3cub6detail10OpaqueTypeILi8EEEEEPajNS1_19radix_merge_compareILb1ELb1EaNS0_19identity_decomposerEEEEEvT0_T1_jPSH_T2_SH_.has_recursion, 0
	.set _ZN7rocprim17ROCPRIM_304000_NS6detail45device_block_merge_mergepath_partition_kernelINS1_37wrapped_merge_sort_block_merge_configINS0_14default_configEaN2at4cuda3cub6detail10OpaqueTypeILi8EEEEEPajNS1_19radix_merge_compareILb1ELb1EaNS0_19identity_decomposerEEEEEvT0_T1_jPSH_T2_SH_.has_indirect_call, 0
	.section	.AMDGPU.csdata,"",@progbits
; Kernel info:
; codeLenInByte = 336
; TotalNumSgprs: 12
; NumVgprs: 16
; ScratchSize: 0
; MemoryBound: 0
; FloatMode: 240
; IeeeMode: 1
; LDSByteSize: 0 bytes/workgroup (compile time only)
; SGPRBlocks: 1
; VGPRBlocks: 3
; NumSGPRsForWavesPerEU: 12
; NumVGPRsForWavesPerEU: 16
; Occupancy: 10
; WaveLimiterHint : 0
; COMPUTE_PGM_RSRC2:SCRATCH_EN: 0
; COMPUTE_PGM_RSRC2:USER_SGPR: 6
; COMPUTE_PGM_RSRC2:TRAP_HANDLER: 0
; COMPUTE_PGM_RSRC2:TGID_X_EN: 1
; COMPUTE_PGM_RSRC2:TGID_Y_EN: 0
; COMPUTE_PGM_RSRC2:TGID_Z_EN: 0
; COMPUTE_PGM_RSRC2:TIDIG_COMP_CNT: 0
	.section	.text._ZN7rocprim17ROCPRIM_304000_NS6detail35device_block_merge_mergepath_kernelINS1_37wrapped_merge_sort_block_merge_configINS0_14default_configEaN2at4cuda3cub6detail10OpaqueTypeILi8EEEEEPaSC_PSA_SD_jNS1_19radix_merge_compareILb1ELb1EaNS0_19identity_decomposerEEEEEvT0_T1_T2_T3_T4_SL_jT5_PKSL_NS1_7vsmem_tE,"axG",@progbits,_ZN7rocprim17ROCPRIM_304000_NS6detail35device_block_merge_mergepath_kernelINS1_37wrapped_merge_sort_block_merge_configINS0_14default_configEaN2at4cuda3cub6detail10OpaqueTypeILi8EEEEEPaSC_PSA_SD_jNS1_19radix_merge_compareILb1ELb1EaNS0_19identity_decomposerEEEEEvT0_T1_T2_T3_T4_SL_jT5_PKSL_NS1_7vsmem_tE,comdat
	.protected	_ZN7rocprim17ROCPRIM_304000_NS6detail35device_block_merge_mergepath_kernelINS1_37wrapped_merge_sort_block_merge_configINS0_14default_configEaN2at4cuda3cub6detail10OpaqueTypeILi8EEEEEPaSC_PSA_SD_jNS1_19radix_merge_compareILb1ELb1EaNS0_19identity_decomposerEEEEEvT0_T1_T2_T3_T4_SL_jT5_PKSL_NS1_7vsmem_tE ; -- Begin function _ZN7rocprim17ROCPRIM_304000_NS6detail35device_block_merge_mergepath_kernelINS1_37wrapped_merge_sort_block_merge_configINS0_14default_configEaN2at4cuda3cub6detail10OpaqueTypeILi8EEEEEPaSC_PSA_SD_jNS1_19radix_merge_compareILb1ELb1EaNS0_19identity_decomposerEEEEEvT0_T1_T2_T3_T4_SL_jT5_PKSL_NS1_7vsmem_tE
	.globl	_ZN7rocprim17ROCPRIM_304000_NS6detail35device_block_merge_mergepath_kernelINS1_37wrapped_merge_sort_block_merge_configINS0_14default_configEaN2at4cuda3cub6detail10OpaqueTypeILi8EEEEEPaSC_PSA_SD_jNS1_19radix_merge_compareILb1ELb1EaNS0_19identity_decomposerEEEEEvT0_T1_T2_T3_T4_SL_jT5_PKSL_NS1_7vsmem_tE
	.p2align	8
	.type	_ZN7rocprim17ROCPRIM_304000_NS6detail35device_block_merge_mergepath_kernelINS1_37wrapped_merge_sort_block_merge_configINS0_14default_configEaN2at4cuda3cub6detail10OpaqueTypeILi8EEEEEPaSC_PSA_SD_jNS1_19radix_merge_compareILb1ELb1EaNS0_19identity_decomposerEEEEEvT0_T1_T2_T3_T4_SL_jT5_PKSL_NS1_7vsmem_tE,@function
_ZN7rocprim17ROCPRIM_304000_NS6detail35device_block_merge_mergepath_kernelINS1_37wrapped_merge_sort_block_merge_configINS0_14default_configEaN2at4cuda3cub6detail10OpaqueTypeILi8EEEEEPaSC_PSA_SD_jNS1_19radix_merge_compareILb1ELb1EaNS0_19identity_decomposerEEEEEvT0_T1_T2_T3_T4_SL_jT5_PKSL_NS1_7vsmem_tE: ; @_ZN7rocprim17ROCPRIM_304000_NS6detail35device_block_merge_mergepath_kernelINS1_37wrapped_merge_sort_block_merge_configINS0_14default_configEaN2at4cuda3cub6detail10OpaqueTypeILi8EEEEEPaSC_PSA_SD_jNS1_19radix_merge_compareILb1ELb1EaNS0_19identity_decomposerEEEEEvT0_T1_T2_T3_T4_SL_jT5_PKSL_NS1_7vsmem_tE
; %bb.0:
	s_load_dwordx2 s[10:11], s[4:5], 0x40
	s_load_dwordx4 s[20:23], s[4:5], 0x20
	s_add_u32 s2, s4, 64
	s_addc_u32 s3, s5, 0
	s_waitcnt lgkmcnt(0)
	s_mul_i32 s0, s11, s8
	s_add_i32 s0, s0, s7
	s_mul_i32 s0, s0, s10
	s_add_i32 s0, s0, s6
	s_cmp_ge_u32 s0, s22
	s_cbranch_scc1 .LBB33_109
; %bb.1:
	s_load_dwordx8 s[12:19], s[4:5], 0x0
	s_load_dwordx2 s[8:9], s[4:5], 0x30
	s_lshr_b32 s11, s20, 10
	s_cmp_lg_u32 s0, s11
	s_mov_b32 s1, 0
	s_cselect_b64 s[24:25], -1, 0
	s_lshl_b64 s[4:5], s[0:1], 2
	s_waitcnt lgkmcnt(0)
	s_add_u32 s4, s8, s4
	s_addc_u32 s5, s9, s5
	s_load_dwordx2 s[26:27], s[4:5], 0x0
	s_lshr_b32 s4, s21, 9
	s_and_b32 s4, s4, 0x7ffffe
	s_sub_i32 s4, 0, s4
	s_and_b32 s5, s0, s4
	s_lshl_b32 s7, s5, 10
	s_lshl_b32 s22, s0, 10
	;; [unrolled: 1-line block ×3, first 2 shown]
	s_sub_i32 s8, s22, s7
	s_add_i32 s5, s5, s21
	s_add_i32 s8, s5, s8
	s_waitcnt lgkmcnt(0)
	s_sub_i32 s9, s8, s26
	s_sub_i32 s8, s8, s27
	;; [unrolled: 1-line block ×3, first 2 shown]
	s_min_u32 s28, s20, s9
	s_addk_i32 s8, 0x400
	s_or_b32 s4, s0, s4
	s_min_u32 s7, s20, s5
	s_add_i32 s5, s5, s21
	s_cmp_eq_u32 s4, -1
	s_cselect_b32 s4, s5, s8
	s_cselect_b32 s5, s7, s27
	s_min_u32 s4, s4, s20
	s_sub_i32 s30, s5, s26
	s_sub_i32 s31, s4, s28
	s_add_u32 s5, s12, s26
	s_addc_u32 s7, s13, 0
	s_add_u32 s4, s12, s28
	v_mov_b32_e32 v1, 0
	global_load_dword v2, v1, s[2:3] offset:14
	s_addc_u32 s8, s13, 0
	s_cmp_lt_u32 s6, s10
	s_cselect_b32 s6, 12, 18
	s_add_u32 s2, s2, s6
	s_addc_u32 s3, s3, 0
	global_load_ushort v1, v1, s[2:3]
	s_mov_b32 s27, s1
	s_mov_b32 s29, s1
	s_cmp_eq_u32 s0, s11
	s_waitcnt vmcnt(1)
	v_lshrrev_b32_e32 v3, 16, v2
	v_and_b32_e32 v2, 0xffff, v2
	v_mul_lo_u32 v2, v2, v3
	s_waitcnt vmcnt(0)
	v_mul_lo_u32 v3, v2, v1
	v_add_u32_e32 v5, v3, v0
	v_add_u32_e32 v4, v5, v3
	s_cbranch_scc1 .LBB33_3
; %bb.2:
	v_mov_b32_e32 v1, s7
	v_add_co_u32_e32 v6, vcc, s5, v0
	v_addc_co_u32_e32 v1, vcc, 0, v1, vcc
	v_subrev_co_u32_e32 v2, vcc, s30, v0
	v_mov_b32_e32 v7, s8
	v_add_co_u32_e64 v8, s[0:1], s4, v2
	v_addc_co_u32_e64 v2, s[0:1], 0, v7, s[0:1]
	v_cndmask_b32_e32 v2, v2, v1, vcc
	v_cndmask_b32_e32 v1, v8, v6, vcc
	v_mov_b32_e32 v6, s7
	v_add_co_u32_e32 v8, vcc, s5, v5
	v_addc_co_u32_e32 v6, vcc, 0, v6, vcc
	v_subrev_co_u32_e32 v7, vcc, s30, v5
	v_mov_b32_e32 v9, s8
	v_add_co_u32_e64 v10, s[0:1], s4, v7
	v_addc_co_u32_e64 v7, s[0:1], 0, v9, s[0:1]
	v_cndmask_b32_e32 v7, v7, v6, vcc
	v_cndmask_b32_e32 v6, v10, v8, vcc
	;; [unrolled: 9-line block ×3, first 2 shown]
	v_add_u32_e32 v12, v4, v3
	v_mov_b32_e32 v10, s7
	v_add_co_u32_e32 v13, vcc, s5, v12
	v_addc_co_u32_e32 v10, vcc, 0, v10, vcc
	v_subrev_co_u32_e32 v11, vcc, s30, v12
	v_mov_b32_e32 v14, s8
	v_add_co_u32_e64 v15, s[0:1], s4, v11
	v_addc_co_u32_e64 v11, s[0:1], 0, v14, s[0:1]
	v_add_u32_e32 v14, v12, v3
	v_cndmask_b32_e32 v11, v11, v10, vcc
	v_cndmask_b32_e32 v10, v15, v13, vcc
	v_mov_b32_e32 v12, s7
	v_add_co_u32_e32 v15, vcc, s5, v14
	v_addc_co_u32_e32 v12, vcc, 0, v12, vcc
	v_subrev_co_u32_e32 v13, vcc, s30, v14
	v_mov_b32_e32 v16, s8
	v_add_co_u32_e64 v17, s[0:1], s4, v13
	v_addc_co_u32_e64 v13, s[0:1], 0, v16, s[0:1]
	v_add_u32_e32 v16, v14, v3
	v_cndmask_b32_e32 v13, v13, v12, vcc
	v_cndmask_b32_e32 v12, v17, v15, vcc
	;; [unrolled: 10-line block ×4, first 2 shown]
	v_mov_b32_e32 v19, s7
	v_add_co_u32_e32 v20, vcc, s5, v18
	v_addc_co_u32_e32 v19, vcc, 0, v19, vcc
	v_subrev_co_u32_e32 v18, vcc, s30, v18
	v_mov_b32_e32 v21, s8
	v_add_co_u32_e64 v18, s[0:1], s4, v18
	v_addc_co_u32_e64 v21, s[0:1], 0, v21, s[0:1]
	v_cndmask_b32_e32 v19, v21, v19, vcc
	v_cndmask_b32_e32 v18, v18, v20, vcc
	global_load_ubyte v20, v[1:2], off
	global_load_ubyte v21, v[6:7], off
	;; [unrolled: 1-line block ×8, first 2 shown]
	s_mov_b32 s0, 0xc0c0004
	s_add_i32 s21, s31, s30
	s_waitcnt vmcnt(6)
	v_perm_b32 v1, v20, v21, s0
	s_waitcnt vmcnt(4)
	v_perm_b32 v2, v22, v23, s0
	v_lshl_or_b32 v1, v2, 16, v1
	s_waitcnt vmcnt(2)
	v_perm_b32 v2, v24, v25, s0
	s_waitcnt vmcnt(0)
	v_perm_b32 v6, v26, v27, s0
	v_lshl_or_b32 v2, v6, 16, v2
	s_cbranch_execz .LBB33_4
	s_branch .LBB33_19
.LBB33_3:
                                        ; implicit-def: $vgpr1_vgpr2
                                        ; implicit-def: $sgpr21
.LBB33_4:
	s_add_i32 s21, s31, s30
	v_mov_b32_e32 v1, 0
	v_cmp_gt_u32_e32 vcc, s21, v0
	s_mov_b32 s6, 0
	v_mov_b32_e32 v2, v1
	s_and_saveexec_b64 s[2:3], vcc
	s_cbranch_execnz .LBB33_110
; %bb.5:
	s_or_b64 exec, exec, s[2:3]
	v_cmp_gt_u32_e32 vcc, s21, v5
	s_and_saveexec_b64 s[2:3], vcc
	s_cbranch_execnz .LBB33_111
.LBB33_6:
	s_or_b64 exec, exec, s[2:3]
	v_cmp_gt_u32_e32 vcc, s21, v4
	s_and_saveexec_b64 s[2:3], vcc
	s_cbranch_execz .LBB33_8
.LBB33_7:
	v_mov_b32_e32 v5, s7
	v_add_co_u32_e32 v7, vcc, s5, v4
	v_addc_co_u32_e32 v5, vcc, 0, v5, vcc
	v_subrev_co_u32_e32 v6, vcc, s30, v4
	v_mov_b32_e32 v8, s8
	v_add_co_u32_e64 v9, s[0:1], s4, v6
	v_addc_co_u32_e64 v6, s[0:1], 0, v8, s[0:1]
	v_cndmask_b32_e32 v6, v6, v5, vcc
	v_cndmask_b32_e32 v5, v9, v7, vcc
	global_load_ubyte v5, v[5:6], off
	s_mov_b32 s0, 0xc0c0304
	s_waitcnt vmcnt(0)
	v_perm_b32 v5, v5, v1, s0
	v_lshlrev_b32_e32 v5, 16, v5
	s_mov_b32 s0, 0xffff
	v_and_or_b32 v1, v1, s0, v5
.LBB33_8:
	s_or_b64 exec, exec, s[2:3]
	v_add_u32_e32 v4, v4, v3
	v_cmp_gt_u32_e32 vcc, s21, v4
	s_and_saveexec_b64 s[2:3], vcc
	s_cbranch_execz .LBB33_10
; %bb.9:
	v_mov_b32_e32 v5, s7
	v_add_co_u32_e32 v7, vcc, s5, v4
	v_addc_co_u32_e32 v5, vcc, 0, v5, vcc
	v_subrev_co_u32_e32 v6, vcc, s30, v4
	v_mov_b32_e32 v8, s8
	v_add_co_u32_e64 v9, s[0:1], s4, v6
	v_addc_co_u32_e64 v6, s[0:1], 0, v8, s[0:1]
	v_cndmask_b32_e32 v6, v6, v5, vcc
	v_cndmask_b32_e32 v5, v9, v7, vcc
	global_load_ubyte v5, v[5:6], off
	s_mov_b32 s0, 0xc0c0006
	s_waitcnt vmcnt(0)
	v_perm_b32 v5, v1, v5, s0
	v_lshlrev_b32_e32 v5, 16, v5
	s_mov_b32 s0, 0xffff
	v_and_or_b32 v1, v1, s0, v5
.LBB33_10:
	s_or_b64 exec, exec, s[2:3]
	v_add_u32_e32 v4, v4, v3
	v_cmp_gt_u32_e32 vcc, s21, v4
	s_and_saveexec_b64 s[2:3], vcc
	s_cbranch_execz .LBB33_12
; %bb.11:
	v_mov_b32_e32 v5, s7
	v_add_co_u32_e32 v7, vcc, s5, v4
	v_addc_co_u32_e32 v5, vcc, 0, v5, vcc
	v_subrev_co_u32_e32 v6, vcc, s30, v4
	v_mov_b32_e32 v8, s8
	v_add_co_u32_e64 v9, s[0:1], s4, v6
	v_addc_co_u32_e64 v6, s[0:1], 0, v8, s[0:1]
	v_cndmask_b32_e32 v6, v6, v5, vcc
	v_cndmask_b32_e32 v5, v9, v7, vcc
	global_load_ubyte v5, v[5:6], off
	s_mov_b32 s0, 0x3020104
	s_waitcnt vmcnt(0)
	v_perm_b32 v2, v5, v2, s0
.LBB33_12:
	s_or_b64 exec, exec, s[2:3]
	v_add_u32_e32 v4, v4, v3
	v_cmp_gt_u32_e32 vcc, s21, v4
	s_and_saveexec_b64 s[2:3], vcc
	s_cbranch_execz .LBB33_14
; %bb.13:
	v_mov_b32_e32 v5, s7
	v_add_co_u32_e32 v7, vcc, s5, v4
	v_addc_co_u32_e32 v5, vcc, 0, v5, vcc
	v_subrev_co_u32_e32 v6, vcc, s30, v4
	v_mov_b32_e32 v8, s8
	v_add_co_u32_e64 v9, s[0:1], s4, v6
	v_addc_co_u32_e64 v6, s[0:1], 0, v8, s[0:1]
	v_cndmask_b32_e32 v6, v6, v5, vcc
	v_cndmask_b32_e32 v5, v9, v7, vcc
	global_load_ubyte v5, v[5:6], off
	s_mov_b32 s0, 0x7060004
	s_waitcnt vmcnt(0)
	v_perm_b32 v2, v2, v5, s0
.LBB33_14:
	;; [unrolled: 20-line block ×4, first 2 shown]
	s_or_b64 exec, exec, s[2:3]
.LBB33_19:
	v_lshrrev_b32_e32 v3, 8, v1
	ds_write_b8 v0, v1
	ds_write_b8 v0, v3 offset:128
	ds_write_b8_d16_hi v0, v1 offset:256
	v_lshrrev_b32_e32 v3, 24, v1
	ds_write_b8 v0, v3 offset:384
	ds_write_b8 v0, v2 offset:512
	v_lshrrev_b32_e32 v3, 8, v2
	v_lshlrev_b32_e32 v7, 3, v0
	ds_write_b8 v0, v3 offset:640
	ds_write_b8_d16_hi v0, v2 offset:768
	v_lshrrev_b32_e32 v3, 24, v2
	v_min_u32_e32 v4, s21, v7
	ds_write_b8 v0, v3 offset:896
	v_sub_u32_e64 v3, v4, s31 clamp
	v_min_u32_e32 v5, s30, v4
	v_cmp_lt_u32_e32 vcc, v3, v5
	s_waitcnt lgkmcnt(0)
	s_barrier
	s_and_saveexec_b64 s[0:1], vcc
	s_cbranch_execz .LBB33_23
; %bb.20:
	v_add_u32_e32 v6, s30, v4
	s_mov_b64 s[2:3], 0
.LBB33_21:                              ; =>This Inner Loop Header: Depth=1
	v_add_u32_e32 v8, v5, v3
	v_lshrrev_b32_e32 v8, 1, v8
	v_xad_u32 v9, v8, -1, v6
	ds_read_u8 v10, v8
	ds_read_u8 v9, v9
	v_add_u32_e32 v11, 1, v8
	s_waitcnt lgkmcnt(1)
	v_and_b32_e32 v10, s23, v10
	s_waitcnt lgkmcnt(0)
	v_and_b32_e32 v9, s23, v9
	v_cmp_gt_i16_sdwa vcc, sext(v9), sext(v10) src0_sel:BYTE_0 src1_sel:BYTE_0
	v_cndmask_b32_e32 v5, v5, v8, vcc
	v_cndmask_b32_e32 v3, v11, v3, vcc
	v_cmp_ge_u32_e32 vcc, v3, v5
	s_or_b64 s[2:3], vcc, s[2:3]
	s_andn2_b64 exec, exec, s[2:3]
	s_cbranch_execnz .LBB33_21
; %bb.22:
	s_or_b64 exec, exec, s[2:3]
.LBB33_23:
	s_or_b64 exec, exec, s[0:1]
	v_sub_u32_e32 v4, v4, v3
	v_add_u32_e32 v4, s30, v4
	v_cmp_ge_u32_e32 vcc, s30, v3
	v_cmp_ge_u32_e64 s[0:1], s21, v4
	s_or_b64 s[0:1], vcc, s[0:1]
	v_mov_b32_e32 v8, 0
	v_mov_b32_e32 v9, 0
	;; [unrolled: 1-line block ×8, first 2 shown]
	s_and_saveexec_b64 s[12:13], s[0:1]
	s_cbranch_execz .LBB33_29
; %bb.24:
	v_cmp_gt_u32_e32 vcc, s30, v3
                                        ; implicit-def: $vgpr1
	s_and_saveexec_b64 s[0:1], vcc
; %bb.25:
	ds_read_u8 v1, v3
; %bb.26:
	s_or_b64 exec, exec, s[0:1]
	v_cmp_le_u32_e64 s[0:1], s21, v4
	v_cmp_gt_u32_e64 s[2:3], s21, v4
                                        ; implicit-def: $vgpr2
	s_and_saveexec_b64 s[4:5], s[2:3]
; %bb.27:
	ds_read_u8 v2, v4
; %bb.28:
	s_or_b64 exec, exec, s[4:5]
	s_waitcnt lgkmcnt(0)
	v_and_b32_e32 v5, s23, v2
	v_and_b32_e32 v6, s23, v1
	v_cmp_le_i16_sdwa s[2:3], sext(v5), sext(v6) src0_sel:BYTE_0 src1_sel:BYTE_0
	s_and_b64 s[2:3], vcc, s[2:3]
	s_or_b64 vcc, s[0:1], s[2:3]
	v_mov_b32_e32 v5, s21
	v_mov_b32_e32 v6, s30
	v_cndmask_b32_e32 v15, v4, v3, vcc
	v_cndmask_b32_e32 v8, v5, v6, vcc
	v_add_u32_e32 v9, 1, v15
	v_add_u32_e32 v8, -1, v8
	v_min_u32_e32 v8, v9, v8
	ds_read_u8 v8, v8
	v_cndmask_b32_e32 v4, v9, v4, vcc
	v_cndmask_b32_e32 v3, v3, v9, vcc
	v_cmp_gt_u32_e64 s[2:3], s30, v3
	v_cmp_le_u32_e64 s[0:1], s21, v4
	s_waitcnt lgkmcnt(0)
	v_cndmask_b32_e32 v16, v8, v2, vcc
	v_cndmask_b32_e32 v8, v1, v8, vcc
	v_and_b32_e32 v9, s23, v16
	v_and_b32_e32 v10, s23, v8
	v_cmp_le_i16_sdwa s[4:5], sext(v9), sext(v10) src0_sel:BYTE_0 src1_sel:BYTE_0
	s_and_b64 s[2:3], s[2:3], s[4:5]
	s_or_b64 s[0:1], s[0:1], s[2:3]
	v_cndmask_b32_e64 v14, v4, v3, s[0:1]
	v_cndmask_b32_e64 v9, v5, v6, s[0:1]
	v_add_u32_e32 v10, 1, v14
	v_add_u32_e32 v9, -1, v9
	v_min_u32_e32 v9, v10, v9
	ds_read_u8 v9, v9
	v_cndmask_b32_e64 v4, v10, v4, s[0:1]
	v_cndmask_b32_e64 v3, v3, v10, s[0:1]
	v_cmp_gt_u32_e64 s[4:5], s30, v3
	v_cmp_le_u32_e64 s[2:3], s21, v4
	s_waitcnt lgkmcnt(0)
	v_cndmask_b32_e64 v17, v9, v16, s[0:1]
	v_cndmask_b32_e64 v9, v8, v9, s[0:1]
	v_and_b32_e32 v10, s23, v17
	v_and_b32_e32 v11, s23, v9
	v_cmp_le_i16_sdwa s[6:7], sext(v10), sext(v11) src0_sel:BYTE_0 src1_sel:BYTE_0
	s_and_b64 s[4:5], s[4:5], s[6:7]
	s_or_b64 s[2:3], s[2:3], s[4:5]
	v_cndmask_b32_e64 v13, v4, v3, s[2:3]
	v_cndmask_b32_e64 v10, v5, v6, s[2:3]
	v_add_u32_e32 v11, 1, v13
	v_add_u32_e32 v10, -1, v10
	v_min_u32_e32 v10, v11, v10
	ds_read_u8 v10, v10
	v_cndmask_b32_e64 v4, v11, v4, s[2:3]
	v_cndmask_b32_e64 v3, v3, v11, s[2:3]
	v_cmp_gt_u32_e64 s[6:7], s30, v3
	v_cmp_le_u32_e64 s[4:5], s21, v4
	s_waitcnt lgkmcnt(0)
	v_cndmask_b32_e64 v18, v10, v17, s[2:3]
	v_cndmask_b32_e64 v19, v9, v10, s[2:3]
	;; [unrolled: 18-line block ×4, first 2 shown]
	v_and_b32_e32 v10, s23, v23
	v_and_b32_e32 v22, s23, v24
	v_cmp_le_i16_sdwa s[34:35], sext(v10), sext(v22) src0_sel:BYTE_0 src1_sel:BYTE_0
	s_and_b64 s[10:11], s[10:11], s[34:35]
	s_or_b64 s[8:9], s[8:9], s[10:11]
	v_cndmask_b32_e64 v10, v4, v3, s[8:9]
	v_cndmask_b32_e64 v22, v5, v6, s[8:9]
	v_add_u32_e32 v25, 1, v10
	v_add_u32_e32 v22, -1, v22
	v_min_u32_e32 v22, v25, v22
	ds_read_u8 v22, v22
	v_cndmask_b32_e32 v1, v2, v1, vcc
	v_cndmask_b32_e64 v16, v16, v8, s[0:1]
	v_cndmask_b32_e64 v17, v17, v9, s[2:3]
	;; [unrolled: 1-line block ×3, first 2 shown]
	s_waitcnt lgkmcnt(0)
	v_cndmask_b32_e64 v2, v22, v23, s[8:9]
	v_cndmask_b32_e64 v8, v24, v22, s[8:9]
	v_and_b32_e32 v9, s23, v2
	v_and_b32_e32 v22, s23, v8
	v_cndmask_b32_e64 v4, v25, v4, s[8:9]
	v_cmp_gt_u32_e64 s[0:1], s30, v3
	v_cmp_le_i16_sdwa s[2:3], sext(v9), sext(v22) src0_sel:BYTE_0 src1_sel:BYTE_0
	v_cmp_le_u32_e32 vcc, s21, v4
	s_and_b64 s[0:1], s[0:1], s[2:3]
	s_or_b64 vcc, vcc, s[0:1]
	v_cndmask_b32_e32 v9, v4, v3, vcc
	v_cndmask_b32_e32 v5, v5, v6, vcc
	v_add_u32_e32 v6, 1, v9
	v_add_u32_e32 v5, -1, v5
	v_min_u32_e32 v5, v6, v5
	ds_read_u8 v5, v5
	v_cndmask_b32_e64 v18, v18, v19, s[4:5]
	v_cndmask_b32_e64 v19, v20, v21, s[6:7]
	v_cndmask_b32_e32 v21, v2, v8, vcc
	v_cndmask_b32_e32 v4, v6, v4, vcc
	s_waitcnt lgkmcnt(0)
	v_cndmask_b32_e32 v2, v5, v2, vcc
	v_cndmask_b32_e32 v5, v8, v5, vcc
	;; [unrolled: 1-line block ×3, first 2 shown]
	v_and_b32_e32 v6, s23, v2
	v_and_b32_e32 v8, s23, v5
	v_cmp_gt_u32_e64 s[0:1], s30, v3
	v_cmp_le_i16_sdwa s[2:3], sext(v6), sext(v8) src0_sel:BYTE_0 src1_sel:BYTE_0
	v_cmp_le_u32_e32 vcc, s21, v4
	s_and_b64 s[0:1], s[0:1], s[2:3]
	s_or_b64 vcc, vcc, s[0:1]
	v_cndmask_b32_e64 v20, v23, v24, s[8:9]
	v_cndmask_b32_e32 v2, v2, v5, vcc
	v_cndmask_b32_e32 v8, v4, v3, vcc
	v_lshlrev_b16_e32 v2, 8, v2
	v_lshlrev_b16_e32 v3, 8, v20
	v_or_b32_sdwa v2, v21, v2 dst_sel:WORD_1 dst_unused:UNUSED_PAD src0_sel:BYTE_0 src1_sel:DWORD
	v_or_b32_sdwa v3, v19, v3 dst_sel:DWORD dst_unused:UNUSED_PAD src0_sel:BYTE_0 src1_sel:DWORD
	v_or_b32_sdwa v2, v3, v2 dst_sel:DWORD dst_unused:UNUSED_PAD src0_sel:WORD_0 src1_sel:DWORD
	v_lshlrev_b16_e32 v3, 8, v18
	v_lshlrev_b16_e32 v4, 8, v16
	v_or_b32_sdwa v3, v17, v3 dst_sel:WORD_1 dst_unused:UNUSED_PAD src0_sel:BYTE_0 src1_sel:DWORD
	v_or_b32_sdwa v1, v1, v4 dst_sel:DWORD dst_unused:UNUSED_PAD src0_sel:BYTE_0 src1_sel:DWORD
	v_or_b32_sdwa v1, v1, v3 dst_sel:DWORD dst_unused:UNUSED_PAD src0_sel:WORD_0 src1_sel:DWORD
.LBB33_29:
	s_or_b64 exec, exec, s[12:13]
	s_lshl_b64 s[0:1], s[26:27], 3
	s_add_u32 s8, s16, s0
	s_addc_u32 s9, s17, s1
	s_lshl_b64 s[0:1], s[28:29], 3
	s_add_u32 s6, s16, s0
	v_cndmask_b32_e64 v3, 0, 1, s[24:25]
	s_addc_u32 s7, s17, s1
	v_cmp_gt_u32_e64 s[4:5], s30, v0
	v_cmp_ne_u32_e64 s[0:1], 1, v3
	s_andn2_b64 vcc, exec, s[24:25]
	v_cmp_le_u32_e64 s[2:3], s30, v0
	s_barrier
	s_cbranch_vccnz .LBB33_31
; %bb.30:
	v_mov_b32_e32 v3, s9
	v_add_co_u32_e32 v5, vcc, s8, v7
	v_subrev_u32_e32 v4, s30, v0
	v_addc_co_u32_e32 v3, vcc, 0, v3, vcc
	v_lshlrev_b32_e32 v4, 3, v4
	v_mov_b32_e32 v6, s7
	v_add_co_u32_e32 v16, vcc, s6, v4
	v_addc_co_u32_e32 v4, vcc, 0, v6, vcc
	v_cndmask_b32_e64 v4, v4, v3, s[4:5]
	v_cndmask_b32_e64 v3, v16, v5, s[4:5]
	v_or_b32_e32 v5, 0x80, v0
	v_subrev_u32_e32 v6, s30, v5
	v_min_u32_e32 v6, v5, v6
	v_cmp_gt_u32_e32 vcc, s30, v5
	v_mov_b32_e32 v28, s6
	v_mov_b32_e32 v29, s8
	;; [unrolled: 1-line block ×4, first 2 shown]
	v_cndmask_b32_e32 v5, v28, v29, vcc
	v_lshlrev_b32_e32 v6, 3, v6
	v_cndmask_b32_e32 v16, v26, v27, vcc
	v_add_co_u32_e32 v5, vcc, v5, v6
	v_addc_co_u32_e32 v6, vcc, 0, v16, vcc
	v_or_b32_e32 v16, 0x100, v0
	v_subrev_u32_e32 v17, s30, v16
	v_min_u32_e32 v17, v16, v17
	v_cmp_gt_u32_e32 vcc, s30, v16
	v_cndmask_b32_e32 v16, v28, v29, vcc
	v_lshlrev_b32_e32 v17, 3, v17
	v_cndmask_b32_e32 v18, v26, v27, vcc
	v_add_co_u32_e32 v16, vcc, v16, v17
	v_addc_co_u32_e32 v17, vcc, 0, v18, vcc
	v_or_b32_e32 v18, 0x180, v0
	v_subrev_u32_e32 v19, s30, v18
	v_min_u32_e32 v19, v18, v19
	v_cmp_gt_u32_e32 vcc, s30, v18
	;; [unrolled: 9-line block ×5, first 2 shown]
	global_load_dwordx2 v[3:4], v[3:4], off
	v_cndmask_b32_e32 v24, v28, v29, vcc
	global_load_dwordx2 v[5:6], v[5:6], off
	v_lshlrev_b32_e32 v25, 3, v25
	global_load_dwordx2 v[16:17], v[16:17], off
	v_cndmask_b32_e32 v30, v26, v27, vcc
	global_load_dwordx2 v[18:19], v[18:19], off
	v_add_co_u32_e32 v24, vcc, v24, v25
	global_load_dwordx2 v[20:21], v[20:21], off
	v_addc_co_u32_e32 v25, vcc, 0, v30, vcc
	global_load_dwordx2 v[22:23], v[22:23], off
	s_nop 0
	global_load_dwordx2 v[24:25], v[24:25], off
	s_mov_b64 s[4:5], -1
	s_waitcnt vmcnt(5)
	ds_write2st64_b64 v7, v[3:4], v[5:6] offset1:2
	s_waitcnt vmcnt(3)
	ds_write2st64_b64 v7, v[16:17], v[18:19] offset0:4 offset1:6
	s_waitcnt vmcnt(1)
	ds_write2st64_b64 v7, v[20:21], v[22:23] offset0:8 offset1:10
	s_waitcnt vmcnt(0)
	ds_write_b64 v7, v[24:25] offset:6144
	v_or_b32_e32 v16, 0x380, v0
	v_subrev_u32_e32 v3, s30, v16
	v_cmp_gt_u32_e32 vcc, s30, v16
	v_min_u32_e32 v5, v16, v3
	v_cndmask_b32_e32 v4, v26, v27, vcc
	v_cndmask_b32_e32 v3, v28, v29, vcc
	s_cbranch_execz .LBB33_32
	s_branch .LBB33_65
.LBB33_31:
	s_mov_b64 s[4:5], 0
                                        ; implicit-def: $vgpr16
                                        ; implicit-def: $vgpr3_vgpr4
                                        ; implicit-def: $vgpr5
.LBB33_32:
	s_and_saveexec_b64 s[4:5], s[2:3]
	s_xor_b64 s[2:3], exec, s[4:5]
	s_cbranch_execz .LBB33_36
; %bb.33:
	v_subrev_u32_e32 v3, s30, v0
	v_cmp_gt_u32_e32 vcc, s31, v3
	s_and_saveexec_b64 s[4:5], vcc
	s_cbranch_execz .LBB33_35
; %bb.34:
	v_lshlrev_b32_e32 v3, 3, v3
	global_load_dwordx2 v[3:4], v3, s[6:7]
	s_waitcnt vmcnt(0)
	ds_write_b64 v7, v[3:4]
.LBB33_35:
	s_or_b64 exec, exec, s[4:5]
.LBB33_36:
	s_or_saveexec_b64 s[2:3], s[2:3]
	v_mad_u32_u24 v5, v0, 7, v0
	s_xor_b64 exec, exec, s[2:3]
	s_cbranch_execz .LBB33_38
; %bb.37:
	global_load_dwordx2 v[3:4], v7, s[8:9]
	s_waitcnt vmcnt(0)
	ds_write_b64 v5, v[3:4]
.LBB33_38:
	s_or_b64 exec, exec, s[2:3]
	v_or_b32_e32 v6, 0x80, v0
	v_mov_b32_e32 v3, s26
	v_cmp_le_u32_e32 vcc, s30, v6
	s_mov_b64 s[2:3], -1
	v_mov_b32_e32 v4, s27
	s_and_saveexec_b64 s[4:5], vcc
; %bb.39:
	v_subrev_u32_e32 v6, s30, v6
	v_cmp_gt_u32_e32 vcc, s31, v6
	v_mov_b32_e32 v3, s28
	v_mov_b32_e32 v4, s29
	s_orn2_b64 s[2:3], vcc, exec
; %bb.40:
	s_or_b64 exec, exec, s[4:5]
	s_and_saveexec_b64 s[4:5], s[2:3]
	s_cbranch_execz .LBB33_42
; %bb.41:
	v_lshlrev_b64 v[3:4], 3, v[3:4]
	v_mov_b32_e32 v16, s17
	v_add_co_u32_e32 v3, vcc, s16, v3
	v_addc_co_u32_e32 v4, vcc, v16, v4, vcc
	v_lshlrev_b32_e32 v6, 3, v6
	v_add_co_u32_e32 v3, vcc, v3, v6
	v_addc_co_u32_e32 v4, vcc, 0, v4, vcc
	global_load_dwordx2 v[3:4], v[3:4], off
	s_waitcnt vmcnt(0)
	ds_write_b64 v5, v[3:4] offset:1024
.LBB33_42:
	s_or_b64 exec, exec, s[4:5]
	v_or_b32_e32 v6, 0x100, v0
	v_mov_b32_e32 v3, s26
	v_cmp_le_u32_e32 vcc, s30, v6
	s_mov_b64 s[2:3], -1
	v_mov_b32_e32 v4, s27
	s_and_saveexec_b64 s[4:5], vcc
; %bb.43:
	v_subrev_u32_e32 v6, s30, v6
	v_cmp_gt_u32_e32 vcc, s31, v6
	v_mov_b32_e32 v3, s28
	v_mov_b32_e32 v4, s29
	s_orn2_b64 s[2:3], vcc, exec
; %bb.44:
	s_or_b64 exec, exec, s[4:5]
	s_and_saveexec_b64 s[4:5], s[2:3]
	s_cbranch_execz .LBB33_46
; %bb.45:
	v_lshlrev_b64 v[3:4], 3, v[3:4]
	v_mov_b32_e32 v16, s17
	v_add_co_u32_e32 v3, vcc, s16, v3
	v_addc_co_u32_e32 v4, vcc, v16, v4, vcc
	v_lshlrev_b32_e32 v6, 3, v6
	v_add_co_u32_e32 v3, vcc, v3, v6
	v_addc_co_u32_e32 v4, vcc, 0, v4, vcc
	global_load_dwordx2 v[3:4], v[3:4], off
	s_waitcnt vmcnt(0)
	ds_write_b64 v5, v[3:4] offset:2048
.LBB33_46:
	;; [unrolled: 29-line block ×6, first 2 shown]
	s_or_b64 exec, exec, s[4:5]
	v_or_b32_e32 v16, 0x380, v0
	v_mov_b32_e32 v3, s8
	v_cmp_le_u32_e32 vcc, s30, v16
	s_mov_b64 s[4:5], -1
	v_mov_b32_e32 v4, s9
	v_mov_b32_e32 v5, v16
	s_and_saveexec_b64 s[2:3], vcc
; %bb.63:
	v_subrev_u32_e32 v5, s30, v16
	v_cmp_gt_u32_e32 vcc, s31, v5
	v_mov_b32_e32 v3, s6
	v_mov_b32_e32 v4, s7
	s_orn2_b64 s[4:5], vcc, exec
; %bb.64:
	s_or_b64 exec, exec, s[2:3]
.LBB33_65:
	s_and_saveexec_b64 s[2:3], s[4:5]
	s_cbranch_execz .LBB33_67
; %bb.66:
	v_mov_b32_e32 v6, 0
	v_lshlrev_b64 v[5:6], 3, v[5:6]
	v_add_co_u32_e32 v3, vcc, v3, v5
	v_addc_co_u32_e32 v4, vcc, v4, v6, vcc
	global_load_dwordx2 v[3:4], v[3:4], off
	v_lshlrev_b32_e32 v5, 3, v16
	s_waitcnt vmcnt(0)
	ds_write_b64 v5, v[3:4]
.LBB33_67:
	s_or_b64 exec, exec, s[2:3]
	s_and_b64 vcc, exec, s[0:1]
	v_add_u32_e32 v3, s22, v7
	s_waitcnt lgkmcnt(0)
	s_barrier
	s_cbranch_vccnz .LBB33_69
; %bb.68:
	v_lshlrev_b32_e32 v16, 3, v15
	v_lshlrev_b32_e32 v18, 3, v14
	;; [unrolled: 1-line block ×7, first 2 shown]
	v_mov_b32_e32 v4, 0
	ds_read_b64 v[16:17], v16
	ds_read_b64 v[18:19], v18
	;; [unrolled: 1-line block ×7, first 2 shown]
	v_lshlrev_b64 v[5:6], 3, v[3:4]
	v_mov_b32_e32 v30, s19
	v_add_co_u32_e32 v5, vcc, s18, v5
	v_addc_co_u32_e32 v6, vcc, v30, v6, vcc
	s_mov_b64 s[0:1], -1
	s_waitcnt lgkmcnt(5)
	global_store_dwordx4 v[5:6], v[16:19], off
	s_waitcnt lgkmcnt(3)
	global_store_dwordx4 v[5:6], v[20:23], off offset:16
	s_waitcnt lgkmcnt(1)
	global_store_dwordx4 v[5:6], v[24:27], off offset:32
	s_waitcnt lgkmcnt(0)
	global_store_dwordx2 v[5:6], v[28:29], off offset:48
	s_cbranch_execz .LBB33_70
	s_branch .LBB33_87
.LBB33_69:
	s_mov_b64 s[0:1], 0
.LBB33_70:
	v_cmp_gt_u32_e32 vcc, s21, v7
	s_and_saveexec_b64 s[2:3], vcc
	s_cbranch_execz .LBB33_72
; %bb.71:
	v_lshlrev_b32_e32 v6, 3, v15
	v_mov_b32_e32 v4, 0
	ds_read_b64 v[15:16], v6
	v_lshlrev_b64 v[4:5], 3, v[3:4]
	v_mov_b32_e32 v17, s19
	v_add_co_u32_e32 v4, vcc, s18, v4
	v_addc_co_u32_e32 v5, vcc, v17, v5, vcc
	s_waitcnt lgkmcnt(0)
	global_store_dwordx2 v[4:5], v[15:16], off
.LBB33_72:
	s_or_b64 exec, exec, s[2:3]
	v_or_b32_e32 v4, 1, v7
	v_cmp_gt_u32_e32 vcc, s21, v4
	s_and_saveexec_b64 s[2:3], vcc
	s_cbranch_execz .LBB33_74
; %bb.73:
	v_lshlrev_b32_e32 v6, 3, v14
	v_mov_b32_e32 v4, 0
	ds_read_b64 v[14:15], v6
	v_lshlrev_b64 v[4:5], 3, v[3:4]
	v_mov_b32_e32 v16, s19
	v_add_co_u32_e32 v4, vcc, s18, v4
	v_addc_co_u32_e32 v5, vcc, v16, v5, vcc
	s_waitcnt lgkmcnt(0)
	global_store_dwordx2 v[4:5], v[14:15], off offset:8
.LBB33_74:
	s_or_b64 exec, exec, s[2:3]
	v_or_b32_e32 v4, 2, v7
	v_cmp_gt_u32_e32 vcc, s21, v4
	s_and_saveexec_b64 s[2:3], vcc
	s_cbranch_execz .LBB33_76
; %bb.75:
	v_lshlrev_b32_e32 v6, 3, v13
	v_mov_b32_e32 v4, 0
	ds_read_b64 v[13:14], v6
	v_lshlrev_b64 v[4:5], 3, v[3:4]
	v_mov_b32_e32 v15, s19
	v_add_co_u32_e32 v4, vcc, s18, v4
	v_addc_co_u32_e32 v5, vcc, v15, v5, vcc
	s_waitcnt lgkmcnt(0)
	global_store_dwordx2 v[4:5], v[13:14], off offset:16
.LBB33_76:
	;; [unrolled: 16-line block ×6, first 2 shown]
	s_or_b64 exec, exec, s[2:3]
	v_or_b32_e32 v4, 7, v7
	v_cmp_gt_u32_e32 vcc, s21, v4
	s_and_saveexec_b64 s[2:3], vcc
; %bb.85:
	v_mov_b32_e32 v4, 0
	s_or_b64 s[0:1], s[0:1], exec
; %bb.86:
	s_or_b64 exec, exec, s[2:3]
.LBB33_87:
	s_and_saveexec_b64 s[2:3], s[0:1]
	s_cbranch_execz .LBB33_89
; %bb.88:
	v_lshlrev_b32_e32 v5, 3, v8
	ds_read_b64 v[5:6], v5
	v_lshlrev_b64 v[3:4], 3, v[3:4]
	v_mov_b32_e32 v8, s19
	v_add_co_u32_e32 v3, vcc, s18, v3
	v_addc_co_u32_e32 v4, vcc, v8, v4, vcc
	s_waitcnt lgkmcnt(0)
	global_store_dwordx2 v[3:4], v[5:6], off offset:56
.LBB33_89:
	s_or_b64 exec, exec, s[2:3]
	v_lshrrev_b32_e32 v3, 2, v0
	s_add_u32 s0, s14, s22
	v_and_b32_e32 v3, 28, v3
	s_addc_u32 s1, s15, 0
	v_add_u32_e32 v3, v3, v7
	s_waitcnt vmcnt(0)
	s_barrier
	s_barrier
	ds_write2_b32 v3, v1, v2 offset1:1
	v_mov_b32_e32 v2, s1
	v_add_co_u32_e32 v1, vcc, s0, v0
	v_addc_co_u32_e32 v2, vcc, 0, v2, vcc
	s_and_b64 vcc, exec, s[24:25]
	v_add_u32_e32 v4, 4, v0
	v_add_u32_e32 v5, 8, v0
	;; [unrolled: 1-line block ×7, first 2 shown]
	s_waitcnt lgkmcnt(0)
	s_cbranch_vccz .LBB33_91
; %bb.90:
	s_barrier
	ds_read_u8 v11, v0
	ds_read_u8 v12, v4 offset:128
	ds_read_u8 v13, v5 offset:256
	;; [unrolled: 1-line block ×7, first 2 shown]
	s_waitcnt lgkmcnt(7)
	global_store_byte v[1:2], v11, off
	s_waitcnt lgkmcnt(6)
	global_store_byte v[1:2], v12, off offset:128
	s_waitcnt lgkmcnt(5)
	global_store_byte v[1:2], v13, off offset:256
	;; [unrolled: 2-line block ×6, first 2 shown]
	s_mov_b64 s[0:1], -1
	s_cbranch_execz .LBB33_92
	s_branch .LBB33_107
.LBB33_91:
	s_mov_b64 s[0:1], 0
                                        ; implicit-def: $vgpr3
.LBB33_92:
	s_waitcnt vmcnt(0) lgkmcnt(0)
	s_barrier
	ds_read_u8 v13, v4 offset:128
	ds_read_u8 v12, v5 offset:256
	;; [unrolled: 1-line block ×7, first 2 shown]
	s_sub_i32 s2, s20, s22
	v_or_b32_e32 v7, 0x80, v0
	v_cmp_gt_u32_e32 vcc, s2, v0
	s_and_saveexec_b64 s[0:1], vcc
	s_cbranch_execz .LBB33_94
; %bb.93:
	ds_read_u8 v8, v0
	s_waitcnt lgkmcnt(0)
	global_store_byte v[1:2], v8, off
.LBB33_94:
	s_or_b64 exec, exec, s[0:1]
	v_or_b32_e32 v8, 0x100, v0
	v_cmp_gt_u32_e32 vcc, s2, v7
	s_and_saveexec_b64 s[0:1], vcc
	s_cbranch_execz .LBB33_96
; %bb.95:
	s_waitcnt lgkmcnt(6)
	global_store_byte v[1:2], v13, off offset:128
.LBB33_96:
	s_or_b64 exec, exec, s[0:1]
	v_or_b32_e32 v7, 0x180, v0
	v_cmp_gt_u32_e32 vcc, s2, v8
	s_and_saveexec_b64 s[0:1], vcc
	s_cbranch_execz .LBB33_98
; %bb.97:
	s_waitcnt lgkmcnt(5)
	global_store_byte v[1:2], v12, off offset:256
.LBB33_98:
	;; [unrolled: 9-line block ×4, first 2 shown]
	s_or_b64 exec, exec, s[0:1]
	s_waitcnt lgkmcnt(3)
	v_or_b32_e32 v6, 0x300, v0
	v_cmp_gt_u32_e32 vcc, s2, v7
	s_and_saveexec_b64 s[0:1], vcc
	s_cbranch_execz .LBB33_104
; %bb.103:
	s_waitcnt lgkmcnt(2)
	global_store_byte v[1:2], v5, off offset:640
.LBB33_104:
	s_or_b64 exec, exec, s[0:1]
	v_or_b32_e32 v0, 0x380, v0
	v_cmp_gt_u32_e32 vcc, s2, v6
	s_and_saveexec_b64 s[0:1], vcc
	s_cbranch_execz .LBB33_106
; %bb.105:
	s_waitcnt lgkmcnt(1)
	global_store_byte v[1:2], v4, off offset:768
.LBB33_106:
	s_or_b64 exec, exec, s[0:1]
	v_cmp_gt_u32_e64 s[0:1], s2, v0
.LBB33_107:
	s_and_saveexec_b64 s[2:3], s[0:1]
	s_cbranch_execz .LBB33_109
; %bb.108:
	s_waitcnt lgkmcnt(0)
	global_store_byte v[1:2], v3, off offset:896
.LBB33_109:
	s_endpgm
.LBB33_110:
	v_mov_b32_e32 v1, s7
	v_add_co_u32_e32 v6, vcc, s5, v0
	v_addc_co_u32_e32 v1, vcc, 0, v1, vcc
	v_subrev_co_u32_e32 v2, vcc, s30, v0
	v_mov_b32_e32 v7, s8
	v_add_co_u32_e64 v8, s[0:1], s4, v2
	v_addc_co_u32_e64 v2, s[0:1], 0, v7, s[0:1]
	v_cndmask_b32_e32 v2, v2, v1, vcc
	v_cndmask_b32_e32 v1, v8, v6, vcc
	global_load_ubyte v1, v[1:2], off
	v_mov_b32_e32 v2, s6
	s_waitcnt vmcnt(0)
	v_and_b32_e32 v1, 0xffff, v1
	s_or_b64 exec, exec, s[2:3]
	v_cmp_gt_u32_e32 vcc, s21, v5
	s_and_saveexec_b64 s[2:3], vcc
	s_cbranch_execz .LBB33_6
.LBB33_111:
	v_mov_b32_e32 v6, s7
	v_add_co_u32_e32 v7, vcc, s5, v5
	v_addc_co_u32_e32 v6, vcc, 0, v6, vcc
	v_subrev_co_u32_e32 v5, vcc, s30, v5
	v_mov_b32_e32 v8, s8
	v_add_co_u32_e64 v5, s[0:1], s4, v5
	v_addc_co_u32_e64 v8, s[0:1], 0, v8, s[0:1]
	v_cndmask_b32_e32 v6, v8, v6, vcc
	v_cndmask_b32_e32 v5, v5, v7, vcc
	global_load_ubyte v5, v[5:6], off
	s_mov_b32 s0, 0x7060004
	s_waitcnt vmcnt(0)
	v_perm_b32 v1, v1, v5, s0
	s_or_b64 exec, exec, s[2:3]
	v_cmp_gt_u32_e32 vcc, s21, v4
	s_and_saveexec_b64 s[2:3], vcc
	s_cbranch_execnz .LBB33_7
	s_branch .LBB33_8
	.section	.rodata,"a",@progbits
	.p2align	6, 0x0
	.amdhsa_kernel _ZN7rocprim17ROCPRIM_304000_NS6detail35device_block_merge_mergepath_kernelINS1_37wrapped_merge_sort_block_merge_configINS0_14default_configEaN2at4cuda3cub6detail10OpaqueTypeILi8EEEEEPaSC_PSA_SD_jNS1_19radix_merge_compareILb1ELb1EaNS0_19identity_decomposerEEEEEvT0_T1_T2_T3_T4_SL_jT5_PKSL_NS1_7vsmem_tE
		.amdhsa_group_segment_fixed_size 8208
		.amdhsa_private_segment_fixed_size 0
		.amdhsa_kernarg_size 320
		.amdhsa_user_sgpr_count 6
		.amdhsa_user_sgpr_private_segment_buffer 1
		.amdhsa_user_sgpr_dispatch_ptr 0
		.amdhsa_user_sgpr_queue_ptr 0
		.amdhsa_user_sgpr_kernarg_segment_ptr 1
		.amdhsa_user_sgpr_dispatch_id 0
		.amdhsa_user_sgpr_flat_scratch_init 0
		.amdhsa_user_sgpr_private_segment_size 0
		.amdhsa_uses_dynamic_stack 0
		.amdhsa_system_sgpr_private_segment_wavefront_offset 0
		.amdhsa_system_sgpr_workgroup_id_x 1
		.amdhsa_system_sgpr_workgroup_id_y 1
		.amdhsa_system_sgpr_workgroup_id_z 1
		.amdhsa_system_sgpr_workgroup_info 0
		.amdhsa_system_vgpr_workitem_id 0
		.amdhsa_next_free_vgpr 49
		.amdhsa_next_free_sgpr 98
		.amdhsa_reserve_vcc 1
		.amdhsa_reserve_flat_scratch 0
		.amdhsa_float_round_mode_32 0
		.amdhsa_float_round_mode_16_64 0
		.amdhsa_float_denorm_mode_32 3
		.amdhsa_float_denorm_mode_16_64 3
		.amdhsa_dx10_clamp 1
		.amdhsa_ieee_mode 1
		.amdhsa_fp16_overflow 0
		.amdhsa_exception_fp_ieee_invalid_op 0
		.amdhsa_exception_fp_denorm_src 0
		.amdhsa_exception_fp_ieee_div_zero 0
		.amdhsa_exception_fp_ieee_overflow 0
		.amdhsa_exception_fp_ieee_underflow 0
		.amdhsa_exception_fp_ieee_inexact 0
		.amdhsa_exception_int_div_zero 0
	.end_amdhsa_kernel
	.section	.text._ZN7rocprim17ROCPRIM_304000_NS6detail35device_block_merge_mergepath_kernelINS1_37wrapped_merge_sort_block_merge_configINS0_14default_configEaN2at4cuda3cub6detail10OpaqueTypeILi8EEEEEPaSC_PSA_SD_jNS1_19radix_merge_compareILb1ELb1EaNS0_19identity_decomposerEEEEEvT0_T1_T2_T3_T4_SL_jT5_PKSL_NS1_7vsmem_tE,"axG",@progbits,_ZN7rocprim17ROCPRIM_304000_NS6detail35device_block_merge_mergepath_kernelINS1_37wrapped_merge_sort_block_merge_configINS0_14default_configEaN2at4cuda3cub6detail10OpaqueTypeILi8EEEEEPaSC_PSA_SD_jNS1_19radix_merge_compareILb1ELb1EaNS0_19identity_decomposerEEEEEvT0_T1_T2_T3_T4_SL_jT5_PKSL_NS1_7vsmem_tE,comdat
.Lfunc_end33:
	.size	_ZN7rocprim17ROCPRIM_304000_NS6detail35device_block_merge_mergepath_kernelINS1_37wrapped_merge_sort_block_merge_configINS0_14default_configEaN2at4cuda3cub6detail10OpaqueTypeILi8EEEEEPaSC_PSA_SD_jNS1_19radix_merge_compareILb1ELb1EaNS0_19identity_decomposerEEEEEvT0_T1_T2_T3_T4_SL_jT5_PKSL_NS1_7vsmem_tE, .Lfunc_end33-_ZN7rocprim17ROCPRIM_304000_NS6detail35device_block_merge_mergepath_kernelINS1_37wrapped_merge_sort_block_merge_configINS0_14default_configEaN2at4cuda3cub6detail10OpaqueTypeILi8EEEEEPaSC_PSA_SD_jNS1_19radix_merge_compareILb1ELb1EaNS0_19identity_decomposerEEEEEvT0_T1_T2_T3_T4_SL_jT5_PKSL_NS1_7vsmem_tE
                                        ; -- End function
	.set _ZN7rocprim17ROCPRIM_304000_NS6detail35device_block_merge_mergepath_kernelINS1_37wrapped_merge_sort_block_merge_configINS0_14default_configEaN2at4cuda3cub6detail10OpaqueTypeILi8EEEEEPaSC_PSA_SD_jNS1_19radix_merge_compareILb1ELb1EaNS0_19identity_decomposerEEEEEvT0_T1_T2_T3_T4_SL_jT5_PKSL_NS1_7vsmem_tE.num_vgpr, 31
	.set _ZN7rocprim17ROCPRIM_304000_NS6detail35device_block_merge_mergepath_kernelINS1_37wrapped_merge_sort_block_merge_configINS0_14default_configEaN2at4cuda3cub6detail10OpaqueTypeILi8EEEEEPaSC_PSA_SD_jNS1_19radix_merge_compareILb1ELb1EaNS0_19identity_decomposerEEEEEvT0_T1_T2_T3_T4_SL_jT5_PKSL_NS1_7vsmem_tE.num_agpr, 0
	.set _ZN7rocprim17ROCPRIM_304000_NS6detail35device_block_merge_mergepath_kernelINS1_37wrapped_merge_sort_block_merge_configINS0_14default_configEaN2at4cuda3cub6detail10OpaqueTypeILi8EEEEEPaSC_PSA_SD_jNS1_19radix_merge_compareILb1ELb1EaNS0_19identity_decomposerEEEEEvT0_T1_T2_T3_T4_SL_jT5_PKSL_NS1_7vsmem_tE.numbered_sgpr, 36
	.set _ZN7rocprim17ROCPRIM_304000_NS6detail35device_block_merge_mergepath_kernelINS1_37wrapped_merge_sort_block_merge_configINS0_14default_configEaN2at4cuda3cub6detail10OpaqueTypeILi8EEEEEPaSC_PSA_SD_jNS1_19radix_merge_compareILb1ELb1EaNS0_19identity_decomposerEEEEEvT0_T1_T2_T3_T4_SL_jT5_PKSL_NS1_7vsmem_tE.num_named_barrier, 0
	.set _ZN7rocprim17ROCPRIM_304000_NS6detail35device_block_merge_mergepath_kernelINS1_37wrapped_merge_sort_block_merge_configINS0_14default_configEaN2at4cuda3cub6detail10OpaqueTypeILi8EEEEEPaSC_PSA_SD_jNS1_19radix_merge_compareILb1ELb1EaNS0_19identity_decomposerEEEEEvT0_T1_T2_T3_T4_SL_jT5_PKSL_NS1_7vsmem_tE.private_seg_size, 0
	.set _ZN7rocprim17ROCPRIM_304000_NS6detail35device_block_merge_mergepath_kernelINS1_37wrapped_merge_sort_block_merge_configINS0_14default_configEaN2at4cuda3cub6detail10OpaqueTypeILi8EEEEEPaSC_PSA_SD_jNS1_19radix_merge_compareILb1ELb1EaNS0_19identity_decomposerEEEEEvT0_T1_T2_T3_T4_SL_jT5_PKSL_NS1_7vsmem_tE.uses_vcc, 1
	.set _ZN7rocprim17ROCPRIM_304000_NS6detail35device_block_merge_mergepath_kernelINS1_37wrapped_merge_sort_block_merge_configINS0_14default_configEaN2at4cuda3cub6detail10OpaqueTypeILi8EEEEEPaSC_PSA_SD_jNS1_19radix_merge_compareILb1ELb1EaNS0_19identity_decomposerEEEEEvT0_T1_T2_T3_T4_SL_jT5_PKSL_NS1_7vsmem_tE.uses_flat_scratch, 0
	.set _ZN7rocprim17ROCPRIM_304000_NS6detail35device_block_merge_mergepath_kernelINS1_37wrapped_merge_sort_block_merge_configINS0_14default_configEaN2at4cuda3cub6detail10OpaqueTypeILi8EEEEEPaSC_PSA_SD_jNS1_19radix_merge_compareILb1ELb1EaNS0_19identity_decomposerEEEEEvT0_T1_T2_T3_T4_SL_jT5_PKSL_NS1_7vsmem_tE.has_dyn_sized_stack, 0
	.set _ZN7rocprim17ROCPRIM_304000_NS6detail35device_block_merge_mergepath_kernelINS1_37wrapped_merge_sort_block_merge_configINS0_14default_configEaN2at4cuda3cub6detail10OpaqueTypeILi8EEEEEPaSC_PSA_SD_jNS1_19radix_merge_compareILb1ELb1EaNS0_19identity_decomposerEEEEEvT0_T1_T2_T3_T4_SL_jT5_PKSL_NS1_7vsmem_tE.has_recursion, 0
	.set _ZN7rocprim17ROCPRIM_304000_NS6detail35device_block_merge_mergepath_kernelINS1_37wrapped_merge_sort_block_merge_configINS0_14default_configEaN2at4cuda3cub6detail10OpaqueTypeILi8EEEEEPaSC_PSA_SD_jNS1_19radix_merge_compareILb1ELb1EaNS0_19identity_decomposerEEEEEvT0_T1_T2_T3_T4_SL_jT5_PKSL_NS1_7vsmem_tE.has_indirect_call, 0
	.section	.AMDGPU.csdata,"",@progbits
; Kernel info:
; codeLenInByte = 5680
; TotalNumSgprs: 40
; NumVgprs: 31
; ScratchSize: 0
; MemoryBound: 0
; FloatMode: 240
; IeeeMode: 1
; LDSByteSize: 8208 bytes/workgroup (compile time only)
; SGPRBlocks: 12
; VGPRBlocks: 12
; NumSGPRsForWavesPerEU: 102
; NumVGPRsForWavesPerEU: 49
; Occupancy: 4
; WaveLimiterHint : 1
; COMPUTE_PGM_RSRC2:SCRATCH_EN: 0
; COMPUTE_PGM_RSRC2:USER_SGPR: 6
; COMPUTE_PGM_RSRC2:TRAP_HANDLER: 0
; COMPUTE_PGM_RSRC2:TGID_X_EN: 1
; COMPUTE_PGM_RSRC2:TGID_Y_EN: 1
; COMPUTE_PGM_RSRC2:TGID_Z_EN: 1
; COMPUTE_PGM_RSRC2:TIDIG_COMP_CNT: 0
	.section	.text._ZN7rocprim17ROCPRIM_304000_NS6detail33device_block_merge_oddeven_kernelINS1_37wrapped_merge_sort_block_merge_configINS0_14default_configEaN2at4cuda3cub6detail10OpaqueTypeILi8EEEEEPaSC_PSA_SD_jNS1_19radix_merge_compareILb1ELb1EaNS0_19identity_decomposerEEEEEvT0_T1_T2_T3_T4_SL_T5_,"axG",@progbits,_ZN7rocprim17ROCPRIM_304000_NS6detail33device_block_merge_oddeven_kernelINS1_37wrapped_merge_sort_block_merge_configINS0_14default_configEaN2at4cuda3cub6detail10OpaqueTypeILi8EEEEEPaSC_PSA_SD_jNS1_19radix_merge_compareILb1ELb1EaNS0_19identity_decomposerEEEEEvT0_T1_T2_T3_T4_SL_T5_,comdat
	.protected	_ZN7rocprim17ROCPRIM_304000_NS6detail33device_block_merge_oddeven_kernelINS1_37wrapped_merge_sort_block_merge_configINS0_14default_configEaN2at4cuda3cub6detail10OpaqueTypeILi8EEEEEPaSC_PSA_SD_jNS1_19radix_merge_compareILb1ELb1EaNS0_19identity_decomposerEEEEEvT0_T1_T2_T3_T4_SL_T5_ ; -- Begin function _ZN7rocprim17ROCPRIM_304000_NS6detail33device_block_merge_oddeven_kernelINS1_37wrapped_merge_sort_block_merge_configINS0_14default_configEaN2at4cuda3cub6detail10OpaqueTypeILi8EEEEEPaSC_PSA_SD_jNS1_19radix_merge_compareILb1ELb1EaNS0_19identity_decomposerEEEEEvT0_T1_T2_T3_T4_SL_T5_
	.globl	_ZN7rocprim17ROCPRIM_304000_NS6detail33device_block_merge_oddeven_kernelINS1_37wrapped_merge_sort_block_merge_configINS0_14default_configEaN2at4cuda3cub6detail10OpaqueTypeILi8EEEEEPaSC_PSA_SD_jNS1_19radix_merge_compareILb1ELb1EaNS0_19identity_decomposerEEEEEvT0_T1_T2_T3_T4_SL_T5_
	.p2align	8
	.type	_ZN7rocprim17ROCPRIM_304000_NS6detail33device_block_merge_oddeven_kernelINS1_37wrapped_merge_sort_block_merge_configINS0_14default_configEaN2at4cuda3cub6detail10OpaqueTypeILi8EEEEEPaSC_PSA_SD_jNS1_19radix_merge_compareILb1ELb1EaNS0_19identity_decomposerEEEEEvT0_T1_T2_T3_T4_SL_T5_,@function
_ZN7rocprim17ROCPRIM_304000_NS6detail33device_block_merge_oddeven_kernelINS1_37wrapped_merge_sort_block_merge_configINS0_14default_configEaN2at4cuda3cub6detail10OpaqueTypeILi8EEEEEPaSC_PSA_SD_jNS1_19radix_merge_compareILb1ELb1EaNS0_19identity_decomposerEEEEEvT0_T1_T2_T3_T4_SL_T5_: ; @_ZN7rocprim17ROCPRIM_304000_NS6detail33device_block_merge_oddeven_kernelINS1_37wrapped_merge_sort_block_merge_configINS0_14default_configEaN2at4cuda3cub6detail10OpaqueTypeILi8EEEEEPaSC_PSA_SD_jNS1_19radix_merge_compareILb1ELb1EaNS0_19identity_decomposerEEEEEvT0_T1_T2_T3_T4_SL_T5_
; %bb.0:
	s_load_dwordx4 s[16:19], s[4:5], 0x20
	s_waitcnt lgkmcnt(0)
	s_lshr_b32 s0, s16, 8
	s_cmp_eq_u32 s6, s0
	s_cselect_b64 s[20:21], -1, 0
	s_cmp_lg_u32 s6, s0
	s_cselect_b64 s[0:1], -1, 0
	s_lshl_b32 s22, s6, 8
	s_sub_i32 s2, s16, s22
	v_cmp_gt_u32_e64 s[2:3], s2, v0
	s_or_b64 s[0:1], s[0:1], s[2:3]
	s_and_saveexec_b64 s[8:9], s[0:1]
	s_cbranch_execz .LBB34_24
; %bb.1:
	s_load_dwordx8 s[8:15], s[4:5], 0x0
	s_mov_b32 s23, 0
	v_lshlrev_b32_e32 v3, 3, v0
	s_waitcnt lgkmcnt(0)
	s_add_u32 s0, s8, s22
	s_addc_u32 s1, s9, 0
	s_lshl_b64 s[4:5], s[22:23], 3
	s_add_u32 s4, s12, s4
	s_addc_u32 s5, s13, s5
	global_load_dwordx2 v[1:2], v3, s[4:5]
	global_load_ubyte v5, v0, s[0:1]
	s_lshr_b32 s0, s17, 8
	s_sub_i32 s1, 0, s0
	s_and_b32 s1, s6, s1
	s_and_b32 s0, s1, s0
	s_lshl_b32 s13, s1, 8
	s_sub_i32 s6, 0, s17
	s_cmp_eq_u32 s0, 0
	s_cselect_b64 s[0:1], -1, 0
	s_and_b64 s[4:5], s[0:1], exec
	s_cselect_b32 s6, s17, s6
	s_add_i32 s6, s6, s13
	s_mov_b64 s[4:5], -1
	s_cmp_gt_u32 s16, s6
	v_add_u32_e32 v3, s22, v0
	s_cbranch_scc1 .LBB34_9
; %bb.2:
	s_and_b64 vcc, exec, s[20:21]
	s_cbranch_vccz .LBB34_6
; %bb.3:
	v_cmp_gt_u32_e32 vcc, s16, v3
	s_and_saveexec_b64 s[4:5], vcc
	s_cbranch_execz .LBB34_5
; %bb.4:
	v_mov_b32_e32 v4, 0
	v_lshlrev_b64 v[6:7], 3, v[3:4]
	v_mov_b32_e32 v0, s15
	v_add_co_u32_e32 v6, vcc, s14, v6
	v_addc_co_u32_e32 v7, vcc, v0, v7, vcc
	s_waitcnt vmcnt(0)
	global_store_byte v3, v5, s[10:11]
	global_store_dwordx2 v[6:7], v[1:2], off
.LBB34_5:
	s_or_b64 exec, exec, s[4:5]
	s_mov_b64 s[4:5], 0
.LBB34_6:
	s_andn2_b64 vcc, exec, s[4:5]
	s_cbranch_vccnz .LBB34_8
; %bb.7:
	v_mov_b32_e32 v4, 0
	v_lshlrev_b64 v[6:7], 3, v[3:4]
	v_mov_b32_e32 v0, s15
	v_add_co_u32_e32 v6, vcc, s14, v6
	v_addc_co_u32_e32 v7, vcc, v0, v7, vcc
	s_waitcnt vmcnt(0)
	global_store_byte v3, v5, s[10:11]
	global_store_dwordx2 v[6:7], v[1:2], off
.LBB34_8:
	s_mov_b64 s[4:5], 0
.LBB34_9:
	s_andn2_b64 vcc, exec, s[4:5]
	s_cbranch_vccnz .LBB34_24
; %bb.10:
	s_min_u32 s7, s6, s16
	s_add_i32 s4, s7, s17
	s_min_u32 s12, s4, s16
	s_min_u32 s4, s13, s7
	s_add_i32 s13, s13, s7
	v_subrev_u32_e32 v0, s13, v3
	v_add_u32_e32 v0, s4, v0
	s_waitcnt vmcnt(0)
	v_and_b32_e32 v3, s18, v5
	s_mov_b64 s[4:5], -1
	s_and_b64 vcc, exec, s[20:21]
	s_cbranch_vccz .LBB34_18
; %bb.11:
	s_and_saveexec_b64 s[4:5], s[2:3]
	s_cbranch_execz .LBB34_17
; %bb.12:
	s_cmp_ge_u32 s6, s12
	v_mov_b32_e32 v4, s7
	s_cbranch_scc1 .LBB34_16
; %bb.13:
	s_mov_b64 s[2:3], 0
	v_mov_b32_e32 v6, s12
	v_mov_b32_e32 v4, s7
.LBB34_14:                              ; =>This Inner Loop Header: Depth=1
	v_add_u32_e32 v7, v4, v6
	v_lshrrev_b32_e32 v7, 1, v7
	global_load_ubyte v8, v7, s[8:9]
	v_add_u32_e32 v9, 1, v7
	s_waitcnt vmcnt(0)
	v_and_b32_e32 v8, s18, v8
	v_cmp_gt_i16_sdwa s[16:17], sext(v8), sext(v3) src0_sel:BYTE_0 src1_sel:BYTE_0
	v_cndmask_b32_e64 v10, 0, 1, s[16:17]
	v_cmp_le_i16_sdwa s[16:17], sext(v3), sext(v8) src0_sel:BYTE_0 src1_sel:BYTE_0
	v_cndmask_b32_e64 v8, 0, 1, s[16:17]
	v_cndmask_b32_e64 v8, v8, v10, s[0:1]
	v_and_b32_e32 v8, 1, v8
	v_cmp_eq_u32_e32 vcc, 1, v8
	v_cndmask_b32_e32 v6, v7, v6, vcc
	v_cndmask_b32_e32 v4, v4, v9, vcc
	v_cmp_ge_u32_e32 vcc, v4, v6
	s_or_b64 s[2:3], vcc, s[2:3]
	s_andn2_b64 exec, exec, s[2:3]
	s_cbranch_execnz .LBB34_14
; %bb.15:
	s_or_b64 exec, exec, s[2:3]
.LBB34_16:
	v_add_u32_e32 v6, v4, v0
	v_mov_b32_e32 v7, 0
	global_store_byte v6, v5, s[10:11]
	v_lshlrev_b64 v[6:7], 3, v[6:7]
	v_mov_b32_e32 v4, s15
	v_add_co_u32_e32 v6, vcc, s14, v6
	v_addc_co_u32_e32 v7, vcc, v4, v7, vcc
	global_store_dwordx2 v[6:7], v[1:2], off
.LBB34_17:
	s_or_b64 exec, exec, s[4:5]
	s_mov_b64 s[4:5], 0
.LBB34_18:
	s_andn2_b64 vcc, exec, s[4:5]
	s_cbranch_vccnz .LBB34_24
; %bb.19:
	s_cmp_ge_u32 s6, s12
	v_mov_b32_e32 v4, s7
	s_cbranch_scc1 .LBB34_23
; %bb.20:
	s_mov_b64 s[2:3], 0
	v_mov_b32_e32 v6, s12
	v_mov_b32_e32 v4, s7
.LBB34_21:                              ; =>This Inner Loop Header: Depth=1
	v_add_u32_e32 v7, v4, v6
	v_lshrrev_b32_e32 v7, 1, v7
	global_load_ubyte v8, v7, s[8:9]
	v_add_u32_e32 v9, 1, v7
	s_waitcnt vmcnt(0)
	v_and_b32_e32 v8, s18, v8
	v_cmp_gt_i16_sdwa s[4:5], sext(v8), sext(v3) src0_sel:BYTE_0 src1_sel:BYTE_0
	v_cndmask_b32_e64 v10, 0, 1, s[4:5]
	v_cmp_le_i16_sdwa s[4:5], sext(v3), sext(v8) src0_sel:BYTE_0 src1_sel:BYTE_0
	v_cndmask_b32_e64 v8, 0, 1, s[4:5]
	v_cndmask_b32_e64 v8, v8, v10, s[0:1]
	v_and_b32_e32 v8, 1, v8
	v_cmp_eq_u32_e32 vcc, 1, v8
	v_cndmask_b32_e32 v6, v7, v6, vcc
	v_cndmask_b32_e32 v4, v4, v9, vcc
	v_cmp_ge_u32_e32 vcc, v4, v6
	s_or_b64 s[2:3], vcc, s[2:3]
	s_andn2_b64 exec, exec, s[2:3]
	s_cbranch_execnz .LBB34_21
; %bb.22:
	s_or_b64 exec, exec, s[2:3]
.LBB34_23:
	v_add_u32_e32 v3, v4, v0
	v_mov_b32_e32 v4, 0
	global_store_byte v3, v5, s[10:11]
	v_lshlrev_b64 v[3:4], 3, v[3:4]
	v_mov_b32_e32 v0, s15
	v_add_co_u32_e32 v3, vcc, s14, v3
	v_addc_co_u32_e32 v4, vcc, v0, v4, vcc
	global_store_dwordx2 v[3:4], v[1:2], off
.LBB34_24:
	s_endpgm
	.section	.rodata,"a",@progbits
	.p2align	6, 0x0
	.amdhsa_kernel _ZN7rocprim17ROCPRIM_304000_NS6detail33device_block_merge_oddeven_kernelINS1_37wrapped_merge_sort_block_merge_configINS0_14default_configEaN2at4cuda3cub6detail10OpaqueTypeILi8EEEEEPaSC_PSA_SD_jNS1_19radix_merge_compareILb1ELb1EaNS0_19identity_decomposerEEEEEvT0_T1_T2_T3_T4_SL_T5_
		.amdhsa_group_segment_fixed_size 0
		.amdhsa_private_segment_fixed_size 0
		.amdhsa_kernarg_size 44
		.amdhsa_user_sgpr_count 6
		.amdhsa_user_sgpr_private_segment_buffer 1
		.amdhsa_user_sgpr_dispatch_ptr 0
		.amdhsa_user_sgpr_queue_ptr 0
		.amdhsa_user_sgpr_kernarg_segment_ptr 1
		.amdhsa_user_sgpr_dispatch_id 0
		.amdhsa_user_sgpr_flat_scratch_init 0
		.amdhsa_user_sgpr_private_segment_size 0
		.amdhsa_uses_dynamic_stack 0
		.amdhsa_system_sgpr_private_segment_wavefront_offset 0
		.amdhsa_system_sgpr_workgroup_id_x 1
		.amdhsa_system_sgpr_workgroup_id_y 0
		.amdhsa_system_sgpr_workgroup_id_z 0
		.amdhsa_system_sgpr_workgroup_info 0
		.amdhsa_system_vgpr_workitem_id 0
		.amdhsa_next_free_vgpr 11
		.amdhsa_next_free_sgpr 24
		.amdhsa_reserve_vcc 1
		.amdhsa_reserve_flat_scratch 0
		.amdhsa_float_round_mode_32 0
		.amdhsa_float_round_mode_16_64 0
		.amdhsa_float_denorm_mode_32 3
		.amdhsa_float_denorm_mode_16_64 3
		.amdhsa_dx10_clamp 1
		.amdhsa_ieee_mode 1
		.amdhsa_fp16_overflow 0
		.amdhsa_exception_fp_ieee_invalid_op 0
		.amdhsa_exception_fp_denorm_src 0
		.amdhsa_exception_fp_ieee_div_zero 0
		.amdhsa_exception_fp_ieee_overflow 0
		.amdhsa_exception_fp_ieee_underflow 0
		.amdhsa_exception_fp_ieee_inexact 0
		.amdhsa_exception_int_div_zero 0
	.end_amdhsa_kernel
	.section	.text._ZN7rocprim17ROCPRIM_304000_NS6detail33device_block_merge_oddeven_kernelINS1_37wrapped_merge_sort_block_merge_configINS0_14default_configEaN2at4cuda3cub6detail10OpaqueTypeILi8EEEEEPaSC_PSA_SD_jNS1_19radix_merge_compareILb1ELb1EaNS0_19identity_decomposerEEEEEvT0_T1_T2_T3_T4_SL_T5_,"axG",@progbits,_ZN7rocprim17ROCPRIM_304000_NS6detail33device_block_merge_oddeven_kernelINS1_37wrapped_merge_sort_block_merge_configINS0_14default_configEaN2at4cuda3cub6detail10OpaqueTypeILi8EEEEEPaSC_PSA_SD_jNS1_19radix_merge_compareILb1ELb1EaNS0_19identity_decomposerEEEEEvT0_T1_T2_T3_T4_SL_T5_,comdat
.Lfunc_end34:
	.size	_ZN7rocprim17ROCPRIM_304000_NS6detail33device_block_merge_oddeven_kernelINS1_37wrapped_merge_sort_block_merge_configINS0_14default_configEaN2at4cuda3cub6detail10OpaqueTypeILi8EEEEEPaSC_PSA_SD_jNS1_19radix_merge_compareILb1ELb1EaNS0_19identity_decomposerEEEEEvT0_T1_T2_T3_T4_SL_T5_, .Lfunc_end34-_ZN7rocprim17ROCPRIM_304000_NS6detail33device_block_merge_oddeven_kernelINS1_37wrapped_merge_sort_block_merge_configINS0_14default_configEaN2at4cuda3cub6detail10OpaqueTypeILi8EEEEEPaSC_PSA_SD_jNS1_19radix_merge_compareILb1ELb1EaNS0_19identity_decomposerEEEEEvT0_T1_T2_T3_T4_SL_T5_
                                        ; -- End function
	.set _ZN7rocprim17ROCPRIM_304000_NS6detail33device_block_merge_oddeven_kernelINS1_37wrapped_merge_sort_block_merge_configINS0_14default_configEaN2at4cuda3cub6detail10OpaqueTypeILi8EEEEEPaSC_PSA_SD_jNS1_19radix_merge_compareILb1ELb1EaNS0_19identity_decomposerEEEEEvT0_T1_T2_T3_T4_SL_T5_.num_vgpr, 11
	.set _ZN7rocprim17ROCPRIM_304000_NS6detail33device_block_merge_oddeven_kernelINS1_37wrapped_merge_sort_block_merge_configINS0_14default_configEaN2at4cuda3cub6detail10OpaqueTypeILi8EEEEEPaSC_PSA_SD_jNS1_19radix_merge_compareILb1ELb1EaNS0_19identity_decomposerEEEEEvT0_T1_T2_T3_T4_SL_T5_.num_agpr, 0
	.set _ZN7rocprim17ROCPRIM_304000_NS6detail33device_block_merge_oddeven_kernelINS1_37wrapped_merge_sort_block_merge_configINS0_14default_configEaN2at4cuda3cub6detail10OpaqueTypeILi8EEEEEPaSC_PSA_SD_jNS1_19radix_merge_compareILb1ELb1EaNS0_19identity_decomposerEEEEEvT0_T1_T2_T3_T4_SL_T5_.numbered_sgpr, 24
	.set _ZN7rocprim17ROCPRIM_304000_NS6detail33device_block_merge_oddeven_kernelINS1_37wrapped_merge_sort_block_merge_configINS0_14default_configEaN2at4cuda3cub6detail10OpaqueTypeILi8EEEEEPaSC_PSA_SD_jNS1_19radix_merge_compareILb1ELb1EaNS0_19identity_decomposerEEEEEvT0_T1_T2_T3_T4_SL_T5_.num_named_barrier, 0
	.set _ZN7rocprim17ROCPRIM_304000_NS6detail33device_block_merge_oddeven_kernelINS1_37wrapped_merge_sort_block_merge_configINS0_14default_configEaN2at4cuda3cub6detail10OpaqueTypeILi8EEEEEPaSC_PSA_SD_jNS1_19radix_merge_compareILb1ELb1EaNS0_19identity_decomposerEEEEEvT0_T1_T2_T3_T4_SL_T5_.private_seg_size, 0
	.set _ZN7rocprim17ROCPRIM_304000_NS6detail33device_block_merge_oddeven_kernelINS1_37wrapped_merge_sort_block_merge_configINS0_14default_configEaN2at4cuda3cub6detail10OpaqueTypeILi8EEEEEPaSC_PSA_SD_jNS1_19radix_merge_compareILb1ELb1EaNS0_19identity_decomposerEEEEEvT0_T1_T2_T3_T4_SL_T5_.uses_vcc, 1
	.set _ZN7rocprim17ROCPRIM_304000_NS6detail33device_block_merge_oddeven_kernelINS1_37wrapped_merge_sort_block_merge_configINS0_14default_configEaN2at4cuda3cub6detail10OpaqueTypeILi8EEEEEPaSC_PSA_SD_jNS1_19radix_merge_compareILb1ELb1EaNS0_19identity_decomposerEEEEEvT0_T1_T2_T3_T4_SL_T5_.uses_flat_scratch, 0
	.set _ZN7rocprim17ROCPRIM_304000_NS6detail33device_block_merge_oddeven_kernelINS1_37wrapped_merge_sort_block_merge_configINS0_14default_configEaN2at4cuda3cub6detail10OpaqueTypeILi8EEEEEPaSC_PSA_SD_jNS1_19radix_merge_compareILb1ELb1EaNS0_19identity_decomposerEEEEEvT0_T1_T2_T3_T4_SL_T5_.has_dyn_sized_stack, 0
	.set _ZN7rocprim17ROCPRIM_304000_NS6detail33device_block_merge_oddeven_kernelINS1_37wrapped_merge_sort_block_merge_configINS0_14default_configEaN2at4cuda3cub6detail10OpaqueTypeILi8EEEEEPaSC_PSA_SD_jNS1_19radix_merge_compareILb1ELb1EaNS0_19identity_decomposerEEEEEvT0_T1_T2_T3_T4_SL_T5_.has_recursion, 0
	.set _ZN7rocprim17ROCPRIM_304000_NS6detail33device_block_merge_oddeven_kernelINS1_37wrapped_merge_sort_block_merge_configINS0_14default_configEaN2at4cuda3cub6detail10OpaqueTypeILi8EEEEEPaSC_PSA_SD_jNS1_19radix_merge_compareILb1ELb1EaNS0_19identity_decomposerEEEEEvT0_T1_T2_T3_T4_SL_T5_.has_indirect_call, 0
	.section	.AMDGPU.csdata,"",@progbits
; Kernel info:
; codeLenInByte = 732
; TotalNumSgprs: 28
; NumVgprs: 11
; ScratchSize: 0
; MemoryBound: 0
; FloatMode: 240
; IeeeMode: 1
; LDSByteSize: 0 bytes/workgroup (compile time only)
; SGPRBlocks: 3
; VGPRBlocks: 2
; NumSGPRsForWavesPerEU: 28
; NumVGPRsForWavesPerEU: 11
; Occupancy: 10
; WaveLimiterHint : 0
; COMPUTE_PGM_RSRC2:SCRATCH_EN: 0
; COMPUTE_PGM_RSRC2:USER_SGPR: 6
; COMPUTE_PGM_RSRC2:TRAP_HANDLER: 0
; COMPUTE_PGM_RSRC2:TGID_X_EN: 1
; COMPUTE_PGM_RSRC2:TGID_Y_EN: 0
; COMPUTE_PGM_RSRC2:TGID_Z_EN: 0
; COMPUTE_PGM_RSRC2:TIDIG_COMP_CNT: 0
	.section	.text._ZN7rocprim17ROCPRIM_304000_NS6detail26onesweep_histograms_kernelINS1_34wrapped_radix_sort_onesweep_configINS0_14default_configEaN2at4cuda3cub6detail10OpaqueTypeILi8EEEEELb1EPKamNS0_19identity_decomposerEEEvT1_PT2_SG_SG_T3_jj,"axG",@progbits,_ZN7rocprim17ROCPRIM_304000_NS6detail26onesweep_histograms_kernelINS1_34wrapped_radix_sort_onesweep_configINS0_14default_configEaN2at4cuda3cub6detail10OpaqueTypeILi8EEEEELb1EPKamNS0_19identity_decomposerEEEvT1_PT2_SG_SG_T3_jj,comdat
	.protected	_ZN7rocprim17ROCPRIM_304000_NS6detail26onesweep_histograms_kernelINS1_34wrapped_radix_sort_onesweep_configINS0_14default_configEaN2at4cuda3cub6detail10OpaqueTypeILi8EEEEELb1EPKamNS0_19identity_decomposerEEEvT1_PT2_SG_SG_T3_jj ; -- Begin function _ZN7rocprim17ROCPRIM_304000_NS6detail26onesweep_histograms_kernelINS1_34wrapped_radix_sort_onesweep_configINS0_14default_configEaN2at4cuda3cub6detail10OpaqueTypeILi8EEEEELb1EPKamNS0_19identity_decomposerEEEvT1_PT2_SG_SG_T3_jj
	.globl	_ZN7rocprim17ROCPRIM_304000_NS6detail26onesweep_histograms_kernelINS1_34wrapped_radix_sort_onesweep_configINS0_14default_configEaN2at4cuda3cub6detail10OpaqueTypeILi8EEEEELb1EPKamNS0_19identity_decomposerEEEvT1_PT2_SG_SG_T3_jj
	.p2align	8
	.type	_ZN7rocprim17ROCPRIM_304000_NS6detail26onesweep_histograms_kernelINS1_34wrapped_radix_sort_onesweep_configINS0_14default_configEaN2at4cuda3cub6detail10OpaqueTypeILi8EEEEELb1EPKamNS0_19identity_decomposerEEEvT1_PT2_SG_SG_T3_jj,@function
_ZN7rocprim17ROCPRIM_304000_NS6detail26onesweep_histograms_kernelINS1_34wrapped_radix_sort_onesweep_configINS0_14default_configEaN2at4cuda3cub6detail10OpaqueTypeILi8EEEEELb1EPKamNS0_19identity_decomposerEEEvT1_PT2_SG_SG_T3_jj: ; @_ZN7rocprim17ROCPRIM_304000_NS6detail26onesweep_histograms_kernelINS1_34wrapped_radix_sort_onesweep_configINS0_14default_configEaN2at4cuda3cub6detail10OpaqueTypeILi8EEEEELb1EPKamNS0_19identity_decomposerEEEvT1_PT2_SG_SG_T3_jj
; %bb.0:
	s_load_dwordx8 s[12:19], s[4:5], 0x0
	s_load_dwordx2 s[20:21], s[4:5], 0x24
	v_mov_b32_e32 v1, s6
	v_mov_b32_e32 v2, 0
	s_mul_hi_u32 s0, s6, 0xc00
	s_mulk_i32 s6, 0xc00
	s_waitcnt lgkmcnt(0)
	v_cmp_le_u64_e32 vcc, s[18:19], v[1:2]
	s_add_u32 s12, s12, s6
	s_addc_u32 s13, s13, s0
	s_mov_b64 s[0:1], -1
	s_cbranch_vccz .LBB35_46
; %bb.1:
	s_mul_i32 s0, s18, 0xfffff400
	s_add_i32 s16, s0, s16
	v_mov_b32_e32 v1, s13
	v_add_co_u32_e32 v3, vcc, s12, v0
	v_addc_co_u32_e32 v4, vcc, 0, v1, vcc
	v_cmp_gt_u32_e64 s[6:7], s16, v0
	v_mov_b32_e32 v8, 0
	v_mov_b32_e32 v6, 0
	;; [unrolled: 1-line block ×4, first 2 shown]
	s_and_saveexec_b64 s[0:1], s[6:7]
	s_cbranch_execz .LBB35_3
; %bb.2:
	global_load_ubyte v8, v[3:4], off
	v_mov_b32_e32 v6, 0
	v_mov_b32_e32 v5, 0
	;; [unrolled: 1-line block ×3, first 2 shown]
.LBB35_3:
	s_or_b64 exec, exec, s[0:1]
	v_or_b32_e32 v7, 0x200, v0
	v_cmp_gt_u32_e64 s[0:1], s16, v7
	v_mov_b32_e32 v7, v2
	s_and_saveexec_b64 s[2:3], s[0:1]
	s_cbranch_execz .LBB35_5
; %bb.4:
	global_load_ubyte v7, v[3:4], off offset:512
.LBB35_5:
	s_or_b64 exec, exec, s[2:3]
	v_or_b32_e32 v9, 0x400, v0
	v_cmp_gt_u32_e64 s[2:3], s16, v9
	s_and_saveexec_b64 s[4:5], s[2:3]
	s_cbranch_execz .LBB35_7
; %bb.6:
	global_load_ubyte v2, v[3:4], off offset:1024
.LBB35_7:
	s_or_b64 exec, exec, s[4:5]
	v_or_b32_e32 v9, 0x600, v0
	v_cmp_gt_u32_e64 s[4:5], s16, v9
	;; [unrolled: 8-line block ×4, first 2 shown]
	s_and_saveexec_b64 s[16:17], s[10:11]
	s_cbranch_execz .LBB35_13
; %bb.12:
	global_load_ubyte v1, v[3:4], off offset:2560
.LBB35_13:
	s_or_b64 exec, exec, s[16:17]
	v_or_b32_e32 v3, 0xfffffe00, v0
	v_lshlrev_b32_e32 v4, 2, v0
	s_mov_b64 s[16:17], 0
	v_mov_b32_e32 v9, 0
.LBB35_14:                              ; =>This Inner Loop Header: Depth=1
	v_add_co_u32_e32 v3, vcc, 0x200, v3
	s_xor_b64 s[18:19], vcc, -1
	s_and_b64 s[18:19], exec, s[18:19]
	ds_write_b32 v4, v9
	s_or_b64 s[16:17], s[18:19], s[16:17]
	v_add_u32_e32 v4, 0x800, v4
	s_andn2_b64 exec, exec, s[16:17]
	s_cbranch_execnz .LBB35_14
; %bb.15:
	s_or_b64 exec, exec, s[16:17]
	s_cmp_gt_u32 s21, s20
	s_cselect_b64 s[16:17], -1, 0
	s_cmp_le_u32 s21, s20
	s_waitcnt vmcnt(0) lgkmcnt(0)
	s_barrier
	s_cbranch_scc1 .LBB35_40
; %bb.16:
	v_and_b32_e32 v3, 3, v0
	v_lshlrev_b32_e32 v3, 2, v3
	s_sub_i32 s22, s21, s20
	v_xor_b32_e32 v4, 0x7f, v8
	v_mov_b32_e32 v8, 1
	s_mov_b32 s23, s22
	v_mov_b32_e32 v9, v3
	s_mov_b32 s24, s20
	s_branch .LBB35_18
.LBB35_17:                              ;   in Loop: Header=BB35_18 Depth=1
	s_or_b64 exec, exec, s[18:19]
	s_add_i32 s24, s24, 8
	s_add_i32 s23, s23, -8
	s_cmp_ge_u32 s24, s21
	v_add_u32_e32 v9, 0x1000, v9
	s_cbranch_scc1 .LBB35_20
.LBB35_18:                              ; =>This Inner Loop Header: Depth=1
	s_and_saveexec_b64 s[18:19], s[6:7]
	s_cbranch_execz .LBB35_17
; %bb.19:                               ;   in Loop: Header=BB35_18 Depth=1
	s_min_u32 s25, s23, 8
	v_lshrrev_b32_sdwa v10, s24, v4 dst_sel:DWORD dst_unused:UNUSED_PAD src0_sel:DWORD src1_sel:BYTE_0
	v_bfe_u32 v10, v10, 0, s25
	v_lshl_add_u32 v10, v10, 4, v9
	ds_add_u32 v10, v8
	s_branch .LBB35_17
.LBB35_20:
	v_xor_b32_e32 v4, 0x7f, v7
	v_mov_b32_e32 v7, 1
	s_mov_b32 s18, s22
	v_mov_b32_e32 v8, v3
	s_mov_b32 s19, s20
	s_branch .LBB35_22
.LBB35_21:                              ;   in Loop: Header=BB35_22 Depth=1
	s_or_b64 exec, exec, s[6:7]
	s_add_i32 s19, s19, 8
	s_add_i32 s18, s18, -8
	s_cmp_lt_u32 s19, s21
	v_add_u32_e32 v8, 0x1000, v8
	s_cbranch_scc0 .LBB35_24
.LBB35_22:                              ; =>This Inner Loop Header: Depth=1
	s_and_saveexec_b64 s[6:7], s[0:1]
	s_cbranch_execz .LBB35_21
; %bb.23:                               ;   in Loop: Header=BB35_22 Depth=1
	s_min_u32 s23, s18, 8
	v_lshrrev_b32_sdwa v9, s19, v4 dst_sel:DWORD dst_unused:UNUSED_PAD src0_sel:DWORD src1_sel:BYTE_0
	v_bfe_u32 v9, v9, 0, s23
	v_lshl_add_u32 v9, v9, 4, v8
	ds_add_u32 v9, v7
	s_branch .LBB35_21
.LBB35_24:
	v_xor_b32_e32 v2, 0x7f, v2
	v_mov_b32_e32 v4, 1
	s_mov_b32 s6, s22
	v_mov_b32_e32 v7, v3
	s_mov_b32 s7, s20
	s_branch .LBB35_26
.LBB35_25:                              ;   in Loop: Header=BB35_26 Depth=1
	s_or_b64 exec, exec, s[0:1]
	s_add_i32 s7, s7, 8
	s_add_i32 s6, s6, -8
	s_cmp_lt_u32 s7, s21
	v_add_u32_e32 v7, 0x1000, v7
	s_cbranch_scc0 .LBB35_28
.LBB35_26:                              ; =>This Inner Loop Header: Depth=1
	s_and_saveexec_b64 s[0:1], s[2:3]
	s_cbranch_execz .LBB35_25
; %bb.27:                               ;   in Loop: Header=BB35_26 Depth=1
	s_min_u32 s18, s6, 8
	v_lshrrev_b32_sdwa v8, s7, v2 dst_sel:DWORD dst_unused:UNUSED_PAD src0_sel:DWORD src1_sel:BYTE_0
	v_bfe_u32 v8, v8, 0, s18
	v_lshl_add_u32 v8, v8, 4, v7
	ds_add_u32 v8, v4
	s_branch .LBB35_25
.LBB35_28:
	;; [unrolled: 24-line block ×4, first 2 shown]
	v_xor_b32_e32 v1, 0x7f, v1
	v_mov_b32_e32 v2, 1
	s_mov_b32 s2, s20
	s_branch .LBB35_38
.LBB35_37:                              ;   in Loop: Header=BB35_38 Depth=1
	s_or_b64 exec, exec, s[0:1]
	s_add_i32 s2, s2, 8
	s_add_i32 s22, s22, -8
	s_cmp_lt_u32 s2, s21
	v_add_u32_e32 v3, 0x1000, v3
	s_cbranch_scc0 .LBB35_40
.LBB35_38:                              ; =>This Inner Loop Header: Depth=1
	s_and_saveexec_b64 s[0:1], s[10:11]
	s_cbranch_execz .LBB35_37
; %bb.39:                               ;   in Loop: Header=BB35_38 Depth=1
	s_min_u32 s3, s22, 8
	v_lshrrev_b32_sdwa v4, s2, v1 dst_sel:DWORD dst_unused:UNUSED_PAD src0_sel:DWORD src1_sel:BYTE_0
	v_bfe_u32 v4, v4, 0, s3
	v_lshl_add_u32 v4, v4, 4, v3
	ds_add_u32 v4, v2
	s_branch .LBB35_37
.LBB35_40:
	s_and_b64 vcc, exec, s[16:17]
	s_waitcnt lgkmcnt(0)
	s_barrier
	s_cbranch_vccz .LBB35_45
; %bb.41:
	s_movk_i32 s0, 0x100
	v_cmp_gt_u32_e32 vcc, s0, v0
	v_lshlrev_b32_e32 v3, 4, v0
	v_mov_b32_e32 v2, 0
	v_mov_b32_e32 v1, v0
	s_mov_b32 s4, s20
	s_branch .LBB35_43
.LBB35_42:                              ;   in Loop: Header=BB35_43 Depth=1
	s_or_b64 exec, exec, s[2:3]
	s_add_i32 s4, s4, 8
	v_add_u32_e32 v1, 0x100, v1
	s_cmp_lt_u32 s4, s21
	v_add_u32_e32 v3, 0x1000, v3
	s_cbranch_scc0 .LBB35_45
.LBB35_43:                              ; =>This Inner Loop Header: Depth=1
	s_and_saveexec_b64 s[2:3], vcc
	s_cbranch_execz .LBB35_42
; %bb.44:                               ;   in Loop: Header=BB35_43 Depth=1
	ds_read2_b32 v[4:5], v3 offset1:1
	ds_read2_b32 v[6:7], v3 offset0:2 offset1:3
	v_lshlrev_b64 v[8:9], 3, v[1:2]
	v_mov_b32_e32 v10, s15
	s_waitcnt lgkmcnt(1)
	v_add_u32_e32 v4, v5, v4
	s_waitcnt lgkmcnt(0)
	v_add3_u32 v4, v4, v6, v7
	v_add_co_u32_e64 v6, s[0:1], s14, v8
	v_addc_co_u32_e64 v7, s[0:1], v10, v9, s[0:1]
	v_mov_b32_e32 v5, v2
	global_atomic_add_x2 v[6:7], v[4:5], off
	s_branch .LBB35_42
.LBB35_45:
	s_mov_b64 s[0:1], 0
.LBB35_46:
	s_and_b64 vcc, exec, s[0:1]
	s_cbranch_vccz .LBB35_74
; %bb.47:
	global_load_ubyte v3, v0, s[12:13]
	global_load_ubyte v4, v0, s[12:13] offset:512
	global_load_ubyte v5, v0, s[12:13] offset:1024
	;; [unrolled: 1-line block ×5, first 2 shown]
	s_cmp_eq_u32 s20, 0
	s_cselect_b64 s[0:1], -1, 0
	s_cmp_eq_u32 s21, 8
	s_cselect_b64 s[2:3], -1, 0
	s_and_b64 s[2:3], s[0:1], s[2:3]
	v_mov_b32_e32 v1, 0
	s_mov_b64 s[0:1], -1
	s_and_b64 vcc, exec, s[2:3]
	v_lshlrev_b32_e32 v9, 2, v0
	s_cbranch_vccnz .LBB35_69
; %bb.48:
	v_or_b32_e32 v2, 0xfffffe00, v0
	v_lshlrev_b32_e32 v10, 2, v0
	s_mov_b64 s[0:1], 0
.LBB35_49:                              ; =>This Inner Loop Header: Depth=1
	v_add_co_u32_e32 v2, vcc, 0x200, v2
	s_xor_b64 s[2:3], vcc, -1
	s_and_b64 s[2:3], exec, s[2:3]
	ds_write_b32 v10, v1
	s_or_b64 s[0:1], s[2:3], s[0:1]
	v_add_u32_e32 v10, 0x800, v10
	s_andn2_b64 exec, exec, s[0:1]
	s_cbranch_execnz .LBB35_49
; %bb.50:
	s_or_b64 exec, exec, s[0:1]
	s_cmp_gt_u32 s21, s20
	s_cselect_b64 s[0:1], -1, 0
	s_cmp_le_u32 s21, s20
	s_waitcnt vmcnt(0) lgkmcnt(0)
	s_barrier
	s_cbranch_scc1 .LBB35_63
; %bb.51:
	v_and_b32_e32 v1, 3, v0
	v_lshlrev_b32_e32 v1, 2, v1
	s_sub_i32 s2, s21, s20
	v_xor_b32_e32 v2, 0x7f, v3
	v_mov_b32_e32 v10, 1
	s_mov_b32 s3, s2
	v_mov_b32_e32 v11, v1
	s_mov_b32 s4, s20
.LBB35_52:                              ; =>This Inner Loop Header: Depth=1
	s_min_u32 s5, s3, 8
	v_lshrrev_b32_sdwa v12, s4, v2 dst_sel:DWORD dst_unused:UNUSED_PAD src0_sel:DWORD src1_sel:BYTE_0
	v_bfe_u32 v12, v12, 0, s5
	v_lshl_add_u32 v12, v12, 4, v11
	ds_add_u32 v12, v10
	s_add_i32 s4, s4, 8
	s_add_i32 s3, s3, -8
	s_cmp_ge_u32 s4, s21
	v_add_u32_e32 v11, 0x1000, v11
	s_cbranch_scc0 .LBB35_52
; %bb.53:
	v_xor_b32_e32 v2, 0x7f, v4
	v_mov_b32_e32 v10, 1
	s_mov_b32 s3, s2
	v_mov_b32_e32 v11, v1
	s_mov_b32 s4, s20
.LBB35_54:                              ; =>This Inner Loop Header: Depth=1
	s_min_u32 s5, s3, 8
	v_lshrrev_b32_sdwa v12, s4, v2 dst_sel:DWORD dst_unused:UNUSED_PAD src0_sel:DWORD src1_sel:BYTE_0
	v_bfe_u32 v12, v12, 0, s5
	v_lshl_add_u32 v12, v12, 4, v11
	ds_add_u32 v12, v10
	s_add_i32 s4, s4, 8
	s_add_i32 s3, s3, -8
	s_cmp_lt_u32 s4, s21
	v_add_u32_e32 v11, 0x1000, v11
	s_cbranch_scc1 .LBB35_54
; %bb.55:
	v_xor_b32_e32 v2, 0x7f, v5
	v_mov_b32_e32 v10, 1
	s_mov_b32 s3, s2
	v_mov_b32_e32 v11, v1
	s_mov_b32 s4, s20
.LBB35_56:                              ; =>This Inner Loop Header: Depth=1
	s_min_u32 s5, s3, 8
	v_lshrrev_b32_sdwa v12, s4, v2 dst_sel:DWORD dst_unused:UNUSED_PAD src0_sel:DWORD src1_sel:BYTE_0
	v_bfe_u32 v12, v12, 0, s5
	v_lshl_add_u32 v12, v12, 4, v11
	ds_add_u32 v12, v10
	s_add_i32 s4, s4, 8
	s_add_i32 s3, s3, -8
	s_cmp_lt_u32 s4, s21
	v_add_u32_e32 v11, 0x1000, v11
	s_cbranch_scc1 .LBB35_56
	;; [unrolled: 17-line block ×4, first 2 shown]
; %bb.61:
	v_xor_b32_e32 v2, 0x7f, v8
	v_mov_b32_e32 v10, 1
	s_mov_b32 s3, s20
.LBB35_62:                              ; =>This Inner Loop Header: Depth=1
	s_min_u32 s4, s2, 8
	v_lshrrev_b32_sdwa v11, s3, v2 dst_sel:DWORD dst_unused:UNUSED_PAD src0_sel:DWORD src1_sel:BYTE_0
	v_bfe_u32 v11, v11, 0, s4
	v_lshl_add_u32 v11, v11, 4, v1
	ds_add_u32 v11, v10
	s_add_i32 s3, s3, 8
	s_add_i32 s2, s2, -8
	s_cmp_lt_u32 s3, s21
	v_add_u32_e32 v1, 0x1000, v1
	s_cbranch_scc1 .LBB35_62
.LBB35_63:
	s_and_b64 vcc, exec, s[0:1]
	s_waitcnt lgkmcnt(0)
	s_barrier
	s_cbranch_vccz .LBB35_68
; %bb.64:
	s_movk_i32 s0, 0x100
	v_cmp_gt_u32_e32 vcc, s0, v0
	v_lshlrev_b32_e32 v10, 4, v0
	v_mov_b32_e32 v2, 0
	v_mov_b32_e32 v1, v0
	s_branch .LBB35_66
.LBB35_65:                              ;   in Loop: Header=BB35_66 Depth=1
	s_or_b64 exec, exec, s[2:3]
	s_add_i32 s20, s20, 8
	v_add_u32_e32 v1, 0x100, v1
	s_cmp_ge_u32 s20, s21
	v_add_u32_e32 v10, 0x1000, v10
	s_cbranch_scc1 .LBB35_68
.LBB35_66:                              ; =>This Inner Loop Header: Depth=1
	s_and_saveexec_b64 s[2:3], vcc
	s_cbranch_execz .LBB35_65
; %bb.67:                               ;   in Loop: Header=BB35_66 Depth=1
	ds_read2_b32 v[11:12], v10 offset1:1
	ds_read2_b32 v[13:14], v10 offset0:2 offset1:3
	v_lshlrev_b64 v[15:16], 3, v[1:2]
	v_mov_b32_e32 v17, s15
	s_waitcnt lgkmcnt(1)
	v_add_u32_e32 v11, v12, v11
	s_waitcnt lgkmcnt(0)
	v_add3_u32 v11, v11, v13, v14
	v_add_co_u32_e64 v13, s[0:1], s14, v15
	v_addc_co_u32_e64 v14, s[0:1], v17, v16, s[0:1]
	v_mov_b32_e32 v12, v2
	global_atomic_add_x2 v[13:14], v[11:12], off
	s_branch .LBB35_65
.LBB35_68:
	s_mov_b64 s[0:1], 0
.LBB35_69:
	s_and_b64 vcc, exec, s[0:1]
	s_cbranch_vccz .LBB35_74
; %bb.70:
	v_or_b32_e32 v1, 0xfffffe00, v0
	s_mov_b64 s[0:1], 0
	v_mov_b32_e32 v2, 0
.LBB35_71:                              ; =>This Inner Loop Header: Depth=1
	v_add_co_u32_e32 v1, vcc, 0x200, v1
	s_xor_b64 s[2:3], vcc, -1
	s_and_b64 s[2:3], exec, s[2:3]
	ds_write_b32 v9, v2
	s_or_b64 s[0:1], s[2:3], s[0:1]
	v_add_u32_e32 v9, 0x800, v9
	s_andn2_b64 exec, exec, s[0:1]
	s_cbranch_execnz .LBB35_71
; %bb.72:
	s_or_b64 exec, exec, s[0:1]
	s_waitcnt vmcnt(5)
	v_xor_b32_e32 v1, 0x7f, v3
	s_waitcnt vmcnt(3)
	v_xor_b32_e32 v3, 0x7f, v5
	;; [unrolled: 2-line block ×3, first 2 shown]
	v_and_b32_e32 v7, 3, v0
	v_and_b32_e32 v1, 0xff, v1
	v_lshlrev_b32_e32 v7, 2, v7
	v_xor_b32_e32 v2, 0x7f, v4
	v_xor_b32_e32 v4, 0x7f, v6
	s_waitcnt vmcnt(0)
	v_xor_b32_e32 v6, 0x7f, v8
	v_lshl_or_b32 v1, v1, 4, v7
	v_mov_b32_e32 v8, 1
	s_waitcnt lgkmcnt(0)
	s_barrier
	ds_add_u32 v1, v8
	v_and_b32_e32 v1, 0xff, v2
	v_lshl_or_b32 v1, v1, 4, v7
	ds_add_u32 v1, v8
	v_and_b32_e32 v1, 0xff, v3
	v_lshl_or_b32 v1, v1, 4, v7
	;; [unrolled: 3-line block ×5, first 2 shown]
	ds_add_u32 v1, v8
	s_movk_i32 s0, 0x100
	v_cmp_gt_u32_e32 vcc, s0, v0
	s_waitcnt lgkmcnt(0)
	s_barrier
	s_and_saveexec_b64 s[0:1], vcc
	s_cbranch_execz .LBB35_74
; %bb.73:
	v_lshlrev_b32_e32 v3, 4, v0
	ds_read2_b32 v[1:2], v3 offset1:1
	ds_read2_b32 v[3:4], v3 offset0:2 offset1:3
	v_lshlrev_b32_e32 v5, 3, v0
	s_waitcnt lgkmcnt(1)
	v_add_u32_e32 v0, v2, v1
	s_waitcnt lgkmcnt(0)
	v_add3_u32 v0, v0, v3, v4
	v_mov_b32_e32 v1, 0
	global_atomic_add_x2 v5, v[0:1], s[14:15]
.LBB35_74:
	s_endpgm
	.section	.rodata,"a",@progbits
	.p2align	6, 0x0
	.amdhsa_kernel _ZN7rocprim17ROCPRIM_304000_NS6detail26onesweep_histograms_kernelINS1_34wrapped_radix_sort_onesweep_configINS0_14default_configEaN2at4cuda3cub6detail10OpaqueTypeILi8EEEEELb1EPKamNS0_19identity_decomposerEEEvT1_PT2_SG_SG_T3_jj
		.amdhsa_group_segment_fixed_size 4096
		.amdhsa_private_segment_fixed_size 0
		.amdhsa_kernarg_size 44
		.amdhsa_user_sgpr_count 6
		.amdhsa_user_sgpr_private_segment_buffer 1
		.amdhsa_user_sgpr_dispatch_ptr 0
		.amdhsa_user_sgpr_queue_ptr 0
		.amdhsa_user_sgpr_kernarg_segment_ptr 1
		.amdhsa_user_sgpr_dispatch_id 0
		.amdhsa_user_sgpr_flat_scratch_init 0
		.amdhsa_user_sgpr_private_segment_size 0
		.amdhsa_uses_dynamic_stack 0
		.amdhsa_system_sgpr_private_segment_wavefront_offset 0
		.amdhsa_system_sgpr_workgroup_id_x 1
		.amdhsa_system_sgpr_workgroup_id_y 0
		.amdhsa_system_sgpr_workgroup_id_z 0
		.amdhsa_system_sgpr_workgroup_info 0
		.amdhsa_system_vgpr_workitem_id 0
		.amdhsa_next_free_vgpr 18
		.amdhsa_next_free_sgpr 26
		.amdhsa_reserve_vcc 1
		.amdhsa_reserve_flat_scratch 0
		.amdhsa_float_round_mode_32 0
		.amdhsa_float_round_mode_16_64 0
		.amdhsa_float_denorm_mode_32 3
		.amdhsa_float_denorm_mode_16_64 3
		.amdhsa_dx10_clamp 1
		.amdhsa_ieee_mode 1
		.amdhsa_fp16_overflow 0
		.amdhsa_exception_fp_ieee_invalid_op 0
		.amdhsa_exception_fp_denorm_src 0
		.amdhsa_exception_fp_ieee_div_zero 0
		.amdhsa_exception_fp_ieee_overflow 0
		.amdhsa_exception_fp_ieee_underflow 0
		.amdhsa_exception_fp_ieee_inexact 0
		.amdhsa_exception_int_div_zero 0
	.end_amdhsa_kernel
	.section	.text._ZN7rocprim17ROCPRIM_304000_NS6detail26onesweep_histograms_kernelINS1_34wrapped_radix_sort_onesweep_configINS0_14default_configEaN2at4cuda3cub6detail10OpaqueTypeILi8EEEEELb1EPKamNS0_19identity_decomposerEEEvT1_PT2_SG_SG_T3_jj,"axG",@progbits,_ZN7rocprim17ROCPRIM_304000_NS6detail26onesweep_histograms_kernelINS1_34wrapped_radix_sort_onesweep_configINS0_14default_configEaN2at4cuda3cub6detail10OpaqueTypeILi8EEEEELb1EPKamNS0_19identity_decomposerEEEvT1_PT2_SG_SG_T3_jj,comdat
.Lfunc_end35:
	.size	_ZN7rocprim17ROCPRIM_304000_NS6detail26onesweep_histograms_kernelINS1_34wrapped_radix_sort_onesweep_configINS0_14default_configEaN2at4cuda3cub6detail10OpaqueTypeILi8EEEEELb1EPKamNS0_19identity_decomposerEEEvT1_PT2_SG_SG_T3_jj, .Lfunc_end35-_ZN7rocprim17ROCPRIM_304000_NS6detail26onesweep_histograms_kernelINS1_34wrapped_radix_sort_onesweep_configINS0_14default_configEaN2at4cuda3cub6detail10OpaqueTypeILi8EEEEELb1EPKamNS0_19identity_decomposerEEEvT1_PT2_SG_SG_T3_jj
                                        ; -- End function
	.set _ZN7rocprim17ROCPRIM_304000_NS6detail26onesweep_histograms_kernelINS1_34wrapped_radix_sort_onesweep_configINS0_14default_configEaN2at4cuda3cub6detail10OpaqueTypeILi8EEEEELb1EPKamNS0_19identity_decomposerEEEvT1_PT2_SG_SG_T3_jj.num_vgpr, 18
	.set _ZN7rocprim17ROCPRIM_304000_NS6detail26onesweep_histograms_kernelINS1_34wrapped_radix_sort_onesweep_configINS0_14default_configEaN2at4cuda3cub6detail10OpaqueTypeILi8EEEEELb1EPKamNS0_19identity_decomposerEEEvT1_PT2_SG_SG_T3_jj.num_agpr, 0
	.set _ZN7rocprim17ROCPRIM_304000_NS6detail26onesweep_histograms_kernelINS1_34wrapped_radix_sort_onesweep_configINS0_14default_configEaN2at4cuda3cub6detail10OpaqueTypeILi8EEEEELb1EPKamNS0_19identity_decomposerEEEvT1_PT2_SG_SG_T3_jj.numbered_sgpr, 26
	.set _ZN7rocprim17ROCPRIM_304000_NS6detail26onesweep_histograms_kernelINS1_34wrapped_radix_sort_onesweep_configINS0_14default_configEaN2at4cuda3cub6detail10OpaqueTypeILi8EEEEELb1EPKamNS0_19identity_decomposerEEEvT1_PT2_SG_SG_T3_jj.num_named_barrier, 0
	.set _ZN7rocprim17ROCPRIM_304000_NS6detail26onesweep_histograms_kernelINS1_34wrapped_radix_sort_onesweep_configINS0_14default_configEaN2at4cuda3cub6detail10OpaqueTypeILi8EEEEELb1EPKamNS0_19identity_decomposerEEEvT1_PT2_SG_SG_T3_jj.private_seg_size, 0
	.set _ZN7rocprim17ROCPRIM_304000_NS6detail26onesweep_histograms_kernelINS1_34wrapped_radix_sort_onesweep_configINS0_14default_configEaN2at4cuda3cub6detail10OpaqueTypeILi8EEEEELb1EPKamNS0_19identity_decomposerEEEvT1_PT2_SG_SG_T3_jj.uses_vcc, 1
	.set _ZN7rocprim17ROCPRIM_304000_NS6detail26onesweep_histograms_kernelINS1_34wrapped_radix_sort_onesweep_configINS0_14default_configEaN2at4cuda3cub6detail10OpaqueTypeILi8EEEEELb1EPKamNS0_19identity_decomposerEEEvT1_PT2_SG_SG_T3_jj.uses_flat_scratch, 0
	.set _ZN7rocprim17ROCPRIM_304000_NS6detail26onesweep_histograms_kernelINS1_34wrapped_radix_sort_onesweep_configINS0_14default_configEaN2at4cuda3cub6detail10OpaqueTypeILi8EEEEELb1EPKamNS0_19identity_decomposerEEEvT1_PT2_SG_SG_T3_jj.has_dyn_sized_stack, 0
	.set _ZN7rocprim17ROCPRIM_304000_NS6detail26onesweep_histograms_kernelINS1_34wrapped_radix_sort_onesweep_configINS0_14default_configEaN2at4cuda3cub6detail10OpaqueTypeILi8EEEEELb1EPKamNS0_19identity_decomposerEEEvT1_PT2_SG_SG_T3_jj.has_recursion, 0
	.set _ZN7rocprim17ROCPRIM_304000_NS6detail26onesweep_histograms_kernelINS1_34wrapped_radix_sort_onesweep_configINS0_14default_configEaN2at4cuda3cub6detail10OpaqueTypeILi8EEEEELb1EPKamNS0_19identity_decomposerEEEvT1_PT2_SG_SG_T3_jj.has_indirect_call, 0
	.section	.AMDGPU.csdata,"",@progbits
; Kernel info:
; codeLenInByte = 2452
; TotalNumSgprs: 30
; NumVgprs: 18
; ScratchSize: 0
; MemoryBound: 0
; FloatMode: 240
; IeeeMode: 1
; LDSByteSize: 4096 bytes/workgroup (compile time only)
; SGPRBlocks: 3
; VGPRBlocks: 4
; NumSGPRsForWavesPerEU: 30
; NumVGPRsForWavesPerEU: 18
; Occupancy: 10
; WaveLimiterHint : 1
; COMPUTE_PGM_RSRC2:SCRATCH_EN: 0
; COMPUTE_PGM_RSRC2:USER_SGPR: 6
; COMPUTE_PGM_RSRC2:TRAP_HANDLER: 0
; COMPUTE_PGM_RSRC2:TGID_X_EN: 1
; COMPUTE_PGM_RSRC2:TGID_Y_EN: 0
; COMPUTE_PGM_RSRC2:TGID_Z_EN: 0
; COMPUTE_PGM_RSRC2:TIDIG_COMP_CNT: 0
	.section	.text._ZN7rocprim17ROCPRIM_304000_NS6detail31onesweep_scan_histograms_kernelINS1_34wrapped_radix_sort_onesweep_configINS0_14default_configEaN2at4cuda3cub6detail10OpaqueTypeILi8EEEEEmEEvPT0_,"axG",@progbits,_ZN7rocprim17ROCPRIM_304000_NS6detail31onesweep_scan_histograms_kernelINS1_34wrapped_radix_sort_onesweep_configINS0_14default_configEaN2at4cuda3cub6detail10OpaqueTypeILi8EEEEEmEEvPT0_,comdat
	.protected	_ZN7rocprim17ROCPRIM_304000_NS6detail31onesweep_scan_histograms_kernelINS1_34wrapped_radix_sort_onesweep_configINS0_14default_configEaN2at4cuda3cub6detail10OpaqueTypeILi8EEEEEmEEvPT0_ ; -- Begin function _ZN7rocprim17ROCPRIM_304000_NS6detail31onesweep_scan_histograms_kernelINS1_34wrapped_radix_sort_onesweep_configINS0_14default_configEaN2at4cuda3cub6detail10OpaqueTypeILi8EEEEEmEEvPT0_
	.globl	_ZN7rocprim17ROCPRIM_304000_NS6detail31onesweep_scan_histograms_kernelINS1_34wrapped_radix_sort_onesweep_configINS0_14default_configEaN2at4cuda3cub6detail10OpaqueTypeILi8EEEEEmEEvPT0_
	.p2align	8
	.type	_ZN7rocprim17ROCPRIM_304000_NS6detail31onesweep_scan_histograms_kernelINS1_34wrapped_radix_sort_onesweep_configINS0_14default_configEaN2at4cuda3cub6detail10OpaqueTypeILi8EEEEEmEEvPT0_,@function
_ZN7rocprim17ROCPRIM_304000_NS6detail31onesweep_scan_histograms_kernelINS1_34wrapped_radix_sort_onesweep_configINS0_14default_configEaN2at4cuda3cub6detail10OpaqueTypeILi8EEEEEmEEvPT0_: ; @_ZN7rocprim17ROCPRIM_304000_NS6detail31onesweep_scan_histograms_kernelINS1_34wrapped_radix_sort_onesweep_configINS0_14default_configEaN2at4cuda3cub6detail10OpaqueTypeILi8EEEEEmEEvPT0_
; %bb.0:
	s_load_dwordx2 s[0:1], s[4:5], 0x0
	s_lshl_b32 s2, s6, 8
	s_mov_b32 s3, 0
	s_lshl_b64 s[2:3], s[2:3], 3
	v_lshlrev_b32_e32 v5, 3, v0
	s_waitcnt lgkmcnt(0)
	s_add_u32 s2, s0, s2
	s_movk_i32 s0, 0x100
	s_addc_u32 s3, s1, s3
	v_cmp_gt_u32_e32 vcc, s0, v0
                                        ; implicit-def: $vgpr1_vgpr2
	s_and_saveexec_b64 s[0:1], vcc
	s_cbranch_execz .LBB36_2
; %bb.1:
	global_load_dwordx2 v[1:2], v5, s[2:3]
.LBB36_2:
	s_or_b64 exec, exec, s[0:1]
	v_mbcnt_lo_u32_b32 v3, -1, 0
	v_mbcnt_hi_u32_b32 v6, -1, v3
	v_and_b32_e32 v4, 15, v6
	s_waitcnt vmcnt(0)
	v_mov_b32_dpp v8, v1 row_shr:1 row_mask:0xf bank_mask:0xf
	v_mov_b32_dpp v7, v2 row_shr:1 row_mask:0xf bank_mask:0xf
	v_cmp_ne_u32_e64 s[0:1], 0, v4
	v_mov_b32_e32 v3, v1
	s_and_saveexec_b64 s[4:5], s[0:1]
; %bb.3:
	v_add_co_u32_e64 v3, s[0:1], v1, v8
	v_addc_co_u32_e64 v2, s[0:1], 0, v2, s[0:1]
	v_add_co_u32_e64 v1, s[0:1], 0, v3
	v_addc_co_u32_e64 v2, s[0:1], v7, v2, s[0:1]
; %bb.4:
	s_or_b64 exec, exec, s[4:5]
	v_mov_b32_dpp v8, v3 row_shr:2 row_mask:0xf bank_mask:0xf
	v_mov_b32_dpp v7, v2 row_shr:2 row_mask:0xf bank_mask:0xf
	v_cmp_lt_u32_e64 s[0:1], 1, v4
	s_and_saveexec_b64 s[4:5], s[0:1]
; %bb.5:
	v_add_co_u32_e64 v3, s[0:1], v1, v8
	v_addc_co_u32_e64 v2, s[0:1], 0, v2, s[0:1]
	v_add_co_u32_e64 v1, s[0:1], 0, v3
	v_addc_co_u32_e64 v2, s[0:1], v7, v2, s[0:1]
; %bb.6:
	s_or_b64 exec, exec, s[4:5]
	v_mov_b32_dpp v8, v3 row_shr:4 row_mask:0xf bank_mask:0xf
	v_mov_b32_dpp v7, v2 row_shr:4 row_mask:0xf bank_mask:0xf
	v_cmp_lt_u32_e64 s[0:1], 3, v4
	;; [unrolled: 11-line block ×3, first 2 shown]
	s_and_saveexec_b64 s[4:5], s[0:1]
; %bb.9:
	v_add_co_u32_e64 v3, s[0:1], v1, v8
	v_addc_co_u32_e64 v2, s[0:1], 0, v2, s[0:1]
	v_add_co_u32_e64 v1, s[0:1], 0, v3
	v_addc_co_u32_e64 v2, s[0:1], v7, v2, s[0:1]
; %bb.10:
	s_or_b64 exec, exec, s[4:5]
	v_and_b32_e32 v8, 16, v6
	v_mov_b32_dpp v7, v3 row_bcast:15 row_mask:0xf bank_mask:0xf
	v_mov_b32_dpp v4, v2 row_bcast:15 row_mask:0xf bank_mask:0xf
	v_cmp_ne_u32_e64 s[0:1], 0, v8
	s_and_saveexec_b64 s[4:5], s[0:1]
; %bb.11:
	v_add_co_u32_e64 v3, s[0:1], v1, v7
	v_addc_co_u32_e64 v2, s[0:1], 0, v2, s[0:1]
	v_add_co_u32_e64 v1, s[0:1], 0, v3
	v_addc_co_u32_e64 v2, s[0:1], v4, v2, s[0:1]
; %bb.12:
	s_or_b64 exec, exec, s[4:5]
	v_mov_b32_dpp v3, v3 row_bcast:31 row_mask:0xf bank_mask:0xf
	v_add_co_u32_e64 v3, s[0:1], v1, v3
	v_addc_co_u32_e64 v7, s[0:1], 0, v2, s[0:1]
	v_mov_b32_dpp v4, v2 row_bcast:31 row_mask:0xf bank_mask:0xf
	v_add_co_u32_e64 v3, s[0:1], 0, v3
	v_addc_co_u32_e64 v4, s[0:1], v7, v4, s[0:1]
	v_cmp_lt_u32_e64 s[0:1], 31, v6
	v_cndmask_b32_e64 v1, v1, v3, s[0:1]
	v_or_b32_e32 v3, 63, v0
	v_cndmask_b32_e64 v2, v2, v4, s[0:1]
	v_lshrrev_b32_e32 v7, 6, v0
	v_cmp_eq_u32_e64 s[0:1], v0, v3
	s_and_saveexec_b64 s[4:5], s[0:1]
; %bb.13:
	v_lshlrev_b32_e32 v3, 3, v7
	ds_write_b64 v3, v[1:2]
; %bb.14:
	s_or_b64 exec, exec, s[4:5]
	v_cmp_gt_u32_e64 s[0:1], 8, v0
	s_waitcnt lgkmcnt(0)
	s_barrier
	s_and_saveexec_b64 s[4:5], s[0:1]
	s_cbranch_execz .LBB36_20
; %bb.15:
	ds_read_b64 v[3:4], v5
	v_and_b32_e32 v8, 7, v6
	v_cmp_ne_u32_e64 s[0:1], 0, v8
	s_waitcnt lgkmcnt(0)
	v_mov_b32_dpp v11, v3 row_shr:1 row_mask:0xf bank_mask:0xf
	v_mov_b32_dpp v10, v4 row_shr:1 row_mask:0xf bank_mask:0xf
	v_mov_b32_e32 v9, v3
	s_and_saveexec_b64 s[6:7], s[0:1]
; %bb.16:
	v_add_co_u32_e64 v9, s[0:1], v3, v11
	v_addc_co_u32_e64 v4, s[0:1], 0, v4, s[0:1]
	v_add_co_u32_e64 v3, s[0:1], 0, v9
	v_addc_co_u32_e64 v4, s[0:1], v10, v4, s[0:1]
; %bb.17:
	s_or_b64 exec, exec, s[6:7]
	v_mov_b32_dpp v11, v9 row_shr:2 row_mask:0xf bank_mask:0xf
	v_mov_b32_dpp v10, v4 row_shr:2 row_mask:0xf bank_mask:0xf
	v_cmp_lt_u32_e64 s[0:1], 1, v8
	s_and_saveexec_b64 s[6:7], s[0:1]
; %bb.18:
	v_add_co_u32_e64 v9, s[0:1], v3, v11
	v_addc_co_u32_e64 v4, s[0:1], 0, v4, s[0:1]
	v_add_co_u32_e64 v3, s[0:1], 0, v9
	v_addc_co_u32_e64 v4, s[0:1], v10, v4, s[0:1]
; %bb.19:
	s_or_b64 exec, exec, s[6:7]
	v_mov_b32_dpp v9, v9 row_shr:4 row_mask:0xf bank_mask:0xf
	v_cmp_lt_u32_e64 s[0:1], 3, v8
	v_mov_b32_dpp v10, v4 row_shr:4 row_mask:0xf bank_mask:0xf
	v_cndmask_b32_e64 v9, 0, v9, s[0:1]
	v_cndmask_b32_e64 v8, 0, v10, s[0:1]
	v_add_co_u32_e64 v3, s[0:1], v9, v3
	v_addc_co_u32_e64 v4, s[0:1], v8, v4, s[0:1]
	ds_write_b64 v5, v[3:4]
.LBB36_20:
	s_or_b64 exec, exec, s[4:5]
	v_mov_b32_e32 v3, 0
	v_mov_b32_e32 v4, 0
	v_cmp_lt_u32_e64 s[0:1], 63, v0
	s_waitcnt lgkmcnt(0)
	s_barrier
	s_and_saveexec_b64 s[4:5], s[0:1]
; %bb.21:
	v_lshl_add_u32 v0, v7, 3, -8
	ds_read_b64 v[3:4], v0
; %bb.22:
	s_or_b64 exec, exec, s[4:5]
	s_waitcnt lgkmcnt(0)
	v_add_co_u32_e64 v0, s[0:1], v3, v1
	v_addc_co_u32_e64 v1, s[0:1], v4, v2, s[0:1]
	v_add_u32_e32 v2, -1, v6
	v_and_b32_e32 v7, 64, v6
	v_cmp_lt_i32_e64 s[0:1], v2, v7
	v_cndmask_b32_e64 v2, v2, v6, s[0:1]
	v_lshlrev_b32_e32 v2, 2, v2
	ds_bpermute_b32 v0, v2, v0
	ds_bpermute_b32 v1, v2, v1
	s_and_saveexec_b64 s[0:1], vcc
	s_cbranch_execz .LBB36_24
; %bb.23:
	v_cmp_eq_u32_e32 vcc, 0, v6
	s_waitcnt lgkmcnt(0)
	v_cndmask_b32_e32 v1, v1, v4, vcc
	v_cndmask_b32_e32 v0, v0, v3, vcc
	global_store_dwordx2 v5, v[0:1], s[2:3]
.LBB36_24:
	s_endpgm
	.section	.rodata,"a",@progbits
	.p2align	6, 0x0
	.amdhsa_kernel _ZN7rocprim17ROCPRIM_304000_NS6detail31onesweep_scan_histograms_kernelINS1_34wrapped_radix_sort_onesweep_configINS0_14default_configEaN2at4cuda3cub6detail10OpaqueTypeILi8EEEEEmEEvPT0_
		.amdhsa_group_segment_fixed_size 64
		.amdhsa_private_segment_fixed_size 0
		.amdhsa_kernarg_size 8
		.amdhsa_user_sgpr_count 6
		.amdhsa_user_sgpr_private_segment_buffer 1
		.amdhsa_user_sgpr_dispatch_ptr 0
		.amdhsa_user_sgpr_queue_ptr 0
		.amdhsa_user_sgpr_kernarg_segment_ptr 1
		.amdhsa_user_sgpr_dispatch_id 0
		.amdhsa_user_sgpr_flat_scratch_init 0
		.amdhsa_user_sgpr_private_segment_size 0
		.amdhsa_uses_dynamic_stack 0
		.amdhsa_system_sgpr_private_segment_wavefront_offset 0
		.amdhsa_system_sgpr_workgroup_id_x 1
		.amdhsa_system_sgpr_workgroup_id_y 0
		.amdhsa_system_sgpr_workgroup_id_z 0
		.amdhsa_system_sgpr_workgroup_info 0
		.amdhsa_system_vgpr_workitem_id 0
		.amdhsa_next_free_vgpr 12
		.amdhsa_next_free_sgpr 8
		.amdhsa_reserve_vcc 1
		.amdhsa_reserve_flat_scratch 0
		.amdhsa_float_round_mode_32 0
		.amdhsa_float_round_mode_16_64 0
		.amdhsa_float_denorm_mode_32 3
		.amdhsa_float_denorm_mode_16_64 3
		.amdhsa_dx10_clamp 1
		.amdhsa_ieee_mode 1
		.amdhsa_fp16_overflow 0
		.amdhsa_exception_fp_ieee_invalid_op 0
		.amdhsa_exception_fp_denorm_src 0
		.amdhsa_exception_fp_ieee_div_zero 0
		.amdhsa_exception_fp_ieee_overflow 0
		.amdhsa_exception_fp_ieee_underflow 0
		.amdhsa_exception_fp_ieee_inexact 0
		.amdhsa_exception_int_div_zero 0
	.end_amdhsa_kernel
	.section	.text._ZN7rocprim17ROCPRIM_304000_NS6detail31onesweep_scan_histograms_kernelINS1_34wrapped_radix_sort_onesweep_configINS0_14default_configEaN2at4cuda3cub6detail10OpaqueTypeILi8EEEEEmEEvPT0_,"axG",@progbits,_ZN7rocprim17ROCPRIM_304000_NS6detail31onesweep_scan_histograms_kernelINS1_34wrapped_radix_sort_onesweep_configINS0_14default_configEaN2at4cuda3cub6detail10OpaqueTypeILi8EEEEEmEEvPT0_,comdat
.Lfunc_end36:
	.size	_ZN7rocprim17ROCPRIM_304000_NS6detail31onesweep_scan_histograms_kernelINS1_34wrapped_radix_sort_onesweep_configINS0_14default_configEaN2at4cuda3cub6detail10OpaqueTypeILi8EEEEEmEEvPT0_, .Lfunc_end36-_ZN7rocprim17ROCPRIM_304000_NS6detail31onesweep_scan_histograms_kernelINS1_34wrapped_radix_sort_onesweep_configINS0_14default_configEaN2at4cuda3cub6detail10OpaqueTypeILi8EEEEEmEEvPT0_
                                        ; -- End function
	.set _ZN7rocprim17ROCPRIM_304000_NS6detail31onesweep_scan_histograms_kernelINS1_34wrapped_radix_sort_onesweep_configINS0_14default_configEaN2at4cuda3cub6detail10OpaqueTypeILi8EEEEEmEEvPT0_.num_vgpr, 12
	.set _ZN7rocprim17ROCPRIM_304000_NS6detail31onesweep_scan_histograms_kernelINS1_34wrapped_radix_sort_onesweep_configINS0_14default_configEaN2at4cuda3cub6detail10OpaqueTypeILi8EEEEEmEEvPT0_.num_agpr, 0
	.set _ZN7rocprim17ROCPRIM_304000_NS6detail31onesweep_scan_histograms_kernelINS1_34wrapped_radix_sort_onesweep_configINS0_14default_configEaN2at4cuda3cub6detail10OpaqueTypeILi8EEEEEmEEvPT0_.numbered_sgpr, 8
	.set _ZN7rocprim17ROCPRIM_304000_NS6detail31onesweep_scan_histograms_kernelINS1_34wrapped_radix_sort_onesweep_configINS0_14default_configEaN2at4cuda3cub6detail10OpaqueTypeILi8EEEEEmEEvPT0_.num_named_barrier, 0
	.set _ZN7rocprim17ROCPRIM_304000_NS6detail31onesweep_scan_histograms_kernelINS1_34wrapped_radix_sort_onesweep_configINS0_14default_configEaN2at4cuda3cub6detail10OpaqueTypeILi8EEEEEmEEvPT0_.private_seg_size, 0
	.set _ZN7rocprim17ROCPRIM_304000_NS6detail31onesweep_scan_histograms_kernelINS1_34wrapped_radix_sort_onesweep_configINS0_14default_configEaN2at4cuda3cub6detail10OpaqueTypeILi8EEEEEmEEvPT0_.uses_vcc, 1
	.set _ZN7rocprim17ROCPRIM_304000_NS6detail31onesweep_scan_histograms_kernelINS1_34wrapped_radix_sort_onesweep_configINS0_14default_configEaN2at4cuda3cub6detail10OpaqueTypeILi8EEEEEmEEvPT0_.uses_flat_scratch, 0
	.set _ZN7rocprim17ROCPRIM_304000_NS6detail31onesweep_scan_histograms_kernelINS1_34wrapped_radix_sort_onesweep_configINS0_14default_configEaN2at4cuda3cub6detail10OpaqueTypeILi8EEEEEmEEvPT0_.has_dyn_sized_stack, 0
	.set _ZN7rocprim17ROCPRIM_304000_NS6detail31onesweep_scan_histograms_kernelINS1_34wrapped_radix_sort_onesweep_configINS0_14default_configEaN2at4cuda3cub6detail10OpaqueTypeILi8EEEEEmEEvPT0_.has_recursion, 0
	.set _ZN7rocprim17ROCPRIM_304000_NS6detail31onesweep_scan_histograms_kernelINS1_34wrapped_radix_sort_onesweep_configINS0_14default_configEaN2at4cuda3cub6detail10OpaqueTypeILi8EEEEEmEEvPT0_.has_indirect_call, 0
	.section	.AMDGPU.csdata,"",@progbits
; Kernel info:
; codeLenInByte = 912
; TotalNumSgprs: 12
; NumVgprs: 12
; ScratchSize: 0
; MemoryBound: 0
; FloatMode: 240
; IeeeMode: 1
; LDSByteSize: 64 bytes/workgroup (compile time only)
; SGPRBlocks: 1
; VGPRBlocks: 2
; NumSGPRsForWavesPerEU: 12
; NumVGPRsForWavesPerEU: 12
; Occupancy: 10
; WaveLimiterHint : 0
; COMPUTE_PGM_RSRC2:SCRATCH_EN: 0
; COMPUTE_PGM_RSRC2:USER_SGPR: 6
; COMPUTE_PGM_RSRC2:TRAP_HANDLER: 0
; COMPUTE_PGM_RSRC2:TGID_X_EN: 1
; COMPUTE_PGM_RSRC2:TGID_Y_EN: 0
; COMPUTE_PGM_RSRC2:TGID_Z_EN: 0
; COMPUTE_PGM_RSRC2:TIDIG_COMP_CNT: 0
	.section	.text._ZN7rocprim17ROCPRIM_304000_NS6detail16transform_kernelINS1_24wrapped_transform_configINS0_14default_configEaEEaPKaPaNS0_8identityIaEEEEvT1_mT2_T3_,"axG",@progbits,_ZN7rocprim17ROCPRIM_304000_NS6detail16transform_kernelINS1_24wrapped_transform_configINS0_14default_configEaEEaPKaPaNS0_8identityIaEEEEvT1_mT2_T3_,comdat
	.protected	_ZN7rocprim17ROCPRIM_304000_NS6detail16transform_kernelINS1_24wrapped_transform_configINS0_14default_configEaEEaPKaPaNS0_8identityIaEEEEvT1_mT2_T3_ ; -- Begin function _ZN7rocprim17ROCPRIM_304000_NS6detail16transform_kernelINS1_24wrapped_transform_configINS0_14default_configEaEEaPKaPaNS0_8identityIaEEEEvT1_mT2_T3_
	.globl	_ZN7rocprim17ROCPRIM_304000_NS6detail16transform_kernelINS1_24wrapped_transform_configINS0_14default_configEaEEaPKaPaNS0_8identityIaEEEEvT1_mT2_T3_
	.p2align	8
	.type	_ZN7rocprim17ROCPRIM_304000_NS6detail16transform_kernelINS1_24wrapped_transform_configINS0_14default_configEaEEaPKaPaNS0_8identityIaEEEEvT1_mT2_T3_,@function
_ZN7rocprim17ROCPRIM_304000_NS6detail16transform_kernelINS1_24wrapped_transform_configINS0_14default_configEaEEaPKaPaNS0_8identityIaEEEEvT1_mT2_T3_: ; @_ZN7rocprim17ROCPRIM_304000_NS6detail16transform_kernelINS1_24wrapped_transform_configINS0_14default_configEaEEaPKaPaNS0_8identityIaEEEEvT1_mT2_T3_
; %bb.0:
	s_load_dword s7, s[4:5], 0x20
	s_load_dwordx4 s[0:3], s[4:5], 0x0
	s_load_dwordx2 s[34:35], s[4:5], 0x10
	s_lshl_b32 s33, s6, 10
	s_waitcnt lgkmcnt(0)
	s_add_i32 s7, s7, -1
	s_add_u32 s0, s0, s33
	s_addc_u32 s1, s1, 0
	v_mov_b32_e32 v2, s1
	v_add_co_u32_e32 v1, vcc, s0, v0
	s_cmp_lg_u32 s6, s7
	v_addc_co_u32_e32 v2, vcc, 0, v2, vcc
	s_cbranch_scc0 .LBB37_2
; %bb.1:
	global_load_ubyte v6, v[1:2], off
	global_load_ubyte v7, v[1:2], off offset:64
	global_load_ubyte v8, v[1:2], off offset:128
	;; [unrolled: 1-line block ×15, first 2 shown]
	s_add_u32 s3, s34, s33
	s_addc_u32 s4, s35, 0
	v_mov_b32_e32 v5, s4
	v_add_co_u32_e32 v4, vcc, s3, v0
	v_addc_co_u32_e32 v5, vcc, 0, v5, vcc
	s_mov_b64 s[36:37], -1
	s_waitcnt vmcnt(15)
	global_store_byte v[4:5], v6, off
	s_waitcnt vmcnt(15)
	global_store_byte v[4:5], v7, off offset:64
	s_waitcnt vmcnt(15)
	global_store_byte v[4:5], v8, off offset:128
	;; [unrolled: 2-line block ×14, first 2 shown]
	s_cbranch_execz .LBB37_3
	s_branch .LBB37_66
.LBB37_2:
	s_mov_b64 s[36:37], 0
                                        ; implicit-def: $vgpr3
.LBB37_3:
	s_sub_i32 s30, s2, s33
	v_cmp_gt_u32_e32 vcc, s30, v0
	v_mov_b32_e32 v20, 0
	v_mov_b32_e32 v21, 0
	;; [unrolled: 1-line block ×15, first 2 shown]
	s_and_saveexec_b64 s[0:1], vcc
	s_cbranch_execz .LBB37_5
; %bb.4:
	global_load_ubyte v21, v[1:2], off
	v_mov_b32_e32 v22, 0
	v_mov_b32_e32 v16, 0
	;; [unrolled: 1-line block ×13, first 2 shown]
.LBB37_5:
	s_or_b64 exec, exec, s[0:1]
	s_waitcnt vmcnt(15)
	v_or_b32_e32 v3, 64, v0
	v_cmp_gt_u32_e64 s[0:1], s30, v3
	v_mov_b32_e32 v23, v20
	s_and_saveexec_b64 s[2:3], s[0:1]
	s_cbranch_execz .LBB37_7
; %bb.6:
	global_load_ubyte v23, v[1:2], off offset:64
.LBB37_7:
	s_or_b64 exec, exec, s[2:3]
	v_or_b32_e32 v3, 0x80, v0
	v_cmp_gt_u32_e64 s[2:3], s30, v3
	s_and_saveexec_b64 s[4:5], s[2:3]
	s_cbranch_execz .LBB37_9
; %bb.8:
	global_load_ubyte v20, v[1:2], off offset:128
.LBB37_9:
	s_or_b64 exec, exec, s[4:5]
	v_or_b32_e32 v3, 0xc0, v0
	v_cmp_gt_u32_e64 s[4:5], s30, v3
	;; [unrolled: 8-line block ×14, first 2 shown]
	s_and_saveexec_b64 s[30:31], s[28:29]
	s_cbranch_execz .LBB37_35
; %bb.34:
	global_load_ubyte v11, v[1:2], off offset:960
.LBB37_35:
	s_or_b64 exec, exec, s[30:31]
	s_mov_b32 s30, 0xffff
	s_waitcnt vmcnt(0)
	v_and_b32_sdwa v1, s30, v21 dst_sel:DWORD dst_unused:UNUSED_PAD src0_sel:DWORD src1_sel:BYTE_0
	s_add_u32 s30, s34, s33
	s_addc_u32 s31, s35, 0
	v_cndmask_b32_e32 v5, 0, v1, vcc
	v_mov_b32_e32 v2, s31
	v_add_co_u32_e64 v1, s[30:31], s30, v0
	v_mov_b32_e32 v6, 0
	v_addc_co_u32_e64 v2, s[30:31], 0, v2, s[30:31]
	s_and_saveexec_b64 s[30:31], vcc
	s_cbranch_execz .LBB37_37
; %bb.36:
	global_store_byte v[1:2], v5, off
.LBB37_37:
	s_or_b64 exec, exec, s[30:31]
	s_mov_b32 s30, 0xc0c0004
	v_perm_b32 v3, v21, v23, s30
	v_perm_b32 v4, v20, v22, s30
	v_lshl_or_b32 v24, v4, 16, v3
	v_cndmask_b32_e64 v3, v5, v24, s[0:1]
	s_and_saveexec_b64 s[30:31], s[0:1]
	s_cbranch_execz .LBB37_39
; %bb.38:
	v_lshrrev_b32_e32 v4, 8, v3
	global_store_byte v[1:2], v4, off offset:64
.LBB37_39:
	s_or_b64 exec, exec, s[30:31]
	v_and_b32_e32 v4, 0xffffff00, v3
	v_or_b32_e32 v26, v5, v4
	v_mov_b32_e32 v4, 8
	s_mov_b64 vcc, s[2:3]
	v_lshrrev_b32_sdwa v25, v4, v3 dst_sel:BYTE_1 dst_unused:UNUSED_PAD src0_sel:DWORD src1_sel:DWORD
	v_lshrrev_b64 v[3:4], 24, 0
	v_lshrrev_b64 v[6:7], 24, v[5:6]
	v_cndmask_b32_sdwa v4, v26, v24, vcc dst_sel:DWORD dst_unused:UNUSED_PAD src0_sel:WORD_0 src1_sel:DWORD
	s_and_saveexec_b64 s[0:1], s[2:3]
	s_cbranch_execz .LBB37_41
; %bb.40:
	global_store_byte_d16_hi v[1:2], v4, off offset:128
.LBB37_41:
	s_or_b64 exec, exec, s[0:1]
	s_mov_b32 s0, 0xc0c0006
	v_or_b32_e32 v5, v5, v25
	v_perm_b32 v4, v4, v6, s0
	v_and_b32_e32 v5, 0xffff, v5
	s_mov_b32 s0, 0xc0c0004
	v_lshl_or_b32 v4, v4, 16, v5
	v_perm_b32 v5, v21, v23, s0
	v_perm_b32 v6, v20, v22, s0
	v_lshl_or_b32 v5, v6, 16, v5
	v_cndmask_b32_e64 v5, v4, v5, s[4:5]
	v_perm_b32 v4, v16, v17, s0
	v_perm_b32 v6, v18, v19, s0
	v_lshl_or_b32 v4, v6, 16, v4
	s_and_saveexec_b64 s[0:1], s[4:5]
	s_cbranch_execz .LBB37_43
; %bb.42:
	v_lshrrev_b32_e32 v5, 24, v5
	global_store_byte v[1:2], v5, off offset:192
.LBB37_43:
	s_or_b64 exec, exec, s[0:1]
	v_cndmask_b32_e64 v4, 0, v4, s[6:7]
	s_and_saveexec_b64 s[0:1], s[6:7]
	s_cbranch_execz .LBB37_45
; %bb.44:
	global_store_byte v[1:2], v4, off offset:256
.LBB37_45:
	s_or_b64 exec, exec, s[0:1]
	s_mov_b32 s0, 0xc0c0004
	v_perm_b32 v5, v16, v17, s0
	v_perm_b32 v7, v18, v19, s0
	v_and_b32_e32 v6, 0xff, v4
	v_lshl_or_b32 v7, v7, 16, v5
	v_cndmask_b32_e64 v20, v6, v7, s[8:9]
	v_lshrrev_b32_e32 v5, 8, v20
	s_and_saveexec_b64 s[0:1], s[8:9]
	s_cbranch_execz .LBB37_47
; %bb.46:
	global_store_byte v[1:2], v5, off offset:320
.LBB37_47:
	s_or_b64 exec, exec, s[0:1]
	v_and_b32_e32 v20, 0xffffff00, v20
	v_or_b32_e32 v6, v6, v20
	s_mov_b64 vcc, s[10:11]
	v_cndmask_b32_sdwa v6, v6, v7, vcc dst_sel:DWORD dst_unused:UNUSED_PAD src0_sel:WORD_0 src1_sel:DWORD
	s_and_saveexec_b64 s[0:1], s[10:11]
	s_cbranch_execz .LBB37_49
; %bb.48:
	global_store_byte_d16_hi v[1:2], v6, off offset:384
.LBB37_49:
	s_or_b64 exec, exec, s[0:1]
	s_mov_b32 s0, 0xc0c0004
	v_perm_b32 v4, v4, v5, s0
	s_mov_b32 s1, 0xff0000
	v_and_or_b32 v4, v6, s1, v4
	v_perm_b32 v5, v16, v17, s0
	v_perm_b32 v6, v18, v19, s0
	v_lshl_or_b32 v5, v6, 16, v5
	v_cndmask_b32_e64 v5, v4, v5, s[12:13]
	v_perm_b32 v4, v12, v13, s0
	v_perm_b32 v6, v14, v15, s0
	v_lshl_or_b32 v4, v6, 16, v4
	s_and_saveexec_b64 s[0:1], s[12:13]
	s_cbranch_execz .LBB37_51
; %bb.50:
	v_lshrrev_b32_e32 v5, 24, v5
	global_store_byte v[1:2], v5, off offset:448
.LBB37_51:
	s_or_b64 exec, exec, s[0:1]
	v_lshl_or_b32 v5, v3, 24, 0
	v_cndmask_b32_e64 v4, v5, v4, s[14:15]
	s_and_saveexec_b64 s[0:1], s[14:15]
	s_cbranch_execz .LBB37_53
; %bb.52:
	global_store_byte v[1:2], v4, off offset:512
.LBB37_53:
	s_or_b64 exec, exec, s[0:1]
	s_mov_b32 s0, 0xc0c0004
	s_mov_b32 s1, 0x40c0c00
	v_perm_b32 v6, v12, v13, s0
	v_perm_b32 v7, v14, v15, s0
	;; [unrolled: 1-line block ×3, first 2 shown]
	v_lshl_or_b32 v6, v7, 16, v6
	v_cndmask_b32_e64 v7, v5, v6, s[16:17]
	v_lshrrev_b32_e32 v5, 8, v7
	s_and_saveexec_b64 s[0:1], s[16:17]
	s_cbranch_execz .LBB37_55
; %bb.54:
	global_store_byte v[1:2], v5, off offset:576
.LBB37_55:
	s_or_b64 exec, exec, s[0:1]
	s_mov_b32 s0, 0xc0c0104
	v_perm_b32 v7, v4, v7, s0
	v_lshl_or_b32 v7, v3, 24, v7
	v_cndmask_b32_e64 v6, v7, v6, s[18:19]
	s_and_saveexec_b64 s[0:1], s[18:19]
	s_cbranch_execz .LBB37_57
; %bb.56:
	global_store_byte_d16_hi v[1:2], v6, off offset:640
.LBB37_57:
	s_or_b64 exec, exec, s[0:1]
	s_mov_b32 s0, 0xc0c0004
	s_mov_b32 s1, 0xc0c0006
	v_perm_b32 v4, v4, v5, s0
	v_perm_b32 v3, v6, v3, s1
	v_lshl_or_b32 v3, v3, 16, v4
	v_perm_b32 v4, v12, v13, s0
	v_perm_b32 v5, v14, v15, s0
	v_lshl_or_b32 v4, v5, 16, v4
	v_cndmask_b32_e64 v4, v3, v4, s[20:21]
	v_perm_b32 v3, v8, v9, s0
	v_perm_b32 v5, v10, v11, s0
	v_lshl_or_b32 v3, v5, 16, v3
	s_and_saveexec_b64 s[0:1], s[20:21]
	s_cbranch_execz .LBB37_59
; %bb.58:
	v_lshrrev_b32_e32 v4, 24, v4
	global_store_byte v[1:2], v4, off offset:704
.LBB37_59:
	s_or_b64 exec, exec, s[0:1]
	v_cndmask_b32_e64 v4, 0, v3, s[22:23]
	s_and_saveexec_b64 s[0:1], s[22:23]
	s_cbranch_execz .LBB37_61
; %bb.60:
	global_store_byte v[1:2], v4, off offset:768
.LBB37_61:
	s_or_b64 exec, exec, s[0:1]
	s_mov_b32 s0, 0xc0c0004
	v_perm_b32 v3, v8, v9, s0
	v_perm_b32 v5, v10, v11, s0
	v_lshl_or_b32 v3, v5, 16, v3
	s_mov_b64 vcc, s[24:25]
	v_cndmask_b32_sdwa v3, v4, v3, vcc dst_sel:DWORD dst_unused:UNUSED_PAD src0_sel:BYTE_0 src1_sel:DWORD
	v_lshrrev_b32_e32 v5, 8, v3
	s_and_saveexec_b64 s[0:1], s[24:25]
	s_cbranch_execnz .LBB37_69
; %bb.62:
	s_or_b64 exec, exec, s[0:1]
	s_and_saveexec_b64 s[0:1], s[26:27]
	s_cbranch_execnz .LBB37_70
.LBB37_63:
	s_or_b64 exec, exec, s[0:1]
                                        ; implicit-def: $vgpr3
	s_and_saveexec_b64 s[0:1], s[28:29]
.LBB37_64:
	s_mov_b32 s2, 0xc0c0004
	v_perm_b32 v1, v8, v9, s2
	v_perm_b32 v2, v10, v11, s2
	v_lshl_or_b32 v1, v2, 16, v1
	v_perm_b32 v2, v4, v5, s2
	v_cndmask_b32_e64 v1, v2, v1, s[28:29]
	v_lshrrev_b32_e32 v3, 24, v1
	s_or_b64 s[36:37], s[36:37], exec
.LBB37_65:
	s_or_b64 exec, exec, s[0:1]
.LBB37_66:
	s_and_saveexec_b64 s[0:1], s[36:37]
	s_cbranch_execnz .LBB37_68
; %bb.67:
	s_endpgm
.LBB37_68:
	s_add_u32 s0, s34, s33
	s_addc_u32 s1, s35, 0
	v_mov_b32_e32 v1, s1
	v_add_co_u32_e32 v0, vcc, s0, v0
	v_addc_co_u32_e32 v1, vcc, 0, v1, vcc
	s_waitcnt vmcnt(15)
	global_store_byte v[0:1], v3, off offset:960
	s_endpgm
.LBB37_69:
	global_store_byte v[1:2], v5, off offset:832
	s_or_b64 exec, exec, s[0:1]
	s_and_saveexec_b64 s[0:1], s[26:27]
	s_cbranch_execz .LBB37_63
.LBB37_70:
	s_mov_b32 s2, 0xc0c0004
	v_perm_b32 v3, v8, v9, s2
	v_perm_b32 v6, v10, v11, s2
	v_lshl_or_b32 v3, v6, 16, v3
	v_perm_b32 v6, v4, v5, s2
	v_cndmask_b32_e64 v3, v6, v3, s[26:27]
	global_store_byte_d16_hi v[1:2], v3, off offset:896
	s_or_b64 exec, exec, s[0:1]
                                        ; implicit-def: $vgpr3
	s_and_saveexec_b64 s[0:1], s[28:29]
	s_cbranch_execnz .LBB37_64
	s_branch .LBB37_65
	.section	.rodata,"a",@progbits
	.p2align	6, 0x0
	.amdhsa_kernel _ZN7rocprim17ROCPRIM_304000_NS6detail16transform_kernelINS1_24wrapped_transform_configINS0_14default_configEaEEaPKaPaNS0_8identityIaEEEEvT1_mT2_T3_
		.amdhsa_group_segment_fixed_size 0
		.amdhsa_private_segment_fixed_size 0
		.amdhsa_kernarg_size 288
		.amdhsa_user_sgpr_count 6
		.amdhsa_user_sgpr_private_segment_buffer 1
		.amdhsa_user_sgpr_dispatch_ptr 0
		.amdhsa_user_sgpr_queue_ptr 0
		.amdhsa_user_sgpr_kernarg_segment_ptr 1
		.amdhsa_user_sgpr_dispatch_id 0
		.amdhsa_user_sgpr_flat_scratch_init 0
		.amdhsa_user_sgpr_private_segment_size 0
		.amdhsa_uses_dynamic_stack 0
		.amdhsa_system_sgpr_private_segment_wavefront_offset 0
		.amdhsa_system_sgpr_workgroup_id_x 1
		.amdhsa_system_sgpr_workgroup_id_y 0
		.amdhsa_system_sgpr_workgroup_id_z 0
		.amdhsa_system_sgpr_workgroup_info 0
		.amdhsa_system_vgpr_workitem_id 0
		.amdhsa_next_free_vgpr 27
		.amdhsa_next_free_sgpr 38
		.amdhsa_reserve_vcc 1
		.amdhsa_reserve_flat_scratch 0
		.amdhsa_float_round_mode_32 0
		.amdhsa_float_round_mode_16_64 0
		.amdhsa_float_denorm_mode_32 3
		.amdhsa_float_denorm_mode_16_64 3
		.amdhsa_dx10_clamp 1
		.amdhsa_ieee_mode 1
		.amdhsa_fp16_overflow 0
		.amdhsa_exception_fp_ieee_invalid_op 0
		.amdhsa_exception_fp_denorm_src 0
		.amdhsa_exception_fp_ieee_div_zero 0
		.amdhsa_exception_fp_ieee_overflow 0
		.amdhsa_exception_fp_ieee_underflow 0
		.amdhsa_exception_fp_ieee_inexact 0
		.amdhsa_exception_int_div_zero 0
	.end_amdhsa_kernel
	.section	.text._ZN7rocprim17ROCPRIM_304000_NS6detail16transform_kernelINS1_24wrapped_transform_configINS0_14default_configEaEEaPKaPaNS0_8identityIaEEEEvT1_mT2_T3_,"axG",@progbits,_ZN7rocprim17ROCPRIM_304000_NS6detail16transform_kernelINS1_24wrapped_transform_configINS0_14default_configEaEEaPKaPaNS0_8identityIaEEEEvT1_mT2_T3_,comdat
.Lfunc_end37:
	.size	_ZN7rocprim17ROCPRIM_304000_NS6detail16transform_kernelINS1_24wrapped_transform_configINS0_14default_configEaEEaPKaPaNS0_8identityIaEEEEvT1_mT2_T3_, .Lfunc_end37-_ZN7rocprim17ROCPRIM_304000_NS6detail16transform_kernelINS1_24wrapped_transform_configINS0_14default_configEaEEaPKaPaNS0_8identityIaEEEEvT1_mT2_T3_
                                        ; -- End function
	.set _ZN7rocprim17ROCPRIM_304000_NS6detail16transform_kernelINS1_24wrapped_transform_configINS0_14default_configEaEEaPKaPaNS0_8identityIaEEEEvT1_mT2_T3_.num_vgpr, 27
	.set _ZN7rocprim17ROCPRIM_304000_NS6detail16transform_kernelINS1_24wrapped_transform_configINS0_14default_configEaEEaPKaPaNS0_8identityIaEEEEvT1_mT2_T3_.num_agpr, 0
	.set _ZN7rocprim17ROCPRIM_304000_NS6detail16transform_kernelINS1_24wrapped_transform_configINS0_14default_configEaEEaPKaPaNS0_8identityIaEEEEvT1_mT2_T3_.numbered_sgpr, 38
	.set _ZN7rocprim17ROCPRIM_304000_NS6detail16transform_kernelINS1_24wrapped_transform_configINS0_14default_configEaEEaPKaPaNS0_8identityIaEEEEvT1_mT2_T3_.num_named_barrier, 0
	.set _ZN7rocprim17ROCPRIM_304000_NS6detail16transform_kernelINS1_24wrapped_transform_configINS0_14default_configEaEEaPKaPaNS0_8identityIaEEEEvT1_mT2_T3_.private_seg_size, 0
	.set _ZN7rocprim17ROCPRIM_304000_NS6detail16transform_kernelINS1_24wrapped_transform_configINS0_14default_configEaEEaPKaPaNS0_8identityIaEEEEvT1_mT2_T3_.uses_vcc, 1
	.set _ZN7rocprim17ROCPRIM_304000_NS6detail16transform_kernelINS1_24wrapped_transform_configINS0_14default_configEaEEaPKaPaNS0_8identityIaEEEEvT1_mT2_T3_.uses_flat_scratch, 0
	.set _ZN7rocprim17ROCPRIM_304000_NS6detail16transform_kernelINS1_24wrapped_transform_configINS0_14default_configEaEEaPKaPaNS0_8identityIaEEEEvT1_mT2_T3_.has_dyn_sized_stack, 0
	.set _ZN7rocprim17ROCPRIM_304000_NS6detail16transform_kernelINS1_24wrapped_transform_configINS0_14default_configEaEEaPKaPaNS0_8identityIaEEEEvT1_mT2_T3_.has_recursion, 0
	.set _ZN7rocprim17ROCPRIM_304000_NS6detail16transform_kernelINS1_24wrapped_transform_configINS0_14default_configEaEEaPKaPaNS0_8identityIaEEEEvT1_mT2_T3_.has_indirect_call, 0
	.section	.AMDGPU.csdata,"",@progbits
; Kernel info:
; codeLenInByte = 2276
; TotalNumSgprs: 42
; NumVgprs: 27
; ScratchSize: 0
; MemoryBound: 0
; FloatMode: 240
; IeeeMode: 1
; LDSByteSize: 0 bytes/workgroup (compile time only)
; SGPRBlocks: 5
; VGPRBlocks: 6
; NumSGPRsForWavesPerEU: 42
; NumVGPRsForWavesPerEU: 27
; Occupancy: 9
; WaveLimiterHint : 0
; COMPUTE_PGM_RSRC2:SCRATCH_EN: 0
; COMPUTE_PGM_RSRC2:USER_SGPR: 6
; COMPUTE_PGM_RSRC2:TRAP_HANDLER: 0
; COMPUTE_PGM_RSRC2:TGID_X_EN: 1
; COMPUTE_PGM_RSRC2:TGID_Y_EN: 0
; COMPUTE_PGM_RSRC2:TGID_Z_EN: 0
; COMPUTE_PGM_RSRC2:TIDIG_COMP_CNT: 0
	.section	.text._ZN7rocprim17ROCPRIM_304000_NS6detail25onesweep_iteration_kernelINS1_34wrapped_radix_sort_onesweep_configINS0_14default_configEaN2at4cuda3cub6detail10OpaqueTypeILi8EEEEELb1EPKaPaPKSA_PSA_mNS0_19identity_decomposerEEEvT1_T2_T3_T4_jPT5_SO_PNS1_23onesweep_lookback_stateET6_jjj,"axG",@progbits,_ZN7rocprim17ROCPRIM_304000_NS6detail25onesweep_iteration_kernelINS1_34wrapped_radix_sort_onesweep_configINS0_14default_configEaN2at4cuda3cub6detail10OpaqueTypeILi8EEEEELb1EPKaPaPKSA_PSA_mNS0_19identity_decomposerEEEvT1_T2_T3_T4_jPT5_SO_PNS1_23onesweep_lookback_stateET6_jjj,comdat
	.protected	_ZN7rocprim17ROCPRIM_304000_NS6detail25onesweep_iteration_kernelINS1_34wrapped_radix_sort_onesweep_configINS0_14default_configEaN2at4cuda3cub6detail10OpaqueTypeILi8EEEEELb1EPKaPaPKSA_PSA_mNS0_19identity_decomposerEEEvT1_T2_T3_T4_jPT5_SO_PNS1_23onesweep_lookback_stateET6_jjj ; -- Begin function _ZN7rocprim17ROCPRIM_304000_NS6detail25onesweep_iteration_kernelINS1_34wrapped_radix_sort_onesweep_configINS0_14default_configEaN2at4cuda3cub6detail10OpaqueTypeILi8EEEEELb1EPKaPaPKSA_PSA_mNS0_19identity_decomposerEEEvT1_T2_T3_T4_jPT5_SO_PNS1_23onesweep_lookback_stateET6_jjj
	.globl	_ZN7rocprim17ROCPRIM_304000_NS6detail25onesweep_iteration_kernelINS1_34wrapped_radix_sort_onesweep_configINS0_14default_configEaN2at4cuda3cub6detail10OpaqueTypeILi8EEEEELb1EPKaPaPKSA_PSA_mNS0_19identity_decomposerEEEvT1_T2_T3_T4_jPT5_SO_PNS1_23onesweep_lookback_stateET6_jjj
	.p2align	8
	.type	_ZN7rocprim17ROCPRIM_304000_NS6detail25onesweep_iteration_kernelINS1_34wrapped_radix_sort_onesweep_configINS0_14default_configEaN2at4cuda3cub6detail10OpaqueTypeILi8EEEEELb1EPKaPaPKSA_PSA_mNS0_19identity_decomposerEEEvT1_T2_T3_T4_jPT5_SO_PNS1_23onesweep_lookback_stateET6_jjj,@function
_ZN7rocprim17ROCPRIM_304000_NS6detail25onesweep_iteration_kernelINS1_34wrapped_radix_sort_onesweep_configINS0_14default_configEaN2at4cuda3cub6detail10OpaqueTypeILi8EEEEELb1EPKaPaPKSA_PSA_mNS0_19identity_decomposerEEEvT1_T2_T3_T4_jPT5_SO_PNS1_23onesweep_lookback_stateET6_jjj: ; @_ZN7rocprim17ROCPRIM_304000_NS6detail25onesweep_iteration_kernelINS1_34wrapped_radix_sort_onesweep_configINS0_14default_configEaN2at4cuda3cub6detail10OpaqueTypeILi8EEEEELb1EPKaPaPKSA_PSA_mNS0_19identity_decomposerEEEvT1_T2_T3_T4_jPT5_SO_PNS1_23onesweep_lookback_stateET6_jjj
; %bb.0:
	s_load_dwordx4 s[48:51], s[4:5], 0x44
	s_load_dwordx8 s[36:43], s[4:5], 0x0
	s_load_dwordx4 s[44:47], s[4:5], 0x28
	s_load_dwordx2 s[34:35], s[4:5], 0x38
	s_mov_b64 s[0:1], -1
	s_waitcnt lgkmcnt(0)
	s_cmp_ge_u32 s6, s50
	s_mul_i32 s30, s6, 0xc00
	v_mbcnt_lo_u32_b32 v19, -1, 0
	s_cbranch_scc0 .LBB38_96
; %bb.1:
	s_load_dword s0, s[4:5], 0x20
	s_mul_i32 s33, s50, 0xfffff400
	v_mbcnt_hi_u32_b32 v12, -1, v19
	v_and_b32_e32 v7, 0x1c0, v0
	v_mul_u32_u24_e32 v11, 6, v7
	s_waitcnt lgkmcnt(0)
	s_add_i32 s33, s33, s0
	s_add_u32 s0, s36, s30
	s_addc_u32 s1, s37, 0
	v_mov_b32_e32 v3, s1
	v_add_co_u32_e32 v4, vcc, s0, v12
	v_addc_co_u32_e32 v5, vcc, 0, v3, vcc
	v_add_co_u32_e32 v3, vcc, v4, v11
	v_addc_co_u32_e32 v4, vcc, 0, v5, vcc
	v_or_b32_e32 v8, v12, v11
	s_mov_b32 s31, 0
	v_cmp_gt_u32_e32 vcc, s33, v8
	v_mov_b32_e32 v6, 0x80
	v_mov_b32_e32 v5, 0x80
	;; [unrolled: 1-line block ×6, first 2 shown]
	s_and_saveexec_b64 s[0:1], vcc
	s_cbranch_execz .LBB38_3
; %bb.2:
	global_load_ubyte v5, v[3:4], off
	v_mov_b32_e32 v6, 0x80
	v_mov_b32_e32 v13, 0x80
	;; [unrolled: 1-line block ×5, first 2 shown]
.LBB38_3:
	s_or_b64 exec, exec, s[0:1]
	v_add_u32_e32 v9, 64, v8
	v_cmp_gt_u32_e64 s[0:1], s33, v9
	s_and_saveexec_b64 s[2:3], s[0:1]
	s_cbranch_execz .LBB38_5
; %bb.4:
	global_load_ubyte v13, v[3:4], off offset:64
.LBB38_5:
	s_or_b64 exec, exec, s[2:3]
	v_add_u32_e32 v9, 0x80, v8
	v_cmp_gt_u32_e64 s[2:3], s33, v9
	s_and_saveexec_b64 s[8:9], s[2:3]
	s_cbranch_execz .LBB38_7
; %bb.6:
	global_load_ubyte v18, v[3:4], off offset:128
.LBB38_7:
	;; [unrolled: 8-line block ×5, first 2 shown]
	s_or_b64 exec, exec, s[12:13]
	s_load_dword s12, s[4:5], 0x5c
	s_load_dword s7, s[4:5], 0x50
	s_add_u32 s13, s4, 0x50
	s_addc_u32 s14, s5, 0
	v_mov_b32_e32 v3, 0
	s_waitcnt lgkmcnt(0)
	s_lshr_b32 s15, s12, 16
	s_cmp_lt_u32 s6, s7
	s_cselect_b32 s12, 12, 18
	s_add_u32 s12, s13, s12
	s_addc_u32 s13, s14, 0
	global_load_ushort v10, v3, s[12:13]
	s_waitcnt vmcnt(1)
	v_xor_b32_e32 v8, 0x7f, v5
	s_lshl_b32 s12, -1, s49
	v_lshrrev_b32_sdwa v4, s48, v8 dst_sel:DWORD dst_unused:UNUSED_PAD src0_sel:DWORD src1_sel:BYTE_0
	s_not_b32 s52, s12
	v_and_b32_e32 v15, s52, v4
	v_and_b32_e32 v16, 1, v15
	v_add_co_u32_e64 v21, s[12:13], -1, v16
	v_lshlrev_b32_e32 v4, 30, v15
	v_addc_co_u32_e64 v22, s[12:13], 0, -1, s[12:13]
	v_mad_u32_u24 v5, v2, s15, v1
	v_cmp_ne_u32_e64 s[12:13], 0, v16
	v_cmp_gt_i64_e64 s[14:15], 0, v[3:4]
	v_not_b32_e32 v16, v4
	v_lshlrev_b32_e32 v4, 29, v15
	v_xor_b32_e32 v22, s13, v22
	v_xor_b32_e32 v21, s12, v21
	v_ashrrev_i32_e32 v16, 31, v16
	v_cmp_gt_i64_e64 s[12:13], 0, v[3:4]
	v_not_b32_e32 v23, v4
	v_lshlrev_b32_e32 v4, 28, v15
	v_and_b32_e32 v22, exec_hi, v22
	v_and_b32_e32 v21, exec_lo, v21
	v_xor_b32_e32 v24, s15, v16
	v_xor_b32_e32 v16, s14, v16
	v_ashrrev_i32_e32 v23, 31, v23
	v_cmp_gt_i64_e64 s[14:15], 0, v[3:4]
	v_not_b32_e32 v25, v4
	v_lshlrev_b32_e32 v4, 27, v15
	v_and_b32_e32 v22, v22, v24
	v_and_b32_e32 v16, v21, v16
	v_xor_b32_e32 v21, s13, v23
	v_xor_b32_e32 v23, s12, v23
	v_ashrrev_i32_e32 v24, 31, v25
	v_cmp_gt_i64_e64 s[12:13], 0, v[3:4]
	v_not_b32_e32 v25, v4
	v_lshlrev_b32_e32 v4, 26, v15
	v_and_b32_e32 v21, v22, v21
	v_and_b32_e32 v16, v16, v23
	;; [unrolled: 8-line block ×3, first 2 shown]
	v_xor_b32_e32 v22, s13, v24
	v_xor_b32_e32 v23, s12, v24
	v_ashrrev_i32_e32 v24, 31, v25
	v_cmp_gt_i64_e64 s[12:13], 0, v[3:4]
	v_not_b32_e32 v25, v4
	v_mul_u32_u24_e32 v17, 36, v15
	v_lshlrev_b32_e32 v4, 24, v15
	v_and_b32_e32 v15, v21, v22
	v_and_b32_e32 v16, v16, v23
	v_xor_b32_e32 v21, s15, v24
	v_xor_b32_e32 v22, s14, v24
	v_ashrrev_i32_e32 v23, 31, v25
	v_and_b32_e32 v15, v15, v21
	v_and_b32_e32 v16, v16, v22
	v_xor_b32_e32 v21, s13, v23
	v_xor_b32_e32 v22, s12, v23
	v_and_b32_e32 v21, v15, v21
	v_and_b32_e32 v22, v16, v22
	v_cmp_gt_i64_e64 s[14:15], 0, v[3:4]
	v_not_b32_e32 v4, v4
	v_ashrrev_i32_e32 v4, 31, v4
	v_xor_b32_e32 v23, s15, v4
	v_xor_b32_e32 v4, s14, v4
	v_and_b32_e32 v4, v22, v4
	v_mul_u32_u24_e32 v9, 20, v0
	ds_write2_b32 v9, v3, v3 offset0:8 offset1:9
	ds_write2_b32 v9, v3, v3 offset0:10 offset1:11
	ds_write_b32 v9, v3 offset:48
	s_waitcnt vmcnt(0) lgkmcnt(0)
	s_barrier
	; wave barrier
	v_mad_u64_u32 v[15:16], s[12:13], v5, v10, v[0:1]
	v_and_b32_e32 v5, v21, v23
	v_cmp_ne_u64_e64 s[12:13], 0, v[4:5]
	v_lshrrev_b32_e32 v10, 4, v15
	v_and_b32_e32 v23, 0xffffffc, v10
	v_mbcnt_lo_u32_b32 v10, v4, 0
	v_mbcnt_hi_u32_b32 v10, v5, v10
	v_cmp_eq_u32_e64 s[14:15], 0, v10
	s_and_b64 s[14:15], s[12:13], s[14:15]
	v_add_u32_e32 v16, v23, v17
	s_and_saveexec_b64 s[12:13], s[14:15]
; %bb.14:
	v_bcnt_u32_b32 v4, v4, 0
	v_bcnt_u32_b32 v4, v5, v4
	ds_write_b32 v16, v4 offset:32
; %bb.15:
	s_or_b64 exec, exec, s[12:13]
	v_xor_b32_e32 v13, 0x7f, v13
	v_lshrrev_b32_sdwa v4, s48, v13 dst_sel:DWORD dst_unused:UNUSED_PAD src0_sel:DWORD src1_sel:BYTE_0
	v_and_b32_e32 v5, s52, v4
	v_mad_u32_u24 v4, v5, 36, v23
	; wave barrier
	ds_read_b32 v15, v4 offset:32
	v_and_b32_e32 v4, 1, v5
	v_add_co_u32_e64 v17, s[12:13], -1, v4
	v_addc_co_u32_e64 v22, s[12:13], 0, -1, s[12:13]
	v_cmp_ne_u32_e64 s[12:13], 0, v4
	v_xor_b32_e32 v4, s13, v22
	v_and_b32_e32 v22, exec_hi, v4
	v_lshlrev_b32_e32 v4, 30, v5
	v_xor_b32_e32 v17, s12, v17
	v_cmp_gt_i64_e64 s[12:13], 0, v[3:4]
	v_not_b32_e32 v4, v4
	v_ashrrev_i32_e32 v4, 31, v4
	v_and_b32_e32 v17, exec_lo, v17
	v_xor_b32_e32 v24, s13, v4
	v_xor_b32_e32 v4, s12, v4
	v_and_b32_e32 v17, v17, v4
	v_lshlrev_b32_e32 v4, 29, v5
	v_cmp_gt_i64_e64 s[12:13], 0, v[3:4]
	v_not_b32_e32 v4, v4
	v_ashrrev_i32_e32 v4, 31, v4
	v_and_b32_e32 v22, v22, v24
	v_xor_b32_e32 v24, s13, v4
	v_xor_b32_e32 v4, s12, v4
	v_and_b32_e32 v17, v17, v4
	v_lshlrev_b32_e32 v4, 28, v5
	v_cmp_gt_i64_e64 s[12:13], 0, v[3:4]
	v_not_b32_e32 v4, v4
	v_ashrrev_i32_e32 v4, 31, v4
	v_and_b32_e32 v22, v22, v24
	;; [unrolled: 8-line block ×5, first 2 shown]
	v_xor_b32_e32 v24, s13, v4
	v_xor_b32_e32 v4, s12, v4
	v_and_b32_e32 v17, v17, v4
	v_lshlrev_b32_e32 v4, 24, v5
	v_cmp_gt_i64_e64 s[12:13], 0, v[3:4]
	v_not_b32_e32 v3, v4
	v_ashrrev_i32_e32 v3, 31, v3
	v_xor_b32_e32 v4, s13, v3
	v_xor_b32_e32 v3, s12, v3
	v_and_b32_e32 v22, v22, v24
	v_and_b32_e32 v3, v17, v3
	v_mul_u32_u24_e32 v21, 36, v5
	v_and_b32_e32 v4, v22, v4
	v_mbcnt_lo_u32_b32 v5, v3, 0
	v_mbcnt_hi_u32_b32 v17, v4, v5
	v_cmp_ne_u64_e64 s[12:13], 0, v[3:4]
	v_cmp_eq_u32_e64 s[14:15], 0, v17
	s_and_b64 s[14:15], s[12:13], s[14:15]
	v_add_u32_e32 v22, v23, v21
	; wave barrier
	s_and_saveexec_b64 s[12:13], s[14:15]
	s_cbranch_execz .LBB38_17
; %bb.16:
	v_bcnt_u32_b32 v3, v3, 0
	v_bcnt_u32_b32 v3, v4, v3
	s_waitcnt lgkmcnt(0)
	v_add_u32_e32 v3, v15, v3
	ds_write_b32 v22, v3 offset:32
.LBB38_17:
	s_or_b64 exec, exec, s[12:13]
	v_xor_b32_e32 v18, 0x7f, v18
	v_lshrrev_b32_sdwa v3, s48, v18 dst_sel:DWORD dst_unused:UNUSED_PAD src0_sel:DWORD src1_sel:BYTE_0
	v_and_b32_e32 v5, s52, v3
	v_and_b32_e32 v4, 1, v5
	v_add_co_u32_e64 v24, s[12:13], -1, v4
	v_addc_co_u32_e64 v26, s[12:13], 0, -1, s[12:13]
	v_cmp_ne_u32_e64 s[12:13], 0, v4
	v_mad_u32_u24 v3, v5, 36, v23
	v_xor_b32_e32 v4, s13, v26
	; wave barrier
	ds_read_b32 v21, v3 offset:32
	v_mov_b32_e32 v3, 0
	v_and_b32_e32 v26, exec_hi, v4
	v_lshlrev_b32_e32 v4, 30, v5
	v_xor_b32_e32 v24, s12, v24
	v_cmp_gt_i64_e64 s[12:13], 0, v[3:4]
	v_not_b32_e32 v4, v4
	v_ashrrev_i32_e32 v4, 31, v4
	v_and_b32_e32 v24, exec_lo, v24
	v_xor_b32_e32 v27, s13, v4
	v_xor_b32_e32 v4, s12, v4
	v_and_b32_e32 v24, v24, v4
	v_lshlrev_b32_e32 v4, 29, v5
	v_cmp_gt_i64_e64 s[12:13], 0, v[3:4]
	v_not_b32_e32 v4, v4
	v_ashrrev_i32_e32 v4, 31, v4
	v_and_b32_e32 v26, v26, v27
	v_xor_b32_e32 v27, s13, v4
	v_xor_b32_e32 v4, s12, v4
	v_and_b32_e32 v24, v24, v4
	v_lshlrev_b32_e32 v4, 28, v5
	v_cmp_gt_i64_e64 s[12:13], 0, v[3:4]
	v_not_b32_e32 v4, v4
	v_ashrrev_i32_e32 v4, 31, v4
	v_and_b32_e32 v26, v26, v27
	v_xor_b32_e32 v27, s13, v4
	v_xor_b32_e32 v4, s12, v4
	v_and_b32_e32 v24, v24, v4
	v_lshlrev_b32_e32 v4, 27, v5
	v_cmp_gt_i64_e64 s[12:13], 0, v[3:4]
	v_not_b32_e32 v4, v4
	v_ashrrev_i32_e32 v4, 31, v4
	v_and_b32_e32 v26, v26, v27
	v_xor_b32_e32 v27, s13, v4
	v_xor_b32_e32 v4, s12, v4
	v_and_b32_e32 v24, v24, v4
	v_lshlrev_b32_e32 v4, 26, v5
	v_cmp_gt_i64_e64 s[12:13], 0, v[3:4]
	v_not_b32_e32 v4, v4
	v_ashrrev_i32_e32 v4, 31, v4
	v_and_b32_e32 v26, v26, v27
	v_xor_b32_e32 v27, s13, v4
	v_xor_b32_e32 v4, s12, v4
	v_and_b32_e32 v24, v24, v4
	v_lshlrev_b32_e32 v4, 25, v5
	v_cmp_gt_i64_e64 s[12:13], 0, v[3:4]
	v_not_b32_e32 v4, v4
	v_ashrrev_i32_e32 v4, 31, v4
	v_and_b32_e32 v26, v26, v27
	v_xor_b32_e32 v27, s13, v4
	v_xor_b32_e32 v4, s12, v4
	v_and_b32_e32 v24, v24, v4
	v_lshlrev_b32_e32 v4, 24, v5
	v_cmp_gt_i64_e64 s[12:13], 0, v[3:4]
	v_not_b32_e32 v4, v4
	v_ashrrev_i32_e32 v4, 31, v4
	v_mul_u32_u24_e32 v25, 36, v5
	v_xor_b32_e32 v5, s13, v4
	v_xor_b32_e32 v4, s12, v4
	v_and_b32_e32 v26, v26, v27
	v_and_b32_e32 v4, v24, v4
	;; [unrolled: 1-line block ×3, first 2 shown]
	v_mbcnt_lo_u32_b32 v24, v4, 0
	v_mbcnt_hi_u32_b32 v24, v5, v24
	v_cmp_ne_u64_e64 s[12:13], 0, v[4:5]
	v_cmp_eq_u32_e64 s[14:15], 0, v24
	s_and_b64 s[14:15], s[12:13], s[14:15]
	v_add_u32_e32 v27, v23, v25
	; wave barrier
	s_and_saveexec_b64 s[12:13], s[14:15]
	s_cbranch_execz .LBB38_19
; %bb.18:
	v_bcnt_u32_b32 v4, v4, 0
	v_bcnt_u32_b32 v4, v5, v4
	s_waitcnt lgkmcnt(0)
	v_add_u32_e32 v4, v21, v4
	ds_write_b32 v27, v4 offset:32
.LBB38_19:
	s_or_b64 exec, exec, s[12:13]
	v_xor_b32_e32 v25, 0x7f, v20
	v_lshrrev_b32_sdwa v4, s48, v25 dst_sel:DWORD dst_unused:UNUSED_PAD src0_sel:DWORD src1_sel:BYTE_0
	v_and_b32_e32 v5, s52, v4
	v_mad_u32_u24 v4, v5, 36, v23
	; wave barrier
	ds_read_b32 v26, v4 offset:32
	v_and_b32_e32 v4, 1, v5
	v_add_co_u32_e64 v28, s[12:13], -1, v4
	v_addc_co_u32_e64 v29, s[12:13], 0, -1, s[12:13]
	v_cmp_ne_u32_e64 s[12:13], 0, v4
	v_xor_b32_e32 v4, s13, v29
	v_and_b32_e32 v29, exec_hi, v4
	v_lshlrev_b32_e32 v4, 30, v5
	v_xor_b32_e32 v28, s12, v28
	v_cmp_gt_i64_e64 s[12:13], 0, v[3:4]
	v_not_b32_e32 v4, v4
	v_ashrrev_i32_e32 v4, 31, v4
	v_and_b32_e32 v28, exec_lo, v28
	v_xor_b32_e32 v30, s13, v4
	v_xor_b32_e32 v4, s12, v4
	v_and_b32_e32 v28, v28, v4
	v_lshlrev_b32_e32 v4, 29, v5
	v_cmp_gt_i64_e64 s[12:13], 0, v[3:4]
	v_not_b32_e32 v4, v4
	v_ashrrev_i32_e32 v4, 31, v4
	v_and_b32_e32 v29, v29, v30
	v_xor_b32_e32 v30, s13, v4
	v_xor_b32_e32 v4, s12, v4
	v_and_b32_e32 v28, v28, v4
	v_lshlrev_b32_e32 v4, 28, v5
	v_cmp_gt_i64_e64 s[12:13], 0, v[3:4]
	v_not_b32_e32 v4, v4
	v_ashrrev_i32_e32 v4, 31, v4
	v_and_b32_e32 v29, v29, v30
	;; [unrolled: 8-line block ×5, first 2 shown]
	v_xor_b32_e32 v30, s13, v4
	v_xor_b32_e32 v4, s12, v4
	v_and_b32_e32 v28, v28, v4
	v_lshlrev_b32_e32 v4, 24, v5
	v_cmp_gt_i64_e64 s[12:13], 0, v[3:4]
	v_not_b32_e32 v3, v4
	v_ashrrev_i32_e32 v3, 31, v3
	v_xor_b32_e32 v4, s13, v3
	v_xor_b32_e32 v3, s12, v3
	v_and_b32_e32 v29, v29, v30
	v_and_b32_e32 v3, v28, v3
	v_mul_u32_u24_e32 v20, 36, v5
	v_and_b32_e32 v4, v29, v4
	v_mbcnt_lo_u32_b32 v5, v3, 0
	v_mbcnt_hi_u32_b32 v30, v4, v5
	v_cmp_ne_u64_e64 s[12:13], 0, v[3:4]
	v_cmp_eq_u32_e64 s[14:15], 0, v30
	s_and_b64 s[14:15], s[12:13], s[14:15]
	v_add_u32_e32 v20, v23, v20
	; wave barrier
	s_and_saveexec_b64 s[12:13], s[14:15]
	s_cbranch_execz .LBB38_21
; %bb.20:
	v_bcnt_u32_b32 v3, v3, 0
	v_bcnt_u32_b32 v3, v4, v3
	s_waitcnt lgkmcnt(0)
	v_add_u32_e32 v3, v26, v3
	ds_write_b32 v20, v3 offset:32
.LBB38_21:
	s_or_b64 exec, exec, s[12:13]
	v_xor_b32_e32 v14, 0x7f, v14
	v_lshrrev_b32_sdwa v3, s48, v14 dst_sel:DWORD dst_unused:UNUSED_PAD src0_sel:DWORD src1_sel:BYTE_0
	v_and_b32_e32 v5, s52, v3
	v_and_b32_e32 v4, 1, v5
	v_add_co_u32_e64 v29, s[12:13], -1, v4
	v_addc_co_u32_e64 v32, s[12:13], 0, -1, s[12:13]
	v_cmp_ne_u32_e64 s[12:13], 0, v4
	v_mad_u32_u24 v3, v5, 36, v23
	v_xor_b32_e32 v4, s13, v32
	; wave barrier
	ds_read_b32 v31, v3 offset:32
	v_mov_b32_e32 v3, 0
	v_and_b32_e32 v32, exec_hi, v4
	v_lshlrev_b32_e32 v4, 30, v5
	v_xor_b32_e32 v29, s12, v29
	v_cmp_gt_i64_e64 s[12:13], 0, v[3:4]
	v_not_b32_e32 v4, v4
	v_ashrrev_i32_e32 v4, 31, v4
	v_and_b32_e32 v29, exec_lo, v29
	v_xor_b32_e32 v33, s13, v4
	v_xor_b32_e32 v4, s12, v4
	v_and_b32_e32 v29, v29, v4
	v_lshlrev_b32_e32 v4, 29, v5
	v_cmp_gt_i64_e64 s[12:13], 0, v[3:4]
	v_not_b32_e32 v4, v4
	v_ashrrev_i32_e32 v4, 31, v4
	v_and_b32_e32 v32, v32, v33
	v_xor_b32_e32 v33, s13, v4
	v_xor_b32_e32 v4, s12, v4
	v_and_b32_e32 v29, v29, v4
	v_lshlrev_b32_e32 v4, 28, v5
	v_cmp_gt_i64_e64 s[12:13], 0, v[3:4]
	v_not_b32_e32 v4, v4
	v_ashrrev_i32_e32 v4, 31, v4
	v_and_b32_e32 v32, v32, v33
	;; [unrolled: 8-line block ×5, first 2 shown]
	v_xor_b32_e32 v33, s13, v4
	v_xor_b32_e32 v4, s12, v4
	v_and_b32_e32 v29, v29, v4
	v_lshlrev_b32_e32 v4, 24, v5
	v_cmp_gt_i64_e64 s[12:13], 0, v[3:4]
	v_not_b32_e32 v4, v4
	v_ashrrev_i32_e32 v4, 31, v4
	v_mul_u32_u24_e32 v28, 36, v5
	v_xor_b32_e32 v5, s13, v4
	v_xor_b32_e32 v4, s12, v4
	v_and_b32_e32 v32, v32, v33
	v_and_b32_e32 v4, v29, v4
	;; [unrolled: 1-line block ×3, first 2 shown]
	v_mbcnt_lo_u32_b32 v29, v4, 0
	v_mbcnt_hi_u32_b32 v32, v5, v29
	v_cmp_ne_u64_e64 s[12:13], 0, v[4:5]
	v_cmp_eq_u32_e64 s[14:15], 0, v32
	s_and_b64 s[14:15], s[12:13], s[14:15]
	v_add_u32_e32 v28, v23, v28
	; wave barrier
	s_and_saveexec_b64 s[12:13], s[14:15]
	s_cbranch_execz .LBB38_23
; %bb.22:
	v_bcnt_u32_b32 v4, v4, 0
	v_bcnt_u32_b32 v4, v5, v4
	s_waitcnt lgkmcnt(0)
	v_add_u32_e32 v4, v31, v4
	ds_write_b32 v28, v4 offset:32
.LBB38_23:
	s_or_b64 exec, exec, s[12:13]
	v_xor_b32_e32 v33, 0x7f, v6
	v_lshrrev_b32_sdwa v4, s48, v33 dst_sel:DWORD dst_unused:UNUSED_PAD src0_sel:DWORD src1_sel:BYTE_0
	v_and_b32_e32 v5, s52, v4
	v_mad_u32_u24 v4, v5, 36, v23
	; wave barrier
	ds_read_b32 v34, v4 offset:32
	v_and_b32_e32 v4, 1, v5
	v_add_co_u32_e64 v29, s[12:13], -1, v4
	v_addc_co_u32_e64 v35, s[12:13], 0, -1, s[12:13]
	v_cmp_ne_u32_e64 s[12:13], 0, v4
	v_xor_b32_e32 v4, s13, v35
	v_and_b32_e32 v35, exec_hi, v4
	v_lshlrev_b32_e32 v4, 30, v5
	v_xor_b32_e32 v29, s12, v29
	v_cmp_gt_i64_e64 s[12:13], 0, v[3:4]
	v_not_b32_e32 v4, v4
	v_ashrrev_i32_e32 v4, 31, v4
	v_and_b32_e32 v29, exec_lo, v29
	v_xor_b32_e32 v36, s13, v4
	v_xor_b32_e32 v4, s12, v4
	v_and_b32_e32 v29, v29, v4
	v_lshlrev_b32_e32 v4, 29, v5
	v_cmp_gt_i64_e64 s[12:13], 0, v[3:4]
	v_not_b32_e32 v4, v4
	v_ashrrev_i32_e32 v4, 31, v4
	v_and_b32_e32 v35, v35, v36
	v_xor_b32_e32 v36, s13, v4
	v_xor_b32_e32 v4, s12, v4
	v_and_b32_e32 v29, v29, v4
	v_lshlrev_b32_e32 v4, 28, v5
	v_cmp_gt_i64_e64 s[12:13], 0, v[3:4]
	v_not_b32_e32 v4, v4
	v_ashrrev_i32_e32 v4, 31, v4
	v_and_b32_e32 v35, v35, v36
	;; [unrolled: 8-line block ×5, first 2 shown]
	v_xor_b32_e32 v36, s13, v4
	v_xor_b32_e32 v4, s12, v4
	v_and_b32_e32 v29, v29, v4
	v_lshlrev_b32_e32 v4, 24, v5
	v_cmp_gt_i64_e64 s[12:13], 0, v[3:4]
	v_not_b32_e32 v3, v4
	v_ashrrev_i32_e32 v3, 31, v3
	v_xor_b32_e32 v4, s13, v3
	v_xor_b32_e32 v3, s12, v3
	v_and_b32_e32 v35, v35, v36
	v_and_b32_e32 v3, v29, v3
	v_mul_u32_u24_e32 v6, 36, v5
	v_and_b32_e32 v4, v35, v4
	v_mbcnt_lo_u32_b32 v5, v3, 0
	v_mbcnt_hi_u32_b32 v35, v4, v5
	v_cmp_ne_u64_e64 s[12:13], 0, v[3:4]
	v_cmp_eq_u32_e64 s[14:15], 0, v35
	s_and_b64 s[14:15], s[12:13], s[14:15]
	v_add_u32_e32 v23, v23, v6
	; wave barrier
	s_and_saveexec_b64 s[12:13], s[14:15]
	s_cbranch_execz .LBB38_25
; %bb.24:
	v_bcnt_u32_b32 v3, v3, 0
	v_bcnt_u32_b32 v3, v4, v3
	s_waitcnt lgkmcnt(0)
	v_add_u32_e32 v3, v34, v3
	ds_write_b32 v23, v3 offset:32
.LBB38_25:
	s_or_b64 exec, exec, s[12:13]
	; wave barrier
	s_waitcnt lgkmcnt(0)
	s_barrier
	ds_read2_b32 v[5:6], v9 offset0:8 offset1:9
	ds_read2_b32 v[3:4], v9 offset0:10 offset1:11
	ds_read_b32 v29, v9 offset:48
	v_min_u32_e32 v7, 0x1c0, v7
	v_or_b32_e32 v7, 63, v7
	s_waitcnt lgkmcnt(1)
	v_add3_u32 v36, v6, v5, v3
	s_waitcnt lgkmcnt(0)
	v_add3_u32 v29, v36, v4, v29
	v_and_b32_e32 v36, 15, v12
	v_cmp_ne_u32_e64 s[12:13], 0, v36
	v_mov_b32_dpp v37, v29 row_shr:1 row_mask:0xf bank_mask:0xf
	v_cndmask_b32_e64 v37, 0, v37, s[12:13]
	v_add_u32_e32 v29, v37, v29
	v_cmp_lt_u32_e64 s[12:13], 1, v36
	s_nop 0
	v_mov_b32_dpp v37, v29 row_shr:2 row_mask:0xf bank_mask:0xf
	v_cndmask_b32_e64 v37, 0, v37, s[12:13]
	v_add_u32_e32 v29, v29, v37
	v_cmp_lt_u32_e64 s[12:13], 3, v36
	s_nop 0
	;; [unrolled: 5-line block ×3, first 2 shown]
	v_mov_b32_dpp v37, v29 row_shr:8 row_mask:0xf bank_mask:0xf
	v_cndmask_b32_e64 v36, 0, v37, s[12:13]
	v_add_u32_e32 v29, v29, v36
	v_bfe_i32 v37, v12, 4, 1
	v_cmp_lt_u32_e64 s[12:13], 31, v12
	v_mov_b32_dpp v36, v29 row_bcast:15 row_mask:0xf bank_mask:0xf
	v_and_b32_e32 v36, v37, v36
	v_add_u32_e32 v29, v29, v36
	s_nop 1
	v_mov_b32_dpp v36, v29 row_bcast:31 row_mask:0xf bank_mask:0xf
	v_cndmask_b32_e64 v36, 0, v36, s[12:13]
	v_add_u32_e32 v29, v29, v36
	v_lshrrev_b32_e32 v36, 6, v0
	v_cmp_eq_u32_e64 s[12:13], v0, v7
	s_and_saveexec_b64 s[14:15], s[12:13]
; %bb.26:
	v_lshlrev_b32_e32 v7, 2, v36
	ds_write_b32 v7, v29
; %bb.27:
	s_or_b64 exec, exec, s[14:15]
	v_cmp_gt_u32_e64 s[12:13], 8, v0
	s_waitcnt lgkmcnt(0)
	s_barrier
	s_and_saveexec_b64 s[14:15], s[12:13]
	s_cbranch_execz .LBB38_29
; %bb.28:
	v_lshlrev_b32_e32 v7, 2, v0
	ds_read_b32 v37, v7
	v_and_b32_e32 v38, 7, v12
	v_cmp_ne_u32_e64 s[12:13], 0, v38
	s_waitcnt lgkmcnt(0)
	v_mov_b32_dpp v39, v37 row_shr:1 row_mask:0xf bank_mask:0xf
	v_cndmask_b32_e64 v39, 0, v39, s[12:13]
	v_add_u32_e32 v37, v39, v37
	v_cmp_lt_u32_e64 s[12:13], 1, v38
	s_nop 0
	v_mov_b32_dpp v39, v37 row_shr:2 row_mask:0xf bank_mask:0xf
	v_cndmask_b32_e64 v39, 0, v39, s[12:13]
	v_add_u32_e32 v37, v37, v39
	v_cmp_lt_u32_e64 s[12:13], 3, v38
	s_nop 0
	v_mov_b32_dpp v39, v37 row_shr:4 row_mask:0xf bank_mask:0xf
	v_cndmask_b32_e64 v38, 0, v39, s[12:13]
	v_add_u32_e32 v37, v37, v38
	ds_write_b32 v7, v37
.LBB38_29:
	s_or_b64 exec, exec, s[14:15]
	v_cmp_lt_u32_e64 s[12:13], 63, v0
	v_mov_b32_e32 v7, 0
	s_waitcnt lgkmcnt(0)
	s_barrier
	s_and_saveexec_b64 s[14:15], s[12:13]
; %bb.30:
	v_lshl_add_u32 v7, v36, 2, -4
	ds_read_b32 v7, v7
; %bb.31:
	s_or_b64 exec, exec, s[14:15]
	v_add_u32_e32 v36, -1, v12
	v_and_b32_e32 v37, 64, v12
	v_cmp_lt_i32_e64 s[12:13], v36, v37
	v_cndmask_b32_e64 v36, v36, v12, s[12:13]
	s_waitcnt lgkmcnt(0)
	v_add_u32_e32 v29, v7, v29
	v_lshlrev_b32_e32 v36, 2, v36
	ds_bpermute_b32 v29, v36, v29
	v_cmp_eq_u32_e64 s[12:13], 0, v12
	s_movk_i32 s16, 0x100
	v_cmp_gt_u32_e64 s[14:15], s16, v0
	s_waitcnt lgkmcnt(0)
	v_cndmask_b32_e64 v7, v29, v7, s[12:13]
	v_cmp_ne_u32_e64 s[12:13], 0, v0
	v_cndmask_b32_e64 v7, 0, v7, s[12:13]
	v_add_u32_e32 v5, v7, v5
	v_add_u32_e32 v6, v5, v6
	;; [unrolled: 1-line block ×4, first 2 shown]
	ds_write2_b32 v9, v7, v5 offset0:8 offset1:9
	ds_write2_b32 v9, v6, v3 offset0:10 offset1:11
	ds_write_b32 v9, v4 offset:48
	s_waitcnt lgkmcnt(0)
	s_barrier
	ds_read_b32 v5, v16 offset:32
	ds_read_b32 v6, v22 offset:32
	ds_read_b32 v7, v27 offset:32
	ds_read_b32 v9, v20 offset:32
	ds_read_b32 v16, v28 offset:32
	ds_read_b32 v22, v23 offset:32
	s_movk_i32 s12, 0xff
	v_mov_b32_e32 v3, 0
	v_cmp_lt_u32_e64 s[12:13], s12, v0
	v_mov_b32_e32 v4, 0
                                        ; implicit-def: $vgpr20
	s_and_saveexec_b64 s[18:19], s[14:15]
	s_cbranch_execz .LBB38_35
; %bb.32:
	v_mul_u32_u24_e32 v3, 36, v0
	ds_read_b32 v3, v3 offset:32
	v_add_u32_e32 v20, 1, v0
	v_cmp_ne_u32_e64 s[16:17], s16, v20
	v_mov_b32_e32 v4, 0xc00
	s_and_saveexec_b64 s[20:21], s[16:17]
; %bb.33:
	v_mul_u32_u24_e32 v4, 36, v20
	ds_read_b32 v4, v4 offset:32
; %bb.34:
	s_or_b64 exec, exec, s[20:21]
	s_waitcnt lgkmcnt(0)
	v_sub_u32_e32 v20, v4, v3
	v_mov_b32_e32 v4, 0
.LBB38_35:
	s_or_b64 exec, exec, s[18:19]
	s_waitcnt lgkmcnt(5)
	v_add_u32_e32 v29, v5, v10
	s_waitcnt lgkmcnt(4)
	v_add3_u32 v28, v17, v15, v6
	s_waitcnt lgkmcnt(3)
	v_add3_u32 v27, v24, v21, v7
	;; [unrolled: 2-line block ×5, first 2 shown]
	v_mov_b32_e32 v6, 0
	v_lshlrev_b32_e32 v21, 3, v0
	s_barrier
	ds_write_b8 v29, v8 offset:2048
	ds_write_b8 v28, v13 offset:2048
	ds_write_b8 v27, v18 offset:2048
	ds_write_b8 v24, v25 offset:2048
	ds_write_b8 v23, v14 offset:2048
	ds_write_b8 v22, v33 offset:2048
	s_waitcnt lgkmcnt(0)
	s_barrier
	s_and_saveexec_b64 s[16:17], s[14:15]
	s_cbranch_execz .LBB38_45
; %bb.36:
	v_lshl_add_u32 v5, s6, 8, v0
	v_lshlrev_b64 v[7:8], 2, v[5:6]
	v_mov_b32_e32 v13, s35
	v_add_co_u32_e64 v7, s[14:15], s34, v7
	v_addc_co_u32_e64 v8, s[14:15], v13, v8, s[14:15]
	v_or_b32_e32 v5, 2.0, v20
	s_mov_b64 s[18:19], 0
	s_brev_b32 s24, -4
	s_mov_b32 s25, s6
	v_mov_b32_e32 v14, 0
	global_store_dword v[7:8], v5, off
                                        ; implicit-def: $sgpr14_sgpr15
	s_branch .LBB38_39
.LBB38_37:                              ;   in Loop: Header=BB38_39 Depth=1
	s_or_b64 exec, exec, s[22:23]
.LBB38_38:                              ;   in Loop: Header=BB38_39 Depth=1
	s_or_b64 exec, exec, s[20:21]
	v_and_b32_e32 v9, 0x3fffffff, v5
	v_add_u32_e32 v14, v9, v14
	v_cmp_gt_i32_e64 s[14:15], -2.0, v5
	s_and_b64 s[20:21], exec, s[14:15]
	s_or_b64 s[18:19], s[20:21], s[18:19]
	s_andn2_b64 exec, exec, s[18:19]
	s_cbranch_execz .LBB38_44
.LBB38_39:                              ; =>This Loop Header: Depth=1
                                        ;     Child Loop BB38_42 Depth 2
	s_or_b64 s[14:15], s[14:15], exec
	s_cmp_eq_u32 s25, 0
	s_cbranch_scc1 .LBB38_43
; %bb.40:                               ;   in Loop: Header=BB38_39 Depth=1
	s_add_i32 s25, s25, -1
	v_lshl_or_b32 v5, s25, 8, v0
	v_lshlrev_b64 v[9:10], 2, v[5:6]
	v_add_co_u32_e64 v9, s[14:15], s34, v9
	v_addc_co_u32_e64 v10, s[14:15], v13, v10, s[14:15]
	global_load_dword v5, v[9:10], off glc
	s_waitcnt vmcnt(0)
	v_cmp_gt_u32_e64 s[14:15], 2.0, v5
	s_and_saveexec_b64 s[20:21], s[14:15]
	s_cbranch_execz .LBB38_38
; %bb.41:                               ;   in Loop: Header=BB38_39 Depth=1
	s_mov_b64 s[22:23], 0
.LBB38_42:                              ;   Parent Loop BB38_39 Depth=1
                                        ; =>  This Inner Loop Header: Depth=2
	global_load_dword v5, v[9:10], off glc
	s_waitcnt vmcnt(0)
	v_cmp_lt_u32_e64 s[14:15], s24, v5
	s_or_b64 s[22:23], s[14:15], s[22:23]
	s_andn2_b64 exec, exec, s[22:23]
	s_cbranch_execnz .LBB38_42
	s_branch .LBB38_37
.LBB38_43:                              ;   in Loop: Header=BB38_39 Depth=1
                                        ; implicit-def: $sgpr25
	s_and_b64 s[20:21], exec, s[14:15]
	s_or_b64 s[18:19], s[20:21], s[18:19]
	s_andn2_b64 exec, exec, s[18:19]
	s_cbranch_execnz .LBB38_39
.LBB38_44:
	s_or_b64 exec, exec, s[18:19]
	v_add_u32_e32 v5, v14, v20
	v_or_b32_e32 v5, 0x80000000, v5
	global_store_dword v[7:8], v5, off
	global_load_dwordx2 v[5:6], v21, s[44:45]
	v_sub_co_u32_e64 v7, s[14:15], v14, v3
	v_subb_co_u32_e64 v8, s[14:15], 0, v4, s[14:15]
	s_waitcnt vmcnt(0)
	v_add_co_u32_e64 v5, s[14:15], v7, v5
	v_addc_co_u32_e64 v6, s[14:15], v8, v6, s[14:15]
	ds_write_b64 v21, v[5:6]
.LBB38_45:
	s_or_b64 exec, exec, s[16:17]
	v_cmp_gt_u32_e64 s[14:15], s33, v0
	s_waitcnt lgkmcnt(0)
	s_barrier
	s_and_saveexec_b64 s[18:19], s[14:15]
	s_cbranch_execz .LBB38_47
; %bb.46:
	ds_read_u8 v7, v0 offset:2048
	v_mov_b32_e32 v8, s39
	s_waitcnt lgkmcnt(0)
	v_lshrrev_b32_sdwa v5, s48, v7 dst_sel:DWORD dst_unused:UNUSED_PAD src0_sel:DWORD src1_sel:BYTE_0
	v_and_b32_e32 v5, s52, v5
	v_lshlrev_b32_e32 v5, 3, v5
	ds_read_b64 v[5:6], v5
	v_xor_b32_e32 v7, 0x7f, v7
	s_waitcnt lgkmcnt(0)
	v_add_co_u32_e64 v5, s[16:17], s38, v5
	v_addc_co_u32_e64 v6, s[16:17], v8, v6, s[16:17]
	v_add_co_u32_e64 v5, s[16:17], v5, v0
	v_addc_co_u32_e64 v6, s[16:17], 0, v6, s[16:17]
	global_store_byte v[5:6], v7, off
.LBB38_47:
	s_or_b64 exec, exec, s[18:19]
	v_or_b32_e32 v25, 0x200, v0
	v_cmp_gt_u32_e64 s[16:17], s33, v25
	s_and_saveexec_b64 s[20:21], s[16:17]
	s_cbranch_execz .LBB38_49
; %bb.48:
	ds_read_u8 v7, v0 offset:2560
	v_mov_b32_e32 v8, s39
	s_waitcnt lgkmcnt(0)
	v_lshrrev_b32_sdwa v5, s48, v7 dst_sel:DWORD dst_unused:UNUSED_PAD src0_sel:DWORD src1_sel:BYTE_0
	v_and_b32_e32 v5, s52, v5
	v_lshlrev_b32_e32 v5, 3, v5
	ds_read_b64 v[5:6], v5
	v_xor_b32_e32 v7, 0x7f, v7
	s_waitcnt lgkmcnt(0)
	v_add_co_u32_e64 v5, s[18:19], s38, v5
	v_addc_co_u32_e64 v6, s[18:19], v8, v6, s[18:19]
	v_add_co_u32_e64 v5, s[18:19], v5, v0
	v_addc_co_u32_e64 v6, s[18:19], 0, v6, s[18:19]
	global_store_byte v[5:6], v7, off offset:512
.LBB38_49:
	s_or_b64 exec, exec, s[20:21]
	v_or_b32_e32 v26, 0x400, v0
	v_cmp_gt_u32_e64 s[18:19], s33, v26
	s_and_saveexec_b64 s[22:23], s[18:19]
	s_cbranch_execz .LBB38_51
; %bb.50:
	ds_read_u8 v7, v0 offset:3072
	v_mov_b32_e32 v8, s39
	s_waitcnt lgkmcnt(0)
	v_lshrrev_b32_sdwa v5, s48, v7 dst_sel:DWORD dst_unused:UNUSED_PAD src0_sel:DWORD src1_sel:BYTE_0
	v_and_b32_e32 v5, s52, v5
	v_lshlrev_b32_e32 v5, 3, v5
	ds_read_b64 v[5:6], v5
	v_xor_b32_e32 v7, 0x7f, v7
	s_waitcnt lgkmcnt(0)
	v_add_co_u32_e64 v5, s[20:21], s38, v5
	v_addc_co_u32_e64 v6, s[20:21], v8, v6, s[20:21]
	v_add_co_u32_e64 v5, s[20:21], v5, v0
	v_addc_co_u32_e64 v6, s[20:21], 0, v6, s[20:21]
	global_store_byte v[5:6], v7, off offset:1024
.LBB38_51:
	;; [unrolled: 21-line block ×5, first 2 shown]
	s_or_b64 exec, exec, s[50:51]
	s_lshl_b64 s[28:29], s[30:31], 3
	s_add_u32 s28, s40, s28
	s_addc_u32 s29, s41, s29
	v_lshlrev_b32_e32 v5, 3, v12
	v_mov_b32_e32 v6, s29
	v_add_co_u32_e64 v5, s[28:29], s28, v5
	v_addc_co_u32_e64 v6, s[28:29], 0, v6, s[28:29]
	v_lshlrev_b32_e32 v7, 3, v11
	v_add_co_u32_e64 v17, s[28:29], v5, v7
	v_addc_co_u32_e64 v18, s[28:29], 0, v6, s[28:29]
                                        ; implicit-def: $vgpr5_vgpr6
	s_and_saveexec_b64 s[28:29], vcc
	s_xor_b64 s[28:29], exec, s[28:29]
	s_cbranch_execz .LBB38_63
; %bb.58:
	global_load_dwordx2 v[5:6], v[17:18], off
	s_or_b64 exec, exec, s[28:29]
                                        ; implicit-def: $vgpr7_vgpr8
	s_and_saveexec_b64 s[28:29], s[0:1]
	s_cbranch_execnz .LBB38_64
.LBB38_59:
	s_or_b64 exec, exec, s[28:29]
                                        ; implicit-def: $vgpr9_vgpr10
	s_and_saveexec_b64 s[0:1], s[2:3]
	s_cbranch_execz .LBB38_65
.LBB38_60:
	global_load_dwordx2 v[9:10], v[17:18], off offset:1024
	s_or_b64 exec, exec, s[0:1]
                                        ; implicit-def: $vgpr11_vgpr12
	s_and_saveexec_b64 s[0:1], s[26:27]
	s_cbranch_execnz .LBB38_66
.LBB38_61:
	s_or_b64 exec, exec, s[0:1]
                                        ; implicit-def: $vgpr13_vgpr14
	s_and_saveexec_b64 s[0:1], s[8:9]
	s_cbranch_execz .LBB38_67
.LBB38_62:
	global_load_dwordx2 v[13:14], v[17:18], off offset:2048
	s_or_b64 exec, exec, s[0:1]
                                        ; implicit-def: $vgpr15_vgpr16
	s_and_saveexec_b64 s[0:1], s[10:11]
	s_cbranch_execnz .LBB38_68
	s_branch .LBB38_69
.LBB38_63:
	s_or_b64 exec, exec, s[28:29]
                                        ; implicit-def: $vgpr7_vgpr8
	s_and_saveexec_b64 s[28:29], s[0:1]
	s_cbranch_execz .LBB38_59
.LBB38_64:
	global_load_dwordx2 v[7:8], v[17:18], off offset:512
	s_or_b64 exec, exec, s[28:29]
                                        ; implicit-def: $vgpr9_vgpr10
	s_and_saveexec_b64 s[0:1], s[2:3]
	s_cbranch_execnz .LBB38_60
.LBB38_65:
	s_or_b64 exec, exec, s[0:1]
                                        ; implicit-def: $vgpr11_vgpr12
	s_and_saveexec_b64 s[0:1], s[26:27]
	s_cbranch_execz .LBB38_61
.LBB38_66:
	global_load_dwordx2 v[11:12], v[17:18], off offset:1536
	s_or_b64 exec, exec, s[0:1]
                                        ; implicit-def: $vgpr13_vgpr14
	s_and_saveexec_b64 s[0:1], s[8:9]
	s_cbranch_execnz .LBB38_62
.LBB38_67:
	s_or_b64 exec, exec, s[0:1]
                                        ; implicit-def: $vgpr15_vgpr16
	s_and_saveexec_b64 s[0:1], s[10:11]
	s_cbranch_execz .LBB38_69
.LBB38_68:
	global_load_dwordx2 v[15:16], v[17:18], off offset:2560
.LBB38_69:
	s_or_b64 exec, exec, s[0:1]
	v_mov_b32_e32 v34, 0
	v_mov_b32_e32 v36, 0
	s_and_saveexec_b64 s[0:1], s[14:15]
	s_cbranch_execz .LBB38_71
; %bb.70:
	ds_read_u8 v17, v0 offset:2048
	s_waitcnt lgkmcnt(0)
	v_lshrrev_b32_e32 v17, s48, v17
	v_and_b32_e32 v36, s52, v17
.LBB38_71:
	s_or_b64 exec, exec, s[0:1]
	s_and_saveexec_b64 s[0:1], s[16:17]
	s_cbranch_execz .LBB38_73
; %bb.72:
	ds_read_u8 v17, v0 offset:2560
	s_waitcnt lgkmcnt(0)
	v_lshrrev_b32_e32 v17, s48, v17
	v_and_b32_e32 v34, s52, v17
.LBB38_73:
	s_or_b64 exec, exec, s[0:1]
	v_mov_b32_e32 v18, 0
	v_mov_b32_e32 v35, 0
	s_and_saveexec_b64 s[0:1], s[18:19]
	s_cbranch_execz .LBB38_75
; %bb.74:
	ds_read_u8 v17, v0 offset:3072
	s_waitcnt lgkmcnt(0)
	v_lshrrev_b32_e32 v17, s48, v17
	v_and_b32_e32 v35, s52, v17
.LBB38_75:
	s_or_b64 exec, exec, s[0:1]
	s_and_saveexec_b64 s[0:1], s[20:21]
	s_cbranch_execz .LBB38_77
; %bb.76:
	ds_read_u8 v17, v0 offset:3584
	s_waitcnt lgkmcnt(0)
	v_lshrrev_b32_e32 v17, s48, v17
	v_and_b32_e32 v18, s52, v17
.LBB38_77:
	;; [unrolled: 20-line block ×3, first 2 shown]
	s_or_b64 exec, exec, s[0:1]
	v_lshlrev_b32_e32 v29, 3, v29
	s_waitcnt vmcnt(0)
	s_barrier
	ds_write_b64 v29, v[5:6] offset:2048
	v_lshlrev_b32_e32 v5, 3, v28
	ds_write_b64 v5, v[7:8] offset:2048
	v_lshlrev_b32_e32 v5, 3, v27
	;; [unrolled: 2-line block ×5, first 2 shown]
	ds_write_b64 v5, v[15:16] offset:2048
	s_waitcnt lgkmcnt(0)
	s_barrier
	s_and_saveexec_b64 s[0:1], s[14:15]
	s_cbranch_execz .LBB38_87
; %bb.82:
	v_lshlrev_b32_e32 v5, 3, v36
	ds_read_b64 v[5:6], v5
	ds_read_b64 v[7:8], v21 offset:2048
	v_mov_b32_e32 v9, s43
	s_waitcnt lgkmcnt(1)
	v_lshlrev_b64 v[5:6], 3, v[5:6]
	v_add_co_u32_e32 v5, vcc, s42, v5
	v_addc_co_u32_e32 v6, vcc, v9, v6, vcc
	v_add_co_u32_e32 v5, vcc, v5, v21
	v_addc_co_u32_e32 v6, vcc, 0, v6, vcc
	s_waitcnt lgkmcnt(0)
	global_store_dwordx2 v[5:6], v[7:8], off
	s_or_b64 exec, exec, s[0:1]
	s_and_saveexec_b64 s[0:1], s[16:17]
	s_cbranch_execnz .LBB38_88
.LBB38_83:
	s_or_b64 exec, exec, s[0:1]
	s_and_saveexec_b64 s[0:1], s[18:19]
	s_cbranch_execz .LBB38_89
.LBB38_84:
	v_lshlrev_b32_e32 v5, 3, v35
	ds_read_b64 v[5:6], v5
	ds_read_b64 v[7:8], v21 offset:10240
	v_mov_b32_e32 v9, s43
	s_waitcnt lgkmcnt(1)
	v_lshlrev_b64 v[5:6], 3, v[5:6]
	v_add_co_u32_e32 v5, vcc, s42, v5
	v_addc_co_u32_e32 v6, vcc, v9, v6, vcc
	v_lshlrev_b32_e32 v9, 3, v26
	v_add_co_u32_e32 v5, vcc, v5, v9
	v_addc_co_u32_e32 v6, vcc, 0, v6, vcc
	s_waitcnt lgkmcnt(0)
	global_store_dwordx2 v[5:6], v[7:8], off
	s_or_b64 exec, exec, s[0:1]
	s_and_saveexec_b64 s[0:1], s[20:21]
	s_cbranch_execnz .LBB38_90
.LBB38_85:
	s_or_b64 exec, exec, s[0:1]
	s_and_saveexec_b64 s[0:1], s[22:23]
	s_cbranch_execz .LBB38_91
.LBB38_86:
	v_lshlrev_b32_e32 v5, 3, v33
	ds_read_b64 v[5:6], v5
	ds_read_b64 v[7:8], v21 offset:18432
	v_mov_b32_e32 v9, s43
	s_waitcnt lgkmcnt(1)
	v_lshlrev_b64 v[5:6], 3, v[5:6]
	v_add_co_u32_e32 v5, vcc, s42, v5
	v_addc_co_u32_e32 v6, vcc, v9, v6, vcc
	v_lshlrev_b32_e32 v9, 3, v31
	v_add_co_u32_e32 v5, vcc, v5, v9
	v_addc_co_u32_e32 v6, vcc, 0, v6, vcc
	s_waitcnt lgkmcnt(0)
	global_store_dwordx2 v[5:6], v[7:8], off
	s_or_b64 exec, exec, s[0:1]
	s_and_saveexec_b64 s[0:1], s[24:25]
	s_cbranch_execnz .LBB38_92
	s_branch .LBB38_93
.LBB38_87:
	s_or_b64 exec, exec, s[0:1]
	s_and_saveexec_b64 s[0:1], s[16:17]
	s_cbranch_execz .LBB38_83
.LBB38_88:
	v_lshlrev_b32_e32 v5, 3, v34
	ds_read_b64 v[5:6], v5
	ds_read_b64 v[7:8], v21 offset:6144
	v_mov_b32_e32 v9, s43
	s_waitcnt lgkmcnt(1)
	v_lshlrev_b64 v[5:6], 3, v[5:6]
	v_add_co_u32_e32 v5, vcc, s42, v5
	v_addc_co_u32_e32 v6, vcc, v9, v6, vcc
	v_lshlrev_b32_e32 v9, 3, v25
	v_add_co_u32_e32 v5, vcc, v5, v9
	v_addc_co_u32_e32 v6, vcc, 0, v6, vcc
	s_waitcnt lgkmcnt(0)
	global_store_dwordx2 v[5:6], v[7:8], off
	s_or_b64 exec, exec, s[0:1]
	s_and_saveexec_b64 s[0:1], s[18:19]
	s_cbranch_execnz .LBB38_84
.LBB38_89:
	s_or_b64 exec, exec, s[0:1]
	s_and_saveexec_b64 s[0:1], s[20:21]
	s_cbranch_execz .LBB38_85
.LBB38_90:
	v_lshlrev_b32_e32 v5, 3, v18
	ds_read_b64 v[5:6], v5
	ds_read_b64 v[7:8], v21 offset:14336
	v_mov_b32_e32 v9, s43
	s_waitcnt lgkmcnt(1)
	v_lshlrev_b64 v[5:6], 3, v[5:6]
	v_add_co_u32_e32 v5, vcc, s42, v5
	v_addc_co_u32_e32 v6, vcc, v9, v6, vcc
	v_lshlrev_b32_e32 v9, 3, v30
	v_add_co_u32_e32 v5, vcc, v5, v9
	v_addc_co_u32_e32 v6, vcc, 0, v6, vcc
	s_waitcnt lgkmcnt(0)
	global_store_dwordx2 v[5:6], v[7:8], off
	s_or_b64 exec, exec, s[0:1]
	s_and_saveexec_b64 s[0:1], s[22:23]
	s_cbranch_execnz .LBB38_86
.LBB38_91:
	s_or_b64 exec, exec, s[0:1]
	s_and_saveexec_b64 s[0:1], s[24:25]
	s_cbranch_execz .LBB38_93
.LBB38_92:
	v_lshlrev_b32_e32 v5, 3, v17
	ds_read_b64 v[5:6], v5
	ds_read_b64 v[7:8], v21 offset:22528
	v_mov_b32_e32 v9, s43
	s_waitcnt lgkmcnt(1)
	v_lshlrev_b64 v[5:6], 3, v[5:6]
	v_add_co_u32_e32 v5, vcc, s42, v5
	v_addc_co_u32_e32 v6, vcc, v9, v6, vcc
	v_lshlrev_b32_e32 v9, 3, v32
	v_add_co_u32_e32 v5, vcc, v5, v9
	v_addc_co_u32_e32 v6, vcc, 0, v6, vcc
	s_waitcnt lgkmcnt(0)
	global_store_dwordx2 v[5:6], v[7:8], off
.LBB38_93:
	s_or_b64 exec, exec, s[0:1]
	s_add_i32 s7, s7, -1
	s_cmp_eq_u32 s6, s7
	s_cselect_b64 s[0:1], -1, 0
	s_xor_b64 s[2:3], s[12:13], -1
	s_and_b64 s[2:3], s[2:3], s[0:1]
	s_and_saveexec_b64 s[0:1], s[2:3]
	s_cbranch_execz .LBB38_95
; %bb.94:
	ds_read_b64 v[5:6], v21
	v_add_co_u32_e32 v3, vcc, v3, v20
	v_addc_co_u32_e32 v4, vcc, 0, v4, vcc
	s_waitcnt lgkmcnt(0)
	v_add_co_u32_e32 v3, vcc, v3, v5
	v_addc_co_u32_e32 v4, vcc, v4, v6, vcc
	global_store_dwordx2 v21, v[3:4], s[46:47]
.LBB38_95:
	s_or_b64 exec, exec, s[0:1]
	s_mov_b64 s[0:1], 0
.LBB38_96:
	s_and_b64 vcc, exec, s[0:1]
	s_cbranch_vccz .LBB38_131
; %bb.97:
	s_add_u32 s0, s36, s30
	s_addc_u32 s1, s37, 0
	v_mbcnt_hi_u32_b32 v10, -1, v19
	v_and_b32_e32 v7, 0x1c0, v0
	v_mov_b32_e32 v3, s1
	v_add_co_u32_e32 v4, vcc, s0, v10
	v_mul_u32_u24_e32 v9, 6, v7
	v_addc_co_u32_e32 v3, vcc, 0, v3, vcc
	v_add_co_u32_e32 v4, vcc, v4, v9
	v_addc_co_u32_e32 v5, vcc, 0, v3, vcc
	global_load_ubyte v8, v[4:5], off
	s_load_dword s0, s[4:5], 0x5c
	s_load_dword s7, s[4:5], 0x50
	s_add_u32 s1, s4, 0x50
	s_addc_u32 s2, s5, 0
	v_mov_b32_e32 v3, 0
	s_waitcnt lgkmcnt(0)
	s_lshr_b32 s3, s0, 16
	s_cmp_lt_u32 s6, s7
	s_cselect_b32 s0, 12, 18
	s_add_u32 s0, s1, s0
	s_addc_u32 s1, s2, 0
	global_load_ushort v12, v3, s[0:1]
	v_mul_u32_u24_e32 v6, 20, v0
	ds_write2_b32 v6, v3, v3 offset0:8 offset1:9
	ds_write2_b32 v6, v3, v3 offset0:10 offset1:11
	ds_write_b32 v6, v3 offset:48
	global_load_ubyte v11, v[4:5], off offset:64
	global_load_ubyte v15, v[4:5], off offset:128
	;; [unrolled: 1-line block ×5, first 2 shown]
	s_lshl_b32 s0, -1, s49
	v_mad_u32_u24 v1, v2, s3, v1
	s_not_b32 s12, s0
	s_mov_b32 s31, 0
	s_waitcnt vmcnt(0) lgkmcnt(0)
	s_barrier
	; wave barrier
	v_xor_b32_e32 v5, 0x7f, v8
	v_lshrrev_b32_e32 v2, s48, v5
	v_and_b32_e32 v8, s12, v2
	v_and_b32_e32 v2, 1, v8
	v_add_co_u32_e32 v14, vcc, -1, v2
	v_lshlrev_b32_e32 v4, 30, v8
	v_addc_co_u32_e64 v16, s[0:1], 0, -1, vcc
	v_cmp_ne_u32_e32 vcc, 0, v2
	v_cmp_gt_i64_e64 s[0:1], 0, v[3:4]
	v_not_b32_e32 v18, v4
	v_lshlrev_b32_e32 v4, 29, v8
	v_mad_u64_u32 v[1:2], s[2:3], v1, v12, v[0:1]
	v_xor_b32_e32 v2, vcc_hi, v16
	v_xor_b32_e32 v12, vcc_lo, v14
	v_ashrrev_i32_e32 v14, 31, v18
	v_cmp_gt_i64_e32 vcc, 0, v[3:4]
	v_not_b32_e32 v16, v4
	v_lshlrev_b32_e32 v4, 28, v8
	v_and_b32_e32 v2, exec_hi, v2
	v_and_b32_e32 v12, exec_lo, v12
	v_xor_b32_e32 v18, s1, v14
	v_xor_b32_e32 v14, s0, v14
	v_ashrrev_i32_e32 v16, 31, v16
	v_cmp_gt_i64_e64 s[0:1], 0, v[3:4]
	v_not_b32_e32 v19, v4
	v_lshlrev_b32_e32 v4, 27, v8
	v_and_b32_e32 v2, v2, v18
	v_and_b32_e32 v12, v12, v14
	v_xor_b32_e32 v14, vcc_hi, v16
	v_xor_b32_e32 v16, vcc_lo, v16
	v_ashrrev_i32_e32 v18, 31, v19
	v_cmp_gt_i64_e32 vcc, 0, v[3:4]
	v_not_b32_e32 v19, v4
	v_lshlrev_b32_e32 v4, 26, v8
	v_and_b32_e32 v2, v2, v14
	v_and_b32_e32 v12, v12, v16
	v_xor_b32_e32 v14, s1, v18
	v_xor_b32_e32 v16, s0, v18
	v_ashrrev_i32_e32 v18, 31, v19
	v_cmp_gt_i64_e64 s[0:1], 0, v[3:4]
	v_not_b32_e32 v4, v4
	v_lshrrev_b32_e32 v1, 4, v1
	v_and_b32_e32 v2, v2, v14
	v_and_b32_e32 v12, v12, v16
	v_xor_b32_e32 v14, vcc_hi, v18
	v_xor_b32_e32 v16, vcc_lo, v18
	v_ashrrev_i32_e32 v4, 31, v4
	v_and_b32_e32 v18, 0xffffffc, v1
	v_and_b32_e32 v1, v2, v14
	;; [unrolled: 1-line block ×3, first 2 shown]
	v_xor_b32_e32 v12, s1, v4
	v_xor_b32_e32 v4, s0, v4
	v_and_b32_e32 v2, v2, v4
	v_lshlrev_b32_e32 v4, 25, v8
	v_cmp_gt_i64_e32 vcc, 0, v[3:4]
	v_not_b32_e32 v4, v4
	v_ashrrev_i32_e32 v4, 31, v4
	v_and_b32_e32 v1, v1, v12
	v_xor_b32_e32 v12, vcc_hi, v4
	v_xor_b32_e32 v4, vcc_lo, v4
	v_and_b32_e32 v1, v1, v12
	v_and_b32_e32 v12, v2, v4
	v_lshlrev_b32_e32 v4, 24, v8
	v_cmp_gt_i64_e32 vcc, 0, v[3:4]
	v_not_b32_e32 v2, v4
	v_ashrrev_i32_e32 v2, 31, v2
	v_mul_u32_u24_e32 v13, 36, v8
	v_xor_b32_e32 v4, vcc_hi, v2
	v_xor_b32_e32 v8, vcc_lo, v2
	v_and_b32_e32 v2, v1, v4
	v_and_b32_e32 v1, v12, v8
	v_mbcnt_lo_u32_b32 v4, v1, 0
	v_mbcnt_hi_u32_b32 v8, v2, v4
	v_cmp_ne_u64_e32 vcc, 0, v[1:2]
	v_cmp_eq_u32_e64 s[0:1], 0, v8
	s_and_b64 s[2:3], vcc, s[0:1]
	v_add_u32_e32 v13, v18, v13
	s_and_saveexec_b64 s[0:1], s[2:3]
; %bb.98:
	v_bcnt_u32_b32 v1, v1, 0
	v_bcnt_u32_b32 v1, v2, v1
	ds_write_b32 v13, v1 offset:32
; %bb.99:
	s_or_b64 exec, exec, s[0:1]
	v_xor_b32_e32 v11, 0x7f, v11
	v_lshrrev_b32_sdwa v1, s48, v11 dst_sel:DWORD dst_unused:UNUSED_PAD src0_sel:DWORD src1_sel:BYTE_0
	v_and_b32_e32 v1, s12, v1
	v_mad_u32_u24 v2, v1, 36, v18
	; wave barrier
	ds_read_b32 v12, v2 offset:32
	v_and_b32_e32 v2, 1, v1
	v_add_co_u32_e32 v4, vcc, -1, v2
	v_addc_co_u32_e64 v14, s[0:1], 0, -1, vcc
	v_cmp_ne_u32_e32 vcc, 0, v2
	v_xor_b32_e32 v4, vcc_lo, v4
	v_xor_b32_e32 v2, vcc_hi, v14
	v_and_b32_e32 v14, exec_lo, v4
	v_lshlrev_b32_e32 v4, 30, v1
	v_cmp_gt_i64_e32 vcc, 0, v[3:4]
	v_not_b32_e32 v4, v4
	v_ashrrev_i32_e32 v4, 31, v4
	v_xor_b32_e32 v19, vcc_hi, v4
	v_xor_b32_e32 v4, vcc_lo, v4
	v_and_b32_e32 v14, v14, v4
	v_lshlrev_b32_e32 v4, 29, v1
	v_cmp_gt_i64_e32 vcc, 0, v[3:4]
	v_not_b32_e32 v4, v4
	v_and_b32_e32 v2, exec_hi, v2
	v_ashrrev_i32_e32 v4, 31, v4
	v_and_b32_e32 v2, v2, v19
	v_xor_b32_e32 v19, vcc_hi, v4
	v_xor_b32_e32 v4, vcc_lo, v4
	v_and_b32_e32 v14, v14, v4
	v_lshlrev_b32_e32 v4, 28, v1
	v_cmp_gt_i64_e32 vcc, 0, v[3:4]
	v_not_b32_e32 v4, v4
	v_ashrrev_i32_e32 v4, 31, v4
	v_and_b32_e32 v2, v2, v19
	v_xor_b32_e32 v19, vcc_hi, v4
	v_xor_b32_e32 v4, vcc_lo, v4
	v_and_b32_e32 v14, v14, v4
	v_lshlrev_b32_e32 v4, 27, v1
	v_cmp_gt_i64_e32 vcc, 0, v[3:4]
	v_not_b32_e32 v4, v4
	;; [unrolled: 8-line block ×4, first 2 shown]
	v_ashrrev_i32_e32 v4, 31, v4
	v_and_b32_e32 v2, v2, v19
	v_xor_b32_e32 v19, vcc_hi, v4
	v_xor_b32_e32 v4, vcc_lo, v4
	v_and_b32_e32 v14, v14, v4
	v_lshlrev_b32_e32 v4, 24, v1
	v_mul_u32_u24_e32 v16, 36, v1
	v_cmp_gt_i64_e32 vcc, 0, v[3:4]
	v_not_b32_e32 v1, v4
	v_ashrrev_i32_e32 v1, 31, v1
	v_xor_b32_e32 v3, vcc_hi, v1
	v_xor_b32_e32 v1, vcc_lo, v1
	v_and_b32_e32 v2, v2, v19
	v_and_b32_e32 v1, v14, v1
	;; [unrolled: 1-line block ×3, first 2 shown]
	v_mbcnt_lo_u32_b32 v3, v1, 0
	v_mbcnt_hi_u32_b32 v14, v2, v3
	v_cmp_ne_u64_e32 vcc, 0, v[1:2]
	v_cmp_eq_u32_e64 s[0:1], 0, v14
	s_and_b64 s[2:3], vcc, s[0:1]
	v_add_u32_e32 v19, v18, v16
	; wave barrier
	s_and_saveexec_b64 s[0:1], s[2:3]
	s_cbranch_execz .LBB38_101
; %bb.100:
	v_bcnt_u32_b32 v1, v1, 0
	v_bcnt_u32_b32 v1, v2, v1
	s_waitcnt lgkmcnt(0)
	v_add_u32_e32 v1, v12, v1
	ds_write_b32 v19, v1 offset:32
.LBB38_101:
	s_or_b64 exec, exec, s[0:1]
	v_xor_b32_e32 v15, 0x7f, v15
	v_lshrrev_b32_sdwa v1, s48, v15 dst_sel:DWORD dst_unused:UNUSED_PAD src0_sel:DWORD src1_sel:BYTE_0
	v_and_b32_e32 v3, s12, v1
	v_and_b32_e32 v2, 1, v3
	v_add_co_u32_e32 v20, vcc, -1, v2
	v_addc_co_u32_e64 v22, s[0:1], 0, -1, vcc
	v_cmp_ne_u32_e32 vcc, 0, v2
	v_mad_u32_u24 v1, v3, 36, v18
	v_xor_b32_e32 v2, vcc_hi, v22
	; wave barrier
	ds_read_b32 v16, v1 offset:32
	v_mov_b32_e32 v1, 0
	v_and_b32_e32 v22, exec_hi, v2
	v_lshlrev_b32_e32 v2, 30, v3
	v_xor_b32_e32 v20, vcc_lo, v20
	v_cmp_gt_i64_e32 vcc, 0, v[1:2]
	v_not_b32_e32 v2, v2
	v_ashrrev_i32_e32 v2, 31, v2
	v_and_b32_e32 v20, exec_lo, v20
	v_xor_b32_e32 v24, vcc_hi, v2
	v_xor_b32_e32 v2, vcc_lo, v2
	v_and_b32_e32 v20, v20, v2
	v_lshlrev_b32_e32 v2, 29, v3
	v_cmp_gt_i64_e32 vcc, 0, v[1:2]
	v_not_b32_e32 v2, v2
	v_ashrrev_i32_e32 v2, 31, v2
	v_and_b32_e32 v22, v22, v24
	v_xor_b32_e32 v24, vcc_hi, v2
	v_xor_b32_e32 v2, vcc_lo, v2
	v_and_b32_e32 v20, v20, v2
	v_lshlrev_b32_e32 v2, 28, v3
	v_cmp_gt_i64_e32 vcc, 0, v[1:2]
	v_not_b32_e32 v2, v2
	v_ashrrev_i32_e32 v2, 31, v2
	v_and_b32_e32 v22, v22, v24
	;; [unrolled: 8-line block ×5, first 2 shown]
	v_xor_b32_e32 v24, vcc_hi, v2
	v_xor_b32_e32 v2, vcc_lo, v2
	v_and_b32_e32 v20, v20, v2
	v_lshlrev_b32_e32 v2, 24, v3
	v_cmp_gt_i64_e32 vcc, 0, v[1:2]
	v_not_b32_e32 v2, v2
	v_ashrrev_i32_e32 v2, 31, v2
	v_mul_u32_u24_e32 v4, 36, v3
	v_xor_b32_e32 v3, vcc_hi, v2
	v_xor_b32_e32 v2, vcc_lo, v2
	v_and_b32_e32 v22, v22, v24
	v_and_b32_e32 v2, v20, v2
	;; [unrolled: 1-line block ×3, first 2 shown]
	v_mbcnt_lo_u32_b32 v20, v2, 0
	v_mbcnt_hi_u32_b32 v20, v3, v20
	v_cmp_ne_u64_e32 vcc, 0, v[2:3]
	v_cmp_eq_u32_e64 s[0:1], 0, v20
	s_and_b64 s[2:3], vcc, s[0:1]
	v_add_u32_e32 v24, v18, v4
	; wave barrier
	s_and_saveexec_b64 s[0:1], s[2:3]
	s_cbranch_execz .LBB38_103
; %bb.102:
	v_bcnt_u32_b32 v2, v2, 0
	v_bcnt_u32_b32 v2, v3, v2
	s_waitcnt lgkmcnt(0)
	v_add_u32_e32 v2, v16, v2
	ds_write_b32 v24, v2 offset:32
.LBB38_103:
	s_or_b64 exec, exec, s[0:1]
	v_xor_b32_e32 v21, 0x7f, v21
	v_lshrrev_b32_sdwa v2, s48, v21 dst_sel:DWORD dst_unused:UNUSED_PAD src0_sel:DWORD src1_sel:BYTE_0
	v_and_b32_e32 v3, s12, v2
	v_mad_u32_u24 v2, v3, 36, v18
	; wave barrier
	ds_read_b32 v22, v2 offset:32
	v_and_b32_e32 v2, 1, v3
	v_add_co_u32_e32 v25, vcc, -1, v2
	v_addc_co_u32_e64 v26, s[0:1], 0, -1, vcc
	v_cmp_ne_u32_e32 vcc, 0, v2
	v_xor_b32_e32 v2, vcc_hi, v26
	v_and_b32_e32 v26, exec_hi, v2
	v_lshlrev_b32_e32 v2, 30, v3
	v_xor_b32_e32 v25, vcc_lo, v25
	v_cmp_gt_i64_e32 vcc, 0, v[1:2]
	v_not_b32_e32 v2, v2
	v_ashrrev_i32_e32 v2, 31, v2
	v_and_b32_e32 v25, exec_lo, v25
	v_xor_b32_e32 v27, vcc_hi, v2
	v_xor_b32_e32 v2, vcc_lo, v2
	v_and_b32_e32 v25, v25, v2
	v_lshlrev_b32_e32 v2, 29, v3
	v_cmp_gt_i64_e32 vcc, 0, v[1:2]
	v_not_b32_e32 v2, v2
	v_ashrrev_i32_e32 v2, 31, v2
	v_and_b32_e32 v26, v26, v27
	v_xor_b32_e32 v27, vcc_hi, v2
	v_xor_b32_e32 v2, vcc_lo, v2
	v_and_b32_e32 v25, v25, v2
	v_lshlrev_b32_e32 v2, 28, v3
	v_cmp_gt_i64_e32 vcc, 0, v[1:2]
	v_not_b32_e32 v2, v2
	v_ashrrev_i32_e32 v2, 31, v2
	v_and_b32_e32 v26, v26, v27
	v_xor_b32_e32 v27, vcc_hi, v2
	v_xor_b32_e32 v2, vcc_lo, v2
	v_and_b32_e32 v25, v25, v2
	v_lshlrev_b32_e32 v2, 27, v3
	v_cmp_gt_i64_e32 vcc, 0, v[1:2]
	v_not_b32_e32 v2, v2
	v_ashrrev_i32_e32 v2, 31, v2
	v_and_b32_e32 v26, v26, v27
	v_xor_b32_e32 v27, vcc_hi, v2
	v_xor_b32_e32 v2, vcc_lo, v2
	v_and_b32_e32 v25, v25, v2
	v_lshlrev_b32_e32 v2, 26, v3
	v_cmp_gt_i64_e32 vcc, 0, v[1:2]
	v_not_b32_e32 v2, v2
	v_ashrrev_i32_e32 v2, 31, v2
	v_and_b32_e32 v26, v26, v27
	v_xor_b32_e32 v27, vcc_hi, v2
	v_xor_b32_e32 v2, vcc_lo, v2
	v_and_b32_e32 v25, v25, v2
	v_lshlrev_b32_e32 v2, 25, v3
	v_cmp_gt_i64_e32 vcc, 0, v[1:2]
	v_not_b32_e32 v2, v2
	v_ashrrev_i32_e32 v2, 31, v2
	v_and_b32_e32 v26, v26, v27
	v_xor_b32_e32 v27, vcc_hi, v2
	v_xor_b32_e32 v2, vcc_lo, v2
	v_and_b32_e32 v25, v25, v2
	v_lshlrev_b32_e32 v2, 24, v3
	v_cmp_gt_i64_e32 vcc, 0, v[1:2]
	v_not_b32_e32 v1, v2
	v_ashrrev_i32_e32 v1, 31, v1
	v_xor_b32_e32 v2, vcc_hi, v1
	v_xor_b32_e32 v1, vcc_lo, v1
	v_and_b32_e32 v26, v26, v27
	v_and_b32_e32 v1, v25, v1
	v_mul_u32_u24_e32 v4, 36, v3
	v_and_b32_e32 v2, v26, v2
	v_mbcnt_lo_u32_b32 v3, v1, 0
	v_mbcnt_hi_u32_b32 v25, v2, v3
	v_cmp_ne_u64_e32 vcc, 0, v[1:2]
	v_cmp_eq_u32_e64 s[0:1], 0, v25
	s_and_b64 s[2:3], vcc, s[0:1]
	v_add_u32_e32 v27, v18, v4
	; wave barrier
	s_and_saveexec_b64 s[0:1], s[2:3]
	s_cbranch_execz .LBB38_105
; %bb.104:
	v_bcnt_u32_b32 v1, v1, 0
	v_bcnt_u32_b32 v1, v2, v1
	s_waitcnt lgkmcnt(0)
	v_add_u32_e32 v1, v22, v1
	ds_write_b32 v27, v1 offset:32
.LBB38_105:
	s_or_b64 exec, exec, s[0:1]
	v_xor_b32_e32 v23, 0x7f, v23
	v_lshrrev_b32_sdwa v1, s48, v23 dst_sel:DWORD dst_unused:UNUSED_PAD src0_sel:DWORD src1_sel:BYTE_0
	v_and_b32_e32 v3, s12, v1
	v_and_b32_e32 v2, 1, v3
	v_add_co_u32_e32 v28, vcc, -1, v2
	v_addc_co_u32_e64 v29, s[0:1], 0, -1, vcc
	v_cmp_ne_u32_e32 vcc, 0, v2
	v_mad_u32_u24 v1, v3, 36, v18
	v_xor_b32_e32 v2, vcc_hi, v29
	; wave barrier
	ds_read_b32 v26, v1 offset:32
	v_mov_b32_e32 v1, 0
	v_and_b32_e32 v29, exec_hi, v2
	v_lshlrev_b32_e32 v2, 30, v3
	v_xor_b32_e32 v28, vcc_lo, v28
	v_cmp_gt_i64_e32 vcc, 0, v[1:2]
	v_not_b32_e32 v2, v2
	v_ashrrev_i32_e32 v2, 31, v2
	v_and_b32_e32 v28, exec_lo, v28
	v_xor_b32_e32 v30, vcc_hi, v2
	v_xor_b32_e32 v2, vcc_lo, v2
	v_and_b32_e32 v28, v28, v2
	v_lshlrev_b32_e32 v2, 29, v3
	v_cmp_gt_i64_e32 vcc, 0, v[1:2]
	v_not_b32_e32 v2, v2
	v_ashrrev_i32_e32 v2, 31, v2
	v_and_b32_e32 v29, v29, v30
	v_xor_b32_e32 v30, vcc_hi, v2
	v_xor_b32_e32 v2, vcc_lo, v2
	v_and_b32_e32 v28, v28, v2
	v_lshlrev_b32_e32 v2, 28, v3
	v_cmp_gt_i64_e32 vcc, 0, v[1:2]
	v_not_b32_e32 v2, v2
	v_ashrrev_i32_e32 v2, 31, v2
	v_and_b32_e32 v29, v29, v30
	;; [unrolled: 8-line block ×5, first 2 shown]
	v_xor_b32_e32 v30, vcc_hi, v2
	v_xor_b32_e32 v2, vcc_lo, v2
	v_and_b32_e32 v28, v28, v2
	v_lshlrev_b32_e32 v2, 24, v3
	v_cmp_gt_i64_e32 vcc, 0, v[1:2]
	v_not_b32_e32 v2, v2
	v_ashrrev_i32_e32 v2, 31, v2
	v_mul_u32_u24_e32 v4, 36, v3
	v_xor_b32_e32 v3, vcc_hi, v2
	v_xor_b32_e32 v2, vcc_lo, v2
	v_and_b32_e32 v29, v29, v30
	v_and_b32_e32 v2, v28, v2
	v_and_b32_e32 v3, v29, v3
	v_mbcnt_lo_u32_b32 v28, v2, 0
	v_mbcnt_hi_u32_b32 v28, v3, v28
	v_cmp_ne_u64_e32 vcc, 0, v[2:3]
	v_cmp_eq_u32_e64 s[0:1], 0, v28
	s_and_b64 s[2:3], vcc, s[0:1]
	v_add_u32_e32 v31, v18, v4
	; wave barrier
	s_and_saveexec_b64 s[0:1], s[2:3]
	s_cbranch_execz .LBB38_107
; %bb.106:
	v_bcnt_u32_b32 v2, v2, 0
	v_bcnt_u32_b32 v2, v3, v2
	s_waitcnt lgkmcnt(0)
	v_add_u32_e32 v2, v26, v2
	ds_write_b32 v31, v2 offset:32
.LBB38_107:
	s_or_b64 exec, exec, s[0:1]
	v_xor_b32_e32 v29, 0x7f, v17
	v_lshrrev_b32_sdwa v2, s48, v29 dst_sel:DWORD dst_unused:UNUSED_PAD src0_sel:DWORD src1_sel:BYTE_0
	v_and_b32_e32 v3, s12, v2
	v_mad_u32_u24 v2, v3, 36, v18
	; wave barrier
	ds_read_b32 v30, v2 offset:32
	v_and_b32_e32 v2, 1, v3
	v_add_co_u32_e32 v17, vcc, -1, v2
	v_addc_co_u32_e64 v32, s[0:1], 0, -1, vcc
	v_cmp_ne_u32_e32 vcc, 0, v2
	v_xor_b32_e32 v2, vcc_hi, v32
	v_and_b32_e32 v32, exec_hi, v2
	v_lshlrev_b32_e32 v2, 30, v3
	v_xor_b32_e32 v17, vcc_lo, v17
	v_cmp_gt_i64_e32 vcc, 0, v[1:2]
	v_not_b32_e32 v2, v2
	v_ashrrev_i32_e32 v2, 31, v2
	v_and_b32_e32 v17, exec_lo, v17
	v_xor_b32_e32 v33, vcc_hi, v2
	v_xor_b32_e32 v2, vcc_lo, v2
	v_and_b32_e32 v17, v17, v2
	v_lshlrev_b32_e32 v2, 29, v3
	v_cmp_gt_i64_e32 vcc, 0, v[1:2]
	v_not_b32_e32 v2, v2
	v_ashrrev_i32_e32 v2, 31, v2
	v_and_b32_e32 v32, v32, v33
	v_xor_b32_e32 v33, vcc_hi, v2
	v_xor_b32_e32 v2, vcc_lo, v2
	v_and_b32_e32 v17, v17, v2
	v_lshlrev_b32_e32 v2, 28, v3
	v_cmp_gt_i64_e32 vcc, 0, v[1:2]
	v_not_b32_e32 v2, v2
	v_ashrrev_i32_e32 v2, 31, v2
	v_and_b32_e32 v32, v32, v33
	;; [unrolled: 8-line block ×5, first 2 shown]
	v_xor_b32_e32 v33, vcc_hi, v2
	v_xor_b32_e32 v2, vcc_lo, v2
	v_and_b32_e32 v17, v17, v2
	v_lshlrev_b32_e32 v2, 24, v3
	v_cmp_gt_i64_e32 vcc, 0, v[1:2]
	v_not_b32_e32 v1, v2
	v_ashrrev_i32_e32 v1, 31, v1
	v_xor_b32_e32 v2, vcc_hi, v1
	v_xor_b32_e32 v1, vcc_lo, v1
	v_and_b32_e32 v32, v32, v33
	v_and_b32_e32 v1, v17, v1
	v_mul_u32_u24_e32 v4, 36, v3
	v_and_b32_e32 v2, v32, v2
	v_mbcnt_lo_u32_b32 v3, v1, 0
	v_mbcnt_hi_u32_b32 v32, v2, v3
	v_cmp_ne_u64_e32 vcc, 0, v[1:2]
	v_cmp_eq_u32_e64 s[0:1], 0, v32
	s_and_b64 s[2:3], vcc, s[0:1]
	v_add_u32_e32 v17, v18, v4
	; wave barrier
	s_and_saveexec_b64 s[0:1], s[2:3]
	s_cbranch_execz .LBB38_109
; %bb.108:
	v_bcnt_u32_b32 v1, v1, 0
	v_bcnt_u32_b32 v1, v2, v1
	s_waitcnt lgkmcnt(0)
	v_add_u32_e32 v1, v30, v1
	ds_write_b32 v17, v1 offset:32
.LBB38_109:
	s_or_b64 exec, exec, s[0:1]
	; wave barrier
	s_waitcnt lgkmcnt(0)
	s_barrier
	ds_read2_b32 v[3:4], v6 offset0:8 offset1:9
	ds_read2_b32 v[1:2], v6 offset0:10 offset1:11
	ds_read_b32 v18, v6 offset:48
	v_min_u32_e32 v7, 0x1c0, v7
	v_or_b32_e32 v7, 63, v7
	s_waitcnt lgkmcnt(1)
	v_add3_u32 v33, v4, v3, v1
	s_waitcnt lgkmcnt(0)
	v_add3_u32 v18, v33, v2, v18
	v_and_b32_e32 v33, 15, v10
	v_cmp_ne_u32_e32 vcc, 0, v33
	v_mov_b32_dpp v34, v18 row_shr:1 row_mask:0xf bank_mask:0xf
	v_cndmask_b32_e32 v34, 0, v34, vcc
	v_add_u32_e32 v18, v34, v18
	v_cmp_lt_u32_e32 vcc, 1, v33
	s_nop 0
	v_mov_b32_dpp v34, v18 row_shr:2 row_mask:0xf bank_mask:0xf
	v_cndmask_b32_e32 v34, 0, v34, vcc
	v_add_u32_e32 v18, v18, v34
	v_cmp_lt_u32_e32 vcc, 3, v33
	s_nop 0
	;; [unrolled: 5-line block ×3, first 2 shown]
	v_mov_b32_dpp v34, v18 row_shr:8 row_mask:0xf bank_mask:0xf
	v_cndmask_b32_e32 v33, 0, v34, vcc
	v_add_u32_e32 v18, v18, v33
	v_bfe_i32 v34, v10, 4, 1
	v_cmp_lt_u32_e32 vcc, 31, v10
	v_mov_b32_dpp v33, v18 row_bcast:15 row_mask:0xf bank_mask:0xf
	v_and_b32_e32 v33, v34, v33
	v_add_u32_e32 v18, v18, v33
	s_nop 1
	v_mov_b32_dpp v33, v18 row_bcast:31 row_mask:0xf bank_mask:0xf
	v_cndmask_b32_e32 v33, 0, v33, vcc
	v_add_u32_e32 v18, v18, v33
	v_lshrrev_b32_e32 v33, 6, v0
	v_cmp_eq_u32_e32 vcc, v0, v7
	s_and_saveexec_b64 s[0:1], vcc
; %bb.110:
	v_lshlrev_b32_e32 v7, 2, v33
	ds_write_b32 v7, v18
; %bb.111:
	s_or_b64 exec, exec, s[0:1]
	v_cmp_gt_u32_e32 vcc, 8, v0
	s_waitcnt lgkmcnt(0)
	s_barrier
	s_and_saveexec_b64 s[0:1], vcc
	s_cbranch_execz .LBB38_113
; %bb.112:
	v_lshlrev_b32_e32 v7, 2, v0
	ds_read_b32 v34, v7
	v_and_b32_e32 v35, 7, v10
	v_cmp_ne_u32_e32 vcc, 0, v35
	s_waitcnt lgkmcnt(0)
	v_mov_b32_dpp v36, v34 row_shr:1 row_mask:0xf bank_mask:0xf
	v_cndmask_b32_e32 v36, 0, v36, vcc
	v_add_u32_e32 v34, v36, v34
	v_cmp_lt_u32_e32 vcc, 1, v35
	s_nop 0
	v_mov_b32_dpp v36, v34 row_shr:2 row_mask:0xf bank_mask:0xf
	v_cndmask_b32_e32 v36, 0, v36, vcc
	v_add_u32_e32 v34, v34, v36
	v_cmp_lt_u32_e32 vcc, 3, v35
	s_nop 0
	v_mov_b32_dpp v36, v34 row_shr:4 row_mask:0xf bank_mask:0xf
	v_cndmask_b32_e32 v35, 0, v36, vcc
	v_add_u32_e32 v34, v34, v35
	ds_write_b32 v7, v34
.LBB38_113:
	s_or_b64 exec, exec, s[0:1]
	v_cmp_lt_u32_e32 vcc, 63, v0
	v_mov_b32_e32 v7, 0
	s_waitcnt lgkmcnt(0)
	s_barrier
	s_and_saveexec_b64 s[0:1], vcc
; %bb.114:
	v_lshl_add_u32 v7, v33, 2, -4
	ds_read_b32 v7, v7
; %bb.115:
	s_or_b64 exec, exec, s[0:1]
	v_add_u32_e32 v33, -1, v10
	v_and_b32_e32 v34, 64, v10
	v_cmp_lt_i32_e32 vcc, v33, v34
	v_cndmask_b32_e32 v33, v33, v10, vcc
	s_waitcnt lgkmcnt(0)
	v_add_u32_e32 v18, v7, v18
	v_lshlrev_b32_e32 v33, 2, v33
	ds_bpermute_b32 v18, v33, v18
	v_cmp_eq_u32_e32 vcc, 0, v10
	s_movk_i32 s0, 0xff
	s_movk_i32 s2, 0x100
	s_waitcnt lgkmcnt(0)
	v_cndmask_b32_e32 v7, v18, v7, vcc
	v_cmp_ne_u32_e32 vcc, 0, v0
	v_cndmask_b32_e32 v7, 0, v7, vcc
	v_add_u32_e32 v3, v7, v3
	v_add_u32_e32 v4, v3, v4
	;; [unrolled: 1-line block ×4, first 2 shown]
	ds_write2_b32 v6, v7, v3 offset0:8 offset1:9
	ds_write2_b32 v6, v4, v1 offset0:10 offset1:11
	ds_write_b32 v6, v2 offset:48
	s_waitcnt lgkmcnt(0)
	s_barrier
	ds_read_b32 v3, v13 offset:32
	ds_read_b32 v4, v19 offset:32
	;; [unrolled: 1-line block ×6, first 2 shown]
	v_mov_b32_e32 v1, 0
	v_cmp_lt_u32_e32 vcc, s0, v0
	v_mov_b32_e32 v2, 0
	v_cmp_gt_u32_e64 s[0:1], s2, v0
                                        ; implicit-def: $vgpr13
	s_and_saveexec_b64 s[4:5], s[0:1]
	s_cbranch_execz .LBB38_119
; %bb.116:
	v_mul_u32_u24_e32 v1, 36, v0
	ds_read_b32 v1, v1 offset:32
	v_add_u32_e32 v13, 1, v0
	v_cmp_ne_u32_e64 s[2:3], s2, v13
	v_mov_b32_e32 v2, 0xc00
	s_and_saveexec_b64 s[8:9], s[2:3]
; %bb.117:
	v_mul_u32_u24_e32 v2, 36, v13
	ds_read_b32 v2, v2 offset:32
; %bb.118:
	s_or_b64 exec, exec, s[8:9]
	s_waitcnt lgkmcnt(0)
	v_sub_u32_e32 v13, v2, v1
	v_mov_b32_e32 v2, 0
.LBB38_119:
	s_or_b64 exec, exec, s[4:5]
	s_waitcnt lgkmcnt(5)
	v_add_u32_e32 v19, v3, v8
	s_waitcnt lgkmcnt(4)
	v_add3_u32 v18, v14, v12, v4
	s_waitcnt lgkmcnt(3)
	v_add3_u32 v17, v20, v16, v6
	s_waitcnt lgkmcnt(2)
	v_add3_u32 v16, v25, v22, v7
	s_waitcnt lgkmcnt(1)
	v_add3_u32 v14, v28, v26, v24
	s_waitcnt lgkmcnt(0)
	v_add3_u32 v12, v32, v30, v27
	s_barrier
	ds_write_b8 v19, v5 offset:2048
	ds_write_b8 v18, v11 offset:2048
	;; [unrolled: 1-line block ×6, first 2 shown]
	v_mov_b32_e32 v4, 0
	v_lshlrev_b32_e32 v11, 3, v0
	s_waitcnt lgkmcnt(0)
	s_barrier
	s_and_saveexec_b64 s[2:3], s[0:1]
	s_cbranch_execz .LBB38_129
; %bb.120:
	v_lshl_add_u32 v3, s6, 8, v0
	v_lshlrev_b64 v[5:6], 2, v[3:4]
	v_mov_b32_e32 v15, s35
	v_add_co_u32_e64 v5, s[0:1], s34, v5
	v_addc_co_u32_e64 v6, s[0:1], v15, v6, s[0:1]
	v_or_b32_e32 v3, 2.0, v13
	s_mov_b64 s[4:5], 0
	s_brev_b32 s13, -4
	s_mov_b32 s14, s6
	v_mov_b32_e32 v20, 0
	global_store_dword v[5:6], v3, off
                                        ; implicit-def: $sgpr0_sgpr1
	s_branch .LBB38_123
.LBB38_121:                             ;   in Loop: Header=BB38_123 Depth=1
	s_or_b64 exec, exec, s[10:11]
.LBB38_122:                             ;   in Loop: Header=BB38_123 Depth=1
	s_or_b64 exec, exec, s[8:9]
	v_and_b32_e32 v7, 0x3fffffff, v3
	v_add_u32_e32 v20, v7, v20
	v_cmp_gt_i32_e64 s[0:1], -2.0, v3
	s_and_b64 s[8:9], exec, s[0:1]
	s_or_b64 s[4:5], s[8:9], s[4:5]
	s_andn2_b64 exec, exec, s[4:5]
	s_cbranch_execz .LBB38_128
.LBB38_123:                             ; =>This Loop Header: Depth=1
                                        ;     Child Loop BB38_126 Depth 2
	s_or_b64 s[0:1], s[0:1], exec
	s_cmp_eq_u32 s14, 0
	s_cbranch_scc1 .LBB38_127
; %bb.124:                              ;   in Loop: Header=BB38_123 Depth=1
	s_add_i32 s14, s14, -1
	v_lshl_or_b32 v3, s14, 8, v0
	v_lshlrev_b64 v[7:8], 2, v[3:4]
	v_add_co_u32_e64 v7, s[0:1], s34, v7
	v_addc_co_u32_e64 v8, s[0:1], v15, v8, s[0:1]
	global_load_dword v3, v[7:8], off glc
	s_waitcnt vmcnt(0)
	v_cmp_gt_u32_e64 s[0:1], 2.0, v3
	s_and_saveexec_b64 s[8:9], s[0:1]
	s_cbranch_execz .LBB38_122
; %bb.125:                              ;   in Loop: Header=BB38_123 Depth=1
	s_mov_b64 s[10:11], 0
.LBB38_126:                             ;   Parent Loop BB38_123 Depth=1
                                        ; =>  This Inner Loop Header: Depth=2
	global_load_dword v3, v[7:8], off glc
	s_waitcnt vmcnt(0)
	v_cmp_lt_u32_e64 s[0:1], s13, v3
	s_or_b64 s[10:11], s[0:1], s[10:11]
	s_andn2_b64 exec, exec, s[10:11]
	s_cbranch_execnz .LBB38_126
	s_branch .LBB38_121
.LBB38_127:                             ;   in Loop: Header=BB38_123 Depth=1
                                        ; implicit-def: $sgpr14
	s_and_b64 s[8:9], exec, s[0:1]
	s_or_b64 s[4:5], s[8:9], s[4:5]
	s_andn2_b64 exec, exec, s[4:5]
	s_cbranch_execnz .LBB38_123
.LBB38_128:
	s_or_b64 exec, exec, s[4:5]
	v_add_u32_e32 v3, v20, v13
	v_or_b32_e32 v3, 0x80000000, v3
	global_store_dword v[5:6], v3, off
	global_load_dwordx2 v[3:4], v11, s[44:45]
	v_sub_co_u32_e64 v5, s[0:1], v20, v1
	v_subb_co_u32_e64 v6, s[0:1], 0, v2, s[0:1]
	s_waitcnt vmcnt(0)
	v_add_co_u32_e64 v3, s[0:1], v5, v3
	v_addc_co_u32_e64 v4, s[0:1], v6, v4, s[0:1]
	ds_write_b64 v11, v[3:4]
.LBB38_129:
	s_or_b64 exec, exec, s[2:3]
	s_waitcnt lgkmcnt(0)
	s_barrier
	ds_read_u8 v15, v0 offset:4096
	ds_read_u8 v26, v0 offset:3072
	;; [unrolled: 1-line block ×5, first 2 shown]
	s_waitcnt lgkmcnt(4)
	v_lshrrev_b32_sdwa v3, s48, v15 dst_sel:DWORD dst_unused:UNUSED_PAD src0_sel:DWORD src1_sel:BYTE_0
	v_and_b32_e32 v3, s12, v3
	v_lshlrev_b32_e32 v29, 3, v3
	s_waitcnt lgkmcnt(1)
	v_lshrrev_b32_sdwa v3, s48, v28 dst_sel:DWORD dst_unused:UNUSED_PAD src0_sel:DWORD src1_sel:BYTE_0
	v_and_b32_e32 v3, s12, v3
	v_lshlrev_b32_e32 v30, 3, v3
	ds_read_u8 v31, v0 offset:2560
	ds_read_b64 v[3:4], v29
	ds_read_b64 v[5:6], v30
	s_waitcnt lgkmcnt(3)
	v_lshrrev_b32_sdwa v8, s48, v7 dst_sel:DWORD dst_unused:UNUSED_PAD src0_sel:DWORD src1_sel:BYTE_0
	v_xor_b32_e32 v32, 0x7f, v7
	s_waitcnt lgkmcnt(2)
	v_lshrrev_b32_sdwa v7, s48, v31 dst_sel:DWORD dst_unused:UNUSED_PAD src0_sel:DWORD src1_sel:BYTE_0
	v_and_b32_e32 v7, s12, v7
	v_lshlrev_b32_e32 v35, 3, v7
	v_lshrrev_b32_sdwa v7, s48, v26 dst_sel:DWORD dst_unused:UNUSED_PAD src0_sel:DWORD src1_sel:BYTE_0
	v_and_b32_e32 v7, s12, v7
	v_and_b32_e32 v8, s12, v8
	v_lshlrev_b32_e32 v36, 3, v7
	v_lshrrev_b32_sdwa v7, s48, v27 dst_sel:DWORD dst_unused:UNUSED_PAD src0_sel:DWORD src1_sel:BYTE_0
	v_lshlrev_b32_e32 v33, 3, v8
	v_and_b32_e32 v7, s12, v7
	v_lshlrev_b32_e32 v37, 3, v7
	ds_read_b64 v[7:8], v33
	ds_read_b64 v[20:21], v35
	;; [unrolled: 1-line block ×4, first 2 shown]
	v_mov_b32_e32 v34, s39
	s_waitcnt lgkmcnt(3)
	v_add_co_u32_e64 v7, s[0:1], s38, v7
	v_addc_co_u32_e64 v8, s[0:1], v34, v8, s[0:1]
	v_add_co_u32_e64 v7, s[0:1], v7, v0
	v_addc_co_u32_e64 v8, s[0:1], 0, v8, s[0:1]
	global_store_byte v[7:8], v32, off
	v_mov_b32_e32 v7, s39
	s_waitcnt lgkmcnt(2)
	v_add_co_u32_e64 v8, s[0:1], s38, v20
	v_addc_co_u32_e64 v20, s[0:1], v7, v21, s[0:1]
	v_add_co_u32_e64 v7, s[0:1], v8, v0
	v_xor_b32_e32 v31, 0x7f, v31
	v_addc_co_u32_e64 v8, s[0:1], 0, v20, s[0:1]
	global_store_byte v[7:8], v31, off offset:512
	v_mov_b32_e32 v7, s39
	s_waitcnt lgkmcnt(1)
	v_add_co_u32_e64 v8, s[0:1], s38, v22
	v_addc_co_u32_e64 v21, s[0:1], v7, v23, s[0:1]
	v_add_co_u32_e64 v7, s[0:1], v8, v0
	v_xor_b32_e32 v20, 0x7f, v26
	v_addc_co_u32_e64 v8, s[0:1], 0, v21, s[0:1]
	global_store_byte v[7:8], v20, off offset:1024
	;; [unrolled: 8-line block ×3, first 2 shown]
	v_mov_b32_e32 v8, s39
	v_add_co_u32_e64 v3, s[0:1], s38, v3
	v_addc_co_u32_e64 v4, s[0:1], v8, v4, s[0:1]
	v_add_co_u32_e64 v3, s[0:1], v3, v0
	v_xor_b32_e32 v7, 0x7f, v15
	v_addc_co_u32_e64 v4, s[0:1], 0, v4, s[0:1]
	global_store_byte v[3:4], v7, off offset:2048
	v_mov_b32_e32 v3, s39
	v_add_co_u32_e64 v4, s[0:1], s38, v5
	v_addc_co_u32_e64 v5, s[0:1], v3, v6, s[0:1]
	v_add_co_u32_e64 v3, s[0:1], v4, v0
	v_addc_co_u32_e64 v4, s[0:1], 0, v5, s[0:1]
	s_lshl_b64 s[0:1], s[30:31], 3
	v_xor_b32_e32 v7, 0x7f, v28
	s_add_u32 s0, s40, s0
	global_store_byte v[3:4], v7, off offset:2560
	s_addc_u32 s1, s41, s1
	v_lshlrev_b32_e32 v3, 3, v10
	v_mov_b32_e32 v4, s1
	v_add_co_u32_e64 v3, s[0:1], s0, v3
	v_addc_co_u32_e64 v4, s[0:1], 0, v4, s[0:1]
	v_lshlrev_b32_e32 v5, 3, v9
	v_add_co_u32_e64 v3, s[0:1], v3, v5
	v_addc_co_u32_e64 v4, s[0:1], 0, v4, s[0:1]
	global_load_dwordx2 v[5:6], v[3:4], off
	global_load_dwordx2 v[7:8], v[3:4], off offset:512
	global_load_dwordx2 v[9:10], v[3:4], off offset:1024
	;; [unrolled: 1-line block ×5, first 2 shown]
	v_lshlrev_b32_e32 v3, 3, v19
	s_waitcnt vmcnt(0)
	s_barrier
	v_mad_u32_u24 v0, v0, 7, v0
	s_add_i32 s7, s7, -1
	s_cmp_eq_u32 s6, s7
	ds_write_b64 v3, v[5:6] offset:2048
	v_lshlrev_b32_e32 v3, 3, v18
	ds_write_b64 v3, v[7:8] offset:2048
	v_lshlrev_b32_e32 v3, 3, v17
	;; [unrolled: 2-line block ×5, first 2 shown]
	ds_write_b64 v3, v[24:25] offset:2048
	s_waitcnt lgkmcnt(0)
	s_barrier
	ds_read_b64 v[7:8], v33
	ds_read2st64_b64 v[3:6], v0 offset0:4 offset1:12
	ds_read_b64 v[9:10], v35
	ds_read_b64 v[14:15], v36
	;; [unrolled: 1-line block ×3, first 2 shown]
	s_waitcnt lgkmcnt(4)
	v_lshlrev_b64 v[7:8], 3, v[7:8]
	v_mov_b32_e32 v12, s43
	v_add_co_u32_e64 v7, s[0:1], s42, v7
	v_addc_co_u32_e64 v8, s[0:1], v12, v8, s[0:1]
	v_add_co_u32_e64 v7, s[0:1], v7, v11
	v_addc_co_u32_e64 v8, s[0:1], 0, v8, s[0:1]
	s_waitcnt lgkmcnt(3)
	global_store_dwordx2 v[7:8], v[3:4], off
	s_waitcnt lgkmcnt(2)
	v_lshlrev_b64 v[3:4], 3, v[9:10]
	v_mov_b32_e32 v7, s43
	v_add_co_u32_e64 v3, s[0:1], s42, v3
	v_addc_co_u32_e64 v4, s[0:1], v7, v4, s[0:1]
	v_or_b32_e32 v7, 0x1000, v11
	v_add_co_u32_e64 v3, s[0:1], v3, v7
	v_addc_co_u32_e64 v4, s[0:1], 0, v4, s[0:1]
	s_waitcnt lgkmcnt(1)
	v_lshlrev_b64 v[7:8], 3, v[14:15]
	global_store_dwordx2 v[3:4], v[5:6], off
	ds_read2st64_b64 v[3:6], v0 offset0:20 offset1:28
	v_mov_b32_e32 v9, s43
	v_add_co_u32_e64 v7, s[0:1], s42, v7
	v_addc_co_u32_e64 v8, s[0:1], v9, v8, s[0:1]
	v_or_b32_e32 v9, 0x2000, v11
	v_add_co_u32_e64 v7, s[0:1], v7, v9
	v_addc_co_u32_e64 v8, s[0:1], 0, v8, s[0:1]
	s_waitcnt lgkmcnt(0)
	global_store_dwordx2 v[7:8], v[3:4], off
	v_lshlrev_b64 v[3:4], 3, v[16:17]
	v_mov_b32_e32 v7, s43
	v_add_co_u32_e64 v3, s[0:1], s42, v3
	v_addc_co_u32_e64 v4, s[0:1], v7, v4, s[0:1]
	ds_read_b64 v[7:8], v29
	v_or_b32_e32 v9, 0x3000, v11
	v_add_co_u32_e64 v3, s[0:1], v3, v9
	v_addc_co_u32_e64 v4, s[0:1], 0, v4, s[0:1]
	global_store_dwordx2 v[3:4], v[5:6], off
	s_waitcnt lgkmcnt(0)
	v_lshlrev_b64 v[7:8], 3, v[7:8]
	ds_read2st64_b64 v[3:6], v0 offset0:36 offset1:44
	ds_read_b64 v[9:10], v30
	v_mov_b32_e32 v0, s43
	v_add_co_u32_e64 v7, s[0:1], s42, v7
	v_addc_co_u32_e64 v0, s[0:1], v0, v8, s[0:1]
	v_or_b32_e32 v8, 0x4000, v11
	v_add_co_u32_e64 v7, s[0:1], v7, v8
	v_addc_co_u32_e64 v8, s[0:1], 0, v0, s[0:1]
	s_waitcnt lgkmcnt(1)
	global_store_dwordx2 v[7:8], v[3:4], off
	s_waitcnt lgkmcnt(0)
	v_lshlrev_b64 v[3:4], 3, v[9:10]
	v_mov_b32_e32 v0, s43
	v_add_co_u32_e64 v3, s[0:1], s42, v3
	v_addc_co_u32_e64 v0, s[0:1], v0, v4, s[0:1]
	v_or_b32_e32 v4, 0x5000, v11
	v_add_co_u32_e64 v3, s[0:1], v3, v4
	v_addc_co_u32_e64 v4, s[0:1], 0, v0, s[0:1]
	s_cselect_b64 s[0:1], -1, 0
	s_xor_b64 s[2:3], vcc, -1
	s_and_b64 s[0:1], s[2:3], s[0:1]
	global_store_dwordx2 v[3:4], v[5:6], off
	s_and_saveexec_b64 s[2:3], s[0:1]
	s_cbranch_execz .LBB38_131
; %bb.130:
	ds_read_b64 v[3:4], v11
	v_add_co_u32_e32 v0, vcc, v1, v13
	v_addc_co_u32_e32 v1, vcc, 0, v2, vcc
	s_waitcnt lgkmcnt(0)
	v_add_co_u32_e32 v0, vcc, v0, v3
	v_addc_co_u32_e32 v1, vcc, v1, v4, vcc
	global_store_dwordx2 v11, v[0:1], s[46:47]
.LBB38_131:
	s_endpgm
	.section	.rodata,"a",@progbits
	.p2align	6, 0x0
	.amdhsa_kernel _ZN7rocprim17ROCPRIM_304000_NS6detail25onesweep_iteration_kernelINS1_34wrapped_radix_sort_onesweep_configINS0_14default_configEaN2at4cuda3cub6detail10OpaqueTypeILi8EEEEELb1EPKaPaPKSA_PSA_mNS0_19identity_decomposerEEEvT1_T2_T3_T4_jPT5_SO_PNS1_23onesweep_lookback_stateET6_jjj
		.amdhsa_group_segment_fixed_size 26624
		.amdhsa_private_segment_fixed_size 0
		.amdhsa_kernarg_size 336
		.amdhsa_user_sgpr_count 6
		.amdhsa_user_sgpr_private_segment_buffer 1
		.amdhsa_user_sgpr_dispatch_ptr 0
		.amdhsa_user_sgpr_queue_ptr 0
		.amdhsa_user_sgpr_kernarg_segment_ptr 1
		.amdhsa_user_sgpr_dispatch_id 0
		.amdhsa_user_sgpr_flat_scratch_init 0
		.amdhsa_user_sgpr_private_segment_size 0
		.amdhsa_uses_dynamic_stack 0
		.amdhsa_system_sgpr_private_segment_wavefront_offset 0
		.amdhsa_system_sgpr_workgroup_id_x 1
		.amdhsa_system_sgpr_workgroup_id_y 0
		.amdhsa_system_sgpr_workgroup_id_z 0
		.amdhsa_system_sgpr_workgroup_info 0
		.amdhsa_system_vgpr_workitem_id 2
		.amdhsa_next_free_vgpr 49
		.amdhsa_next_free_sgpr 98
		.amdhsa_reserve_vcc 1
		.amdhsa_reserve_flat_scratch 0
		.amdhsa_float_round_mode_32 0
		.amdhsa_float_round_mode_16_64 0
		.amdhsa_float_denorm_mode_32 3
		.amdhsa_float_denorm_mode_16_64 3
		.amdhsa_dx10_clamp 1
		.amdhsa_ieee_mode 1
		.amdhsa_fp16_overflow 0
		.amdhsa_exception_fp_ieee_invalid_op 0
		.amdhsa_exception_fp_denorm_src 0
		.amdhsa_exception_fp_ieee_div_zero 0
		.amdhsa_exception_fp_ieee_overflow 0
		.amdhsa_exception_fp_ieee_underflow 0
		.amdhsa_exception_fp_ieee_inexact 0
		.amdhsa_exception_int_div_zero 0
	.end_amdhsa_kernel
	.section	.text._ZN7rocprim17ROCPRIM_304000_NS6detail25onesweep_iteration_kernelINS1_34wrapped_radix_sort_onesweep_configINS0_14default_configEaN2at4cuda3cub6detail10OpaqueTypeILi8EEEEELb1EPKaPaPKSA_PSA_mNS0_19identity_decomposerEEEvT1_T2_T3_T4_jPT5_SO_PNS1_23onesweep_lookback_stateET6_jjj,"axG",@progbits,_ZN7rocprim17ROCPRIM_304000_NS6detail25onesweep_iteration_kernelINS1_34wrapped_radix_sort_onesweep_configINS0_14default_configEaN2at4cuda3cub6detail10OpaqueTypeILi8EEEEELb1EPKaPaPKSA_PSA_mNS0_19identity_decomposerEEEvT1_T2_T3_T4_jPT5_SO_PNS1_23onesweep_lookback_stateET6_jjj,comdat
.Lfunc_end38:
	.size	_ZN7rocprim17ROCPRIM_304000_NS6detail25onesweep_iteration_kernelINS1_34wrapped_radix_sort_onesweep_configINS0_14default_configEaN2at4cuda3cub6detail10OpaqueTypeILi8EEEEELb1EPKaPaPKSA_PSA_mNS0_19identity_decomposerEEEvT1_T2_T3_T4_jPT5_SO_PNS1_23onesweep_lookback_stateET6_jjj, .Lfunc_end38-_ZN7rocprim17ROCPRIM_304000_NS6detail25onesweep_iteration_kernelINS1_34wrapped_radix_sort_onesweep_configINS0_14default_configEaN2at4cuda3cub6detail10OpaqueTypeILi8EEEEELb1EPKaPaPKSA_PSA_mNS0_19identity_decomposerEEEvT1_T2_T3_T4_jPT5_SO_PNS1_23onesweep_lookback_stateET6_jjj
                                        ; -- End function
	.set _ZN7rocprim17ROCPRIM_304000_NS6detail25onesweep_iteration_kernelINS1_34wrapped_radix_sort_onesweep_configINS0_14default_configEaN2at4cuda3cub6detail10OpaqueTypeILi8EEEEELb1EPKaPaPKSA_PSA_mNS0_19identity_decomposerEEEvT1_T2_T3_T4_jPT5_SO_PNS1_23onesweep_lookback_stateET6_jjj.num_vgpr, 40
	.set _ZN7rocprim17ROCPRIM_304000_NS6detail25onesweep_iteration_kernelINS1_34wrapped_radix_sort_onesweep_configINS0_14default_configEaN2at4cuda3cub6detail10OpaqueTypeILi8EEEEELb1EPKaPaPKSA_PSA_mNS0_19identity_decomposerEEEvT1_T2_T3_T4_jPT5_SO_PNS1_23onesweep_lookback_stateET6_jjj.num_agpr, 0
	.set _ZN7rocprim17ROCPRIM_304000_NS6detail25onesweep_iteration_kernelINS1_34wrapped_radix_sort_onesweep_configINS0_14default_configEaN2at4cuda3cub6detail10OpaqueTypeILi8EEEEELb1EPKaPaPKSA_PSA_mNS0_19identity_decomposerEEEvT1_T2_T3_T4_jPT5_SO_PNS1_23onesweep_lookback_stateET6_jjj.numbered_sgpr, 53
	.set _ZN7rocprim17ROCPRIM_304000_NS6detail25onesweep_iteration_kernelINS1_34wrapped_radix_sort_onesweep_configINS0_14default_configEaN2at4cuda3cub6detail10OpaqueTypeILi8EEEEELb1EPKaPaPKSA_PSA_mNS0_19identity_decomposerEEEvT1_T2_T3_T4_jPT5_SO_PNS1_23onesweep_lookback_stateET6_jjj.num_named_barrier, 0
	.set _ZN7rocprim17ROCPRIM_304000_NS6detail25onesweep_iteration_kernelINS1_34wrapped_radix_sort_onesweep_configINS0_14default_configEaN2at4cuda3cub6detail10OpaqueTypeILi8EEEEELb1EPKaPaPKSA_PSA_mNS0_19identity_decomposerEEEvT1_T2_T3_T4_jPT5_SO_PNS1_23onesweep_lookback_stateET6_jjj.private_seg_size, 0
	.set _ZN7rocprim17ROCPRIM_304000_NS6detail25onesweep_iteration_kernelINS1_34wrapped_radix_sort_onesweep_configINS0_14default_configEaN2at4cuda3cub6detail10OpaqueTypeILi8EEEEELb1EPKaPaPKSA_PSA_mNS0_19identity_decomposerEEEvT1_T2_T3_T4_jPT5_SO_PNS1_23onesweep_lookback_stateET6_jjj.uses_vcc, 1
	.set _ZN7rocprim17ROCPRIM_304000_NS6detail25onesweep_iteration_kernelINS1_34wrapped_radix_sort_onesweep_configINS0_14default_configEaN2at4cuda3cub6detail10OpaqueTypeILi8EEEEELb1EPKaPaPKSA_PSA_mNS0_19identity_decomposerEEEvT1_T2_T3_T4_jPT5_SO_PNS1_23onesweep_lookback_stateET6_jjj.uses_flat_scratch, 0
	.set _ZN7rocprim17ROCPRIM_304000_NS6detail25onesweep_iteration_kernelINS1_34wrapped_radix_sort_onesweep_configINS0_14default_configEaN2at4cuda3cub6detail10OpaqueTypeILi8EEEEELb1EPKaPaPKSA_PSA_mNS0_19identity_decomposerEEEvT1_T2_T3_T4_jPT5_SO_PNS1_23onesweep_lookback_stateET6_jjj.has_dyn_sized_stack, 0
	.set _ZN7rocprim17ROCPRIM_304000_NS6detail25onesweep_iteration_kernelINS1_34wrapped_radix_sort_onesweep_configINS0_14default_configEaN2at4cuda3cub6detail10OpaqueTypeILi8EEEEELb1EPKaPaPKSA_PSA_mNS0_19identity_decomposerEEEvT1_T2_T3_T4_jPT5_SO_PNS1_23onesweep_lookback_stateET6_jjj.has_recursion, 0
	.set _ZN7rocprim17ROCPRIM_304000_NS6detail25onesweep_iteration_kernelINS1_34wrapped_radix_sort_onesweep_configINS0_14default_configEaN2at4cuda3cub6detail10OpaqueTypeILi8EEEEELb1EPKaPaPKSA_PSA_mNS0_19identity_decomposerEEEvT1_T2_T3_T4_jPT5_SO_PNS1_23onesweep_lookback_stateET6_jjj.has_indirect_call, 0
	.section	.AMDGPU.csdata,"",@progbits
; Kernel info:
; codeLenInByte = 11084
; TotalNumSgprs: 57
; NumVgprs: 40
; ScratchSize: 0
; MemoryBound: 0
; FloatMode: 240
; IeeeMode: 1
; LDSByteSize: 26624 bytes/workgroup (compile time only)
; SGPRBlocks: 12
; VGPRBlocks: 12
; NumSGPRsForWavesPerEU: 102
; NumVGPRsForWavesPerEU: 49
; Occupancy: 4
; WaveLimiterHint : 1
; COMPUTE_PGM_RSRC2:SCRATCH_EN: 0
; COMPUTE_PGM_RSRC2:USER_SGPR: 6
; COMPUTE_PGM_RSRC2:TRAP_HANDLER: 0
; COMPUTE_PGM_RSRC2:TGID_X_EN: 1
; COMPUTE_PGM_RSRC2:TGID_Y_EN: 0
; COMPUTE_PGM_RSRC2:TGID_Z_EN: 0
; COMPUTE_PGM_RSRC2:TIDIG_COMP_CNT: 2
	.section	.text._ZN7rocprim17ROCPRIM_304000_NS6detail25onesweep_iteration_kernelINS1_34wrapped_radix_sort_onesweep_configINS0_14default_configEaN2at4cuda3cub6detail10OpaqueTypeILi8EEEEELb1EPaSC_PSA_SD_mNS0_19identity_decomposerEEEvT1_T2_T3_T4_jPT5_SK_PNS1_23onesweep_lookback_stateET6_jjj,"axG",@progbits,_ZN7rocprim17ROCPRIM_304000_NS6detail25onesweep_iteration_kernelINS1_34wrapped_radix_sort_onesweep_configINS0_14default_configEaN2at4cuda3cub6detail10OpaqueTypeILi8EEEEELb1EPaSC_PSA_SD_mNS0_19identity_decomposerEEEvT1_T2_T3_T4_jPT5_SK_PNS1_23onesweep_lookback_stateET6_jjj,comdat
	.protected	_ZN7rocprim17ROCPRIM_304000_NS6detail25onesweep_iteration_kernelINS1_34wrapped_radix_sort_onesweep_configINS0_14default_configEaN2at4cuda3cub6detail10OpaqueTypeILi8EEEEELb1EPaSC_PSA_SD_mNS0_19identity_decomposerEEEvT1_T2_T3_T4_jPT5_SK_PNS1_23onesweep_lookback_stateET6_jjj ; -- Begin function _ZN7rocprim17ROCPRIM_304000_NS6detail25onesweep_iteration_kernelINS1_34wrapped_radix_sort_onesweep_configINS0_14default_configEaN2at4cuda3cub6detail10OpaqueTypeILi8EEEEELb1EPaSC_PSA_SD_mNS0_19identity_decomposerEEEvT1_T2_T3_T4_jPT5_SK_PNS1_23onesweep_lookback_stateET6_jjj
	.globl	_ZN7rocprim17ROCPRIM_304000_NS6detail25onesweep_iteration_kernelINS1_34wrapped_radix_sort_onesweep_configINS0_14default_configEaN2at4cuda3cub6detail10OpaqueTypeILi8EEEEELb1EPaSC_PSA_SD_mNS0_19identity_decomposerEEEvT1_T2_T3_T4_jPT5_SK_PNS1_23onesweep_lookback_stateET6_jjj
	.p2align	8
	.type	_ZN7rocprim17ROCPRIM_304000_NS6detail25onesweep_iteration_kernelINS1_34wrapped_radix_sort_onesweep_configINS0_14default_configEaN2at4cuda3cub6detail10OpaqueTypeILi8EEEEELb1EPaSC_PSA_SD_mNS0_19identity_decomposerEEEvT1_T2_T3_T4_jPT5_SK_PNS1_23onesweep_lookback_stateET6_jjj,@function
_ZN7rocprim17ROCPRIM_304000_NS6detail25onesweep_iteration_kernelINS1_34wrapped_radix_sort_onesweep_configINS0_14default_configEaN2at4cuda3cub6detail10OpaqueTypeILi8EEEEELb1EPaSC_PSA_SD_mNS0_19identity_decomposerEEEvT1_T2_T3_T4_jPT5_SK_PNS1_23onesweep_lookback_stateET6_jjj: ; @_ZN7rocprim17ROCPRIM_304000_NS6detail25onesweep_iteration_kernelINS1_34wrapped_radix_sort_onesweep_configINS0_14default_configEaN2at4cuda3cub6detail10OpaqueTypeILi8EEEEELb1EPaSC_PSA_SD_mNS0_19identity_decomposerEEEvT1_T2_T3_T4_jPT5_SK_PNS1_23onesweep_lookback_stateET6_jjj
; %bb.0:
	s_load_dwordx4 s[48:51], s[4:5], 0x44
	s_load_dwordx8 s[36:43], s[4:5], 0x0
	s_load_dwordx4 s[44:47], s[4:5], 0x28
	s_load_dwordx2 s[34:35], s[4:5], 0x38
	s_mov_b64 s[0:1], -1
	s_waitcnt lgkmcnt(0)
	s_cmp_ge_u32 s6, s50
	s_mul_i32 s30, s6, 0xc00
	v_mbcnt_lo_u32_b32 v19, -1, 0
	s_cbranch_scc0 .LBB39_96
; %bb.1:
	s_load_dword s0, s[4:5], 0x20
	s_mul_i32 s33, s50, 0xfffff400
	v_mbcnt_hi_u32_b32 v12, -1, v19
	v_and_b32_e32 v7, 0x1c0, v0
	v_mul_u32_u24_e32 v11, 6, v7
	s_waitcnt lgkmcnt(0)
	s_add_i32 s33, s33, s0
	s_add_u32 s0, s36, s30
	s_addc_u32 s1, s37, 0
	v_mov_b32_e32 v3, s1
	v_add_co_u32_e32 v4, vcc, s0, v12
	v_addc_co_u32_e32 v5, vcc, 0, v3, vcc
	v_add_co_u32_e32 v3, vcc, v4, v11
	v_addc_co_u32_e32 v4, vcc, 0, v5, vcc
	v_or_b32_e32 v8, v12, v11
	s_mov_b32 s31, 0
	v_cmp_gt_u32_e32 vcc, s33, v8
	v_mov_b32_e32 v6, 0x80
	v_mov_b32_e32 v5, 0x80
	v_mov_b32_e32 v13, 0x80
	v_mov_b32_e32 v18, 0x80
	v_mov_b32_e32 v20, 0x80
	v_mov_b32_e32 v14, 0x80
	s_and_saveexec_b64 s[0:1], vcc
	s_cbranch_execz .LBB39_3
; %bb.2:
	global_load_ubyte v5, v[3:4], off
	v_mov_b32_e32 v6, 0x80
	v_mov_b32_e32 v13, 0x80
	;; [unrolled: 1-line block ×5, first 2 shown]
.LBB39_3:
	s_or_b64 exec, exec, s[0:1]
	v_add_u32_e32 v9, 64, v8
	v_cmp_gt_u32_e64 s[0:1], s33, v9
	s_and_saveexec_b64 s[2:3], s[0:1]
	s_cbranch_execz .LBB39_5
; %bb.4:
	global_load_ubyte v13, v[3:4], off offset:64
.LBB39_5:
	s_or_b64 exec, exec, s[2:3]
	v_add_u32_e32 v9, 0x80, v8
	v_cmp_gt_u32_e64 s[2:3], s33, v9
	s_and_saveexec_b64 s[8:9], s[2:3]
	s_cbranch_execz .LBB39_7
; %bb.6:
	global_load_ubyte v18, v[3:4], off offset:128
.LBB39_7:
	;; [unrolled: 8-line block ×5, first 2 shown]
	s_or_b64 exec, exec, s[12:13]
	s_load_dword s12, s[4:5], 0x5c
	s_load_dword s7, s[4:5], 0x50
	s_add_u32 s13, s4, 0x50
	s_addc_u32 s14, s5, 0
	v_mov_b32_e32 v3, 0
	s_waitcnt lgkmcnt(0)
	s_lshr_b32 s15, s12, 16
	s_cmp_lt_u32 s6, s7
	s_cselect_b32 s12, 12, 18
	s_add_u32 s12, s13, s12
	s_addc_u32 s13, s14, 0
	global_load_ushort v10, v3, s[12:13]
	s_waitcnt vmcnt(1)
	v_xor_b32_e32 v8, 0x7f, v5
	s_lshl_b32 s12, -1, s49
	v_lshrrev_b32_sdwa v4, s48, v8 dst_sel:DWORD dst_unused:UNUSED_PAD src0_sel:DWORD src1_sel:BYTE_0
	s_not_b32 s52, s12
	v_and_b32_e32 v15, s52, v4
	v_and_b32_e32 v16, 1, v15
	v_add_co_u32_e64 v21, s[12:13], -1, v16
	v_lshlrev_b32_e32 v4, 30, v15
	v_addc_co_u32_e64 v22, s[12:13], 0, -1, s[12:13]
	v_mad_u32_u24 v5, v2, s15, v1
	v_cmp_ne_u32_e64 s[12:13], 0, v16
	v_cmp_gt_i64_e64 s[14:15], 0, v[3:4]
	v_not_b32_e32 v16, v4
	v_lshlrev_b32_e32 v4, 29, v15
	v_xor_b32_e32 v22, s13, v22
	v_xor_b32_e32 v21, s12, v21
	v_ashrrev_i32_e32 v16, 31, v16
	v_cmp_gt_i64_e64 s[12:13], 0, v[3:4]
	v_not_b32_e32 v23, v4
	v_lshlrev_b32_e32 v4, 28, v15
	v_and_b32_e32 v22, exec_hi, v22
	v_and_b32_e32 v21, exec_lo, v21
	v_xor_b32_e32 v24, s15, v16
	v_xor_b32_e32 v16, s14, v16
	v_ashrrev_i32_e32 v23, 31, v23
	v_cmp_gt_i64_e64 s[14:15], 0, v[3:4]
	v_not_b32_e32 v25, v4
	v_lshlrev_b32_e32 v4, 27, v15
	v_and_b32_e32 v22, v22, v24
	v_and_b32_e32 v16, v21, v16
	v_xor_b32_e32 v21, s13, v23
	v_xor_b32_e32 v23, s12, v23
	v_ashrrev_i32_e32 v24, 31, v25
	v_cmp_gt_i64_e64 s[12:13], 0, v[3:4]
	v_not_b32_e32 v25, v4
	v_lshlrev_b32_e32 v4, 26, v15
	v_and_b32_e32 v21, v22, v21
	v_and_b32_e32 v16, v16, v23
	;; [unrolled: 8-line block ×3, first 2 shown]
	v_xor_b32_e32 v22, s13, v24
	v_xor_b32_e32 v23, s12, v24
	v_ashrrev_i32_e32 v24, 31, v25
	v_cmp_gt_i64_e64 s[12:13], 0, v[3:4]
	v_not_b32_e32 v25, v4
	v_mul_u32_u24_e32 v17, 36, v15
	v_lshlrev_b32_e32 v4, 24, v15
	v_and_b32_e32 v15, v21, v22
	v_and_b32_e32 v16, v16, v23
	v_xor_b32_e32 v21, s15, v24
	v_xor_b32_e32 v22, s14, v24
	v_ashrrev_i32_e32 v23, 31, v25
	v_and_b32_e32 v15, v15, v21
	v_and_b32_e32 v16, v16, v22
	v_xor_b32_e32 v21, s13, v23
	v_xor_b32_e32 v22, s12, v23
	v_and_b32_e32 v21, v15, v21
	v_and_b32_e32 v22, v16, v22
	v_cmp_gt_i64_e64 s[14:15], 0, v[3:4]
	v_not_b32_e32 v4, v4
	v_ashrrev_i32_e32 v4, 31, v4
	v_xor_b32_e32 v23, s15, v4
	v_xor_b32_e32 v4, s14, v4
	v_and_b32_e32 v4, v22, v4
	v_mul_u32_u24_e32 v9, 20, v0
	ds_write2_b32 v9, v3, v3 offset0:8 offset1:9
	ds_write2_b32 v9, v3, v3 offset0:10 offset1:11
	ds_write_b32 v9, v3 offset:48
	s_waitcnt vmcnt(0) lgkmcnt(0)
	s_barrier
	; wave barrier
	v_mad_u64_u32 v[15:16], s[12:13], v5, v10, v[0:1]
	v_and_b32_e32 v5, v21, v23
	v_cmp_ne_u64_e64 s[12:13], 0, v[4:5]
	v_lshrrev_b32_e32 v10, 4, v15
	v_and_b32_e32 v23, 0xffffffc, v10
	v_mbcnt_lo_u32_b32 v10, v4, 0
	v_mbcnt_hi_u32_b32 v10, v5, v10
	v_cmp_eq_u32_e64 s[14:15], 0, v10
	s_and_b64 s[14:15], s[12:13], s[14:15]
	v_add_u32_e32 v16, v23, v17
	s_and_saveexec_b64 s[12:13], s[14:15]
; %bb.14:
	v_bcnt_u32_b32 v4, v4, 0
	v_bcnt_u32_b32 v4, v5, v4
	ds_write_b32 v16, v4 offset:32
; %bb.15:
	s_or_b64 exec, exec, s[12:13]
	v_xor_b32_e32 v13, 0x7f, v13
	v_lshrrev_b32_sdwa v4, s48, v13 dst_sel:DWORD dst_unused:UNUSED_PAD src0_sel:DWORD src1_sel:BYTE_0
	v_and_b32_e32 v5, s52, v4
	v_mad_u32_u24 v4, v5, 36, v23
	; wave barrier
	ds_read_b32 v15, v4 offset:32
	v_and_b32_e32 v4, 1, v5
	v_add_co_u32_e64 v17, s[12:13], -1, v4
	v_addc_co_u32_e64 v22, s[12:13], 0, -1, s[12:13]
	v_cmp_ne_u32_e64 s[12:13], 0, v4
	v_xor_b32_e32 v4, s13, v22
	v_and_b32_e32 v22, exec_hi, v4
	v_lshlrev_b32_e32 v4, 30, v5
	v_xor_b32_e32 v17, s12, v17
	v_cmp_gt_i64_e64 s[12:13], 0, v[3:4]
	v_not_b32_e32 v4, v4
	v_ashrrev_i32_e32 v4, 31, v4
	v_and_b32_e32 v17, exec_lo, v17
	v_xor_b32_e32 v24, s13, v4
	v_xor_b32_e32 v4, s12, v4
	v_and_b32_e32 v17, v17, v4
	v_lshlrev_b32_e32 v4, 29, v5
	v_cmp_gt_i64_e64 s[12:13], 0, v[3:4]
	v_not_b32_e32 v4, v4
	v_ashrrev_i32_e32 v4, 31, v4
	v_and_b32_e32 v22, v22, v24
	v_xor_b32_e32 v24, s13, v4
	v_xor_b32_e32 v4, s12, v4
	v_and_b32_e32 v17, v17, v4
	v_lshlrev_b32_e32 v4, 28, v5
	v_cmp_gt_i64_e64 s[12:13], 0, v[3:4]
	v_not_b32_e32 v4, v4
	v_ashrrev_i32_e32 v4, 31, v4
	v_and_b32_e32 v22, v22, v24
	;; [unrolled: 8-line block ×5, first 2 shown]
	v_xor_b32_e32 v24, s13, v4
	v_xor_b32_e32 v4, s12, v4
	v_and_b32_e32 v17, v17, v4
	v_lshlrev_b32_e32 v4, 24, v5
	v_cmp_gt_i64_e64 s[12:13], 0, v[3:4]
	v_not_b32_e32 v3, v4
	v_ashrrev_i32_e32 v3, 31, v3
	v_xor_b32_e32 v4, s13, v3
	v_xor_b32_e32 v3, s12, v3
	v_and_b32_e32 v22, v22, v24
	v_and_b32_e32 v3, v17, v3
	v_mul_u32_u24_e32 v21, 36, v5
	v_and_b32_e32 v4, v22, v4
	v_mbcnt_lo_u32_b32 v5, v3, 0
	v_mbcnt_hi_u32_b32 v17, v4, v5
	v_cmp_ne_u64_e64 s[12:13], 0, v[3:4]
	v_cmp_eq_u32_e64 s[14:15], 0, v17
	s_and_b64 s[14:15], s[12:13], s[14:15]
	v_add_u32_e32 v22, v23, v21
	; wave barrier
	s_and_saveexec_b64 s[12:13], s[14:15]
	s_cbranch_execz .LBB39_17
; %bb.16:
	v_bcnt_u32_b32 v3, v3, 0
	v_bcnt_u32_b32 v3, v4, v3
	s_waitcnt lgkmcnt(0)
	v_add_u32_e32 v3, v15, v3
	ds_write_b32 v22, v3 offset:32
.LBB39_17:
	s_or_b64 exec, exec, s[12:13]
	v_xor_b32_e32 v18, 0x7f, v18
	v_lshrrev_b32_sdwa v3, s48, v18 dst_sel:DWORD dst_unused:UNUSED_PAD src0_sel:DWORD src1_sel:BYTE_0
	v_and_b32_e32 v5, s52, v3
	v_and_b32_e32 v4, 1, v5
	v_add_co_u32_e64 v24, s[12:13], -1, v4
	v_addc_co_u32_e64 v26, s[12:13], 0, -1, s[12:13]
	v_cmp_ne_u32_e64 s[12:13], 0, v4
	v_mad_u32_u24 v3, v5, 36, v23
	v_xor_b32_e32 v4, s13, v26
	; wave barrier
	ds_read_b32 v21, v3 offset:32
	v_mov_b32_e32 v3, 0
	v_and_b32_e32 v26, exec_hi, v4
	v_lshlrev_b32_e32 v4, 30, v5
	v_xor_b32_e32 v24, s12, v24
	v_cmp_gt_i64_e64 s[12:13], 0, v[3:4]
	v_not_b32_e32 v4, v4
	v_ashrrev_i32_e32 v4, 31, v4
	v_and_b32_e32 v24, exec_lo, v24
	v_xor_b32_e32 v27, s13, v4
	v_xor_b32_e32 v4, s12, v4
	v_and_b32_e32 v24, v24, v4
	v_lshlrev_b32_e32 v4, 29, v5
	v_cmp_gt_i64_e64 s[12:13], 0, v[3:4]
	v_not_b32_e32 v4, v4
	v_ashrrev_i32_e32 v4, 31, v4
	v_and_b32_e32 v26, v26, v27
	v_xor_b32_e32 v27, s13, v4
	v_xor_b32_e32 v4, s12, v4
	v_and_b32_e32 v24, v24, v4
	v_lshlrev_b32_e32 v4, 28, v5
	v_cmp_gt_i64_e64 s[12:13], 0, v[3:4]
	v_not_b32_e32 v4, v4
	v_ashrrev_i32_e32 v4, 31, v4
	v_and_b32_e32 v26, v26, v27
	;; [unrolled: 8-line block ×5, first 2 shown]
	v_xor_b32_e32 v27, s13, v4
	v_xor_b32_e32 v4, s12, v4
	v_and_b32_e32 v24, v24, v4
	v_lshlrev_b32_e32 v4, 24, v5
	v_cmp_gt_i64_e64 s[12:13], 0, v[3:4]
	v_not_b32_e32 v4, v4
	v_ashrrev_i32_e32 v4, 31, v4
	v_mul_u32_u24_e32 v25, 36, v5
	v_xor_b32_e32 v5, s13, v4
	v_xor_b32_e32 v4, s12, v4
	v_and_b32_e32 v26, v26, v27
	v_and_b32_e32 v4, v24, v4
	;; [unrolled: 1-line block ×3, first 2 shown]
	v_mbcnt_lo_u32_b32 v24, v4, 0
	v_mbcnt_hi_u32_b32 v24, v5, v24
	v_cmp_ne_u64_e64 s[12:13], 0, v[4:5]
	v_cmp_eq_u32_e64 s[14:15], 0, v24
	s_and_b64 s[14:15], s[12:13], s[14:15]
	v_add_u32_e32 v27, v23, v25
	; wave barrier
	s_and_saveexec_b64 s[12:13], s[14:15]
	s_cbranch_execz .LBB39_19
; %bb.18:
	v_bcnt_u32_b32 v4, v4, 0
	v_bcnt_u32_b32 v4, v5, v4
	s_waitcnt lgkmcnt(0)
	v_add_u32_e32 v4, v21, v4
	ds_write_b32 v27, v4 offset:32
.LBB39_19:
	s_or_b64 exec, exec, s[12:13]
	v_xor_b32_e32 v25, 0x7f, v20
	v_lshrrev_b32_sdwa v4, s48, v25 dst_sel:DWORD dst_unused:UNUSED_PAD src0_sel:DWORD src1_sel:BYTE_0
	v_and_b32_e32 v5, s52, v4
	v_mad_u32_u24 v4, v5, 36, v23
	; wave barrier
	ds_read_b32 v26, v4 offset:32
	v_and_b32_e32 v4, 1, v5
	v_add_co_u32_e64 v28, s[12:13], -1, v4
	v_addc_co_u32_e64 v29, s[12:13], 0, -1, s[12:13]
	v_cmp_ne_u32_e64 s[12:13], 0, v4
	v_xor_b32_e32 v4, s13, v29
	v_and_b32_e32 v29, exec_hi, v4
	v_lshlrev_b32_e32 v4, 30, v5
	v_xor_b32_e32 v28, s12, v28
	v_cmp_gt_i64_e64 s[12:13], 0, v[3:4]
	v_not_b32_e32 v4, v4
	v_ashrrev_i32_e32 v4, 31, v4
	v_and_b32_e32 v28, exec_lo, v28
	v_xor_b32_e32 v30, s13, v4
	v_xor_b32_e32 v4, s12, v4
	v_and_b32_e32 v28, v28, v4
	v_lshlrev_b32_e32 v4, 29, v5
	v_cmp_gt_i64_e64 s[12:13], 0, v[3:4]
	v_not_b32_e32 v4, v4
	v_ashrrev_i32_e32 v4, 31, v4
	v_and_b32_e32 v29, v29, v30
	v_xor_b32_e32 v30, s13, v4
	v_xor_b32_e32 v4, s12, v4
	v_and_b32_e32 v28, v28, v4
	v_lshlrev_b32_e32 v4, 28, v5
	v_cmp_gt_i64_e64 s[12:13], 0, v[3:4]
	v_not_b32_e32 v4, v4
	v_ashrrev_i32_e32 v4, 31, v4
	v_and_b32_e32 v29, v29, v30
	;; [unrolled: 8-line block ×5, first 2 shown]
	v_xor_b32_e32 v30, s13, v4
	v_xor_b32_e32 v4, s12, v4
	v_and_b32_e32 v28, v28, v4
	v_lshlrev_b32_e32 v4, 24, v5
	v_cmp_gt_i64_e64 s[12:13], 0, v[3:4]
	v_not_b32_e32 v3, v4
	v_ashrrev_i32_e32 v3, 31, v3
	v_xor_b32_e32 v4, s13, v3
	v_xor_b32_e32 v3, s12, v3
	v_and_b32_e32 v29, v29, v30
	v_and_b32_e32 v3, v28, v3
	v_mul_u32_u24_e32 v20, 36, v5
	v_and_b32_e32 v4, v29, v4
	v_mbcnt_lo_u32_b32 v5, v3, 0
	v_mbcnt_hi_u32_b32 v30, v4, v5
	v_cmp_ne_u64_e64 s[12:13], 0, v[3:4]
	v_cmp_eq_u32_e64 s[14:15], 0, v30
	s_and_b64 s[14:15], s[12:13], s[14:15]
	v_add_u32_e32 v20, v23, v20
	; wave barrier
	s_and_saveexec_b64 s[12:13], s[14:15]
	s_cbranch_execz .LBB39_21
; %bb.20:
	v_bcnt_u32_b32 v3, v3, 0
	v_bcnt_u32_b32 v3, v4, v3
	s_waitcnt lgkmcnt(0)
	v_add_u32_e32 v3, v26, v3
	ds_write_b32 v20, v3 offset:32
.LBB39_21:
	s_or_b64 exec, exec, s[12:13]
	v_xor_b32_e32 v14, 0x7f, v14
	v_lshrrev_b32_sdwa v3, s48, v14 dst_sel:DWORD dst_unused:UNUSED_PAD src0_sel:DWORD src1_sel:BYTE_0
	v_and_b32_e32 v5, s52, v3
	v_and_b32_e32 v4, 1, v5
	v_add_co_u32_e64 v29, s[12:13], -1, v4
	v_addc_co_u32_e64 v32, s[12:13], 0, -1, s[12:13]
	v_cmp_ne_u32_e64 s[12:13], 0, v4
	v_mad_u32_u24 v3, v5, 36, v23
	v_xor_b32_e32 v4, s13, v32
	; wave barrier
	ds_read_b32 v31, v3 offset:32
	v_mov_b32_e32 v3, 0
	v_and_b32_e32 v32, exec_hi, v4
	v_lshlrev_b32_e32 v4, 30, v5
	v_xor_b32_e32 v29, s12, v29
	v_cmp_gt_i64_e64 s[12:13], 0, v[3:4]
	v_not_b32_e32 v4, v4
	v_ashrrev_i32_e32 v4, 31, v4
	v_and_b32_e32 v29, exec_lo, v29
	v_xor_b32_e32 v33, s13, v4
	v_xor_b32_e32 v4, s12, v4
	v_and_b32_e32 v29, v29, v4
	v_lshlrev_b32_e32 v4, 29, v5
	v_cmp_gt_i64_e64 s[12:13], 0, v[3:4]
	v_not_b32_e32 v4, v4
	v_ashrrev_i32_e32 v4, 31, v4
	v_and_b32_e32 v32, v32, v33
	v_xor_b32_e32 v33, s13, v4
	v_xor_b32_e32 v4, s12, v4
	v_and_b32_e32 v29, v29, v4
	v_lshlrev_b32_e32 v4, 28, v5
	v_cmp_gt_i64_e64 s[12:13], 0, v[3:4]
	v_not_b32_e32 v4, v4
	v_ashrrev_i32_e32 v4, 31, v4
	v_and_b32_e32 v32, v32, v33
	v_xor_b32_e32 v33, s13, v4
	v_xor_b32_e32 v4, s12, v4
	v_and_b32_e32 v29, v29, v4
	v_lshlrev_b32_e32 v4, 27, v5
	v_cmp_gt_i64_e64 s[12:13], 0, v[3:4]
	v_not_b32_e32 v4, v4
	v_ashrrev_i32_e32 v4, 31, v4
	v_and_b32_e32 v32, v32, v33
	v_xor_b32_e32 v33, s13, v4
	v_xor_b32_e32 v4, s12, v4
	v_and_b32_e32 v29, v29, v4
	v_lshlrev_b32_e32 v4, 26, v5
	v_cmp_gt_i64_e64 s[12:13], 0, v[3:4]
	v_not_b32_e32 v4, v4
	v_ashrrev_i32_e32 v4, 31, v4
	v_and_b32_e32 v32, v32, v33
	v_xor_b32_e32 v33, s13, v4
	v_xor_b32_e32 v4, s12, v4
	v_and_b32_e32 v29, v29, v4
	v_lshlrev_b32_e32 v4, 25, v5
	v_cmp_gt_i64_e64 s[12:13], 0, v[3:4]
	v_not_b32_e32 v4, v4
	v_ashrrev_i32_e32 v4, 31, v4
	v_and_b32_e32 v32, v32, v33
	v_xor_b32_e32 v33, s13, v4
	v_xor_b32_e32 v4, s12, v4
	v_and_b32_e32 v29, v29, v4
	v_lshlrev_b32_e32 v4, 24, v5
	v_cmp_gt_i64_e64 s[12:13], 0, v[3:4]
	v_not_b32_e32 v4, v4
	v_ashrrev_i32_e32 v4, 31, v4
	v_mul_u32_u24_e32 v28, 36, v5
	v_xor_b32_e32 v5, s13, v4
	v_xor_b32_e32 v4, s12, v4
	v_and_b32_e32 v32, v32, v33
	v_and_b32_e32 v4, v29, v4
	;; [unrolled: 1-line block ×3, first 2 shown]
	v_mbcnt_lo_u32_b32 v29, v4, 0
	v_mbcnt_hi_u32_b32 v32, v5, v29
	v_cmp_ne_u64_e64 s[12:13], 0, v[4:5]
	v_cmp_eq_u32_e64 s[14:15], 0, v32
	s_and_b64 s[14:15], s[12:13], s[14:15]
	v_add_u32_e32 v28, v23, v28
	; wave barrier
	s_and_saveexec_b64 s[12:13], s[14:15]
	s_cbranch_execz .LBB39_23
; %bb.22:
	v_bcnt_u32_b32 v4, v4, 0
	v_bcnt_u32_b32 v4, v5, v4
	s_waitcnt lgkmcnt(0)
	v_add_u32_e32 v4, v31, v4
	ds_write_b32 v28, v4 offset:32
.LBB39_23:
	s_or_b64 exec, exec, s[12:13]
	v_xor_b32_e32 v33, 0x7f, v6
	v_lshrrev_b32_sdwa v4, s48, v33 dst_sel:DWORD dst_unused:UNUSED_PAD src0_sel:DWORD src1_sel:BYTE_0
	v_and_b32_e32 v5, s52, v4
	v_mad_u32_u24 v4, v5, 36, v23
	; wave barrier
	ds_read_b32 v34, v4 offset:32
	v_and_b32_e32 v4, 1, v5
	v_add_co_u32_e64 v29, s[12:13], -1, v4
	v_addc_co_u32_e64 v35, s[12:13], 0, -1, s[12:13]
	v_cmp_ne_u32_e64 s[12:13], 0, v4
	v_xor_b32_e32 v4, s13, v35
	v_and_b32_e32 v35, exec_hi, v4
	v_lshlrev_b32_e32 v4, 30, v5
	v_xor_b32_e32 v29, s12, v29
	v_cmp_gt_i64_e64 s[12:13], 0, v[3:4]
	v_not_b32_e32 v4, v4
	v_ashrrev_i32_e32 v4, 31, v4
	v_and_b32_e32 v29, exec_lo, v29
	v_xor_b32_e32 v36, s13, v4
	v_xor_b32_e32 v4, s12, v4
	v_and_b32_e32 v29, v29, v4
	v_lshlrev_b32_e32 v4, 29, v5
	v_cmp_gt_i64_e64 s[12:13], 0, v[3:4]
	v_not_b32_e32 v4, v4
	v_ashrrev_i32_e32 v4, 31, v4
	v_and_b32_e32 v35, v35, v36
	v_xor_b32_e32 v36, s13, v4
	v_xor_b32_e32 v4, s12, v4
	v_and_b32_e32 v29, v29, v4
	v_lshlrev_b32_e32 v4, 28, v5
	v_cmp_gt_i64_e64 s[12:13], 0, v[3:4]
	v_not_b32_e32 v4, v4
	v_ashrrev_i32_e32 v4, 31, v4
	v_and_b32_e32 v35, v35, v36
	;; [unrolled: 8-line block ×5, first 2 shown]
	v_xor_b32_e32 v36, s13, v4
	v_xor_b32_e32 v4, s12, v4
	v_and_b32_e32 v29, v29, v4
	v_lshlrev_b32_e32 v4, 24, v5
	v_cmp_gt_i64_e64 s[12:13], 0, v[3:4]
	v_not_b32_e32 v3, v4
	v_ashrrev_i32_e32 v3, 31, v3
	v_xor_b32_e32 v4, s13, v3
	v_xor_b32_e32 v3, s12, v3
	v_and_b32_e32 v35, v35, v36
	v_and_b32_e32 v3, v29, v3
	v_mul_u32_u24_e32 v6, 36, v5
	v_and_b32_e32 v4, v35, v4
	v_mbcnt_lo_u32_b32 v5, v3, 0
	v_mbcnt_hi_u32_b32 v35, v4, v5
	v_cmp_ne_u64_e64 s[12:13], 0, v[3:4]
	v_cmp_eq_u32_e64 s[14:15], 0, v35
	s_and_b64 s[14:15], s[12:13], s[14:15]
	v_add_u32_e32 v23, v23, v6
	; wave barrier
	s_and_saveexec_b64 s[12:13], s[14:15]
	s_cbranch_execz .LBB39_25
; %bb.24:
	v_bcnt_u32_b32 v3, v3, 0
	v_bcnt_u32_b32 v3, v4, v3
	s_waitcnt lgkmcnt(0)
	v_add_u32_e32 v3, v34, v3
	ds_write_b32 v23, v3 offset:32
.LBB39_25:
	s_or_b64 exec, exec, s[12:13]
	; wave barrier
	s_waitcnt lgkmcnt(0)
	s_barrier
	ds_read2_b32 v[5:6], v9 offset0:8 offset1:9
	ds_read2_b32 v[3:4], v9 offset0:10 offset1:11
	ds_read_b32 v29, v9 offset:48
	v_min_u32_e32 v7, 0x1c0, v7
	v_or_b32_e32 v7, 63, v7
	s_waitcnt lgkmcnt(1)
	v_add3_u32 v36, v6, v5, v3
	s_waitcnt lgkmcnt(0)
	v_add3_u32 v29, v36, v4, v29
	v_and_b32_e32 v36, 15, v12
	v_cmp_ne_u32_e64 s[12:13], 0, v36
	v_mov_b32_dpp v37, v29 row_shr:1 row_mask:0xf bank_mask:0xf
	v_cndmask_b32_e64 v37, 0, v37, s[12:13]
	v_add_u32_e32 v29, v37, v29
	v_cmp_lt_u32_e64 s[12:13], 1, v36
	s_nop 0
	v_mov_b32_dpp v37, v29 row_shr:2 row_mask:0xf bank_mask:0xf
	v_cndmask_b32_e64 v37, 0, v37, s[12:13]
	v_add_u32_e32 v29, v29, v37
	v_cmp_lt_u32_e64 s[12:13], 3, v36
	s_nop 0
	;; [unrolled: 5-line block ×3, first 2 shown]
	v_mov_b32_dpp v37, v29 row_shr:8 row_mask:0xf bank_mask:0xf
	v_cndmask_b32_e64 v36, 0, v37, s[12:13]
	v_add_u32_e32 v29, v29, v36
	v_bfe_i32 v37, v12, 4, 1
	v_cmp_lt_u32_e64 s[12:13], 31, v12
	v_mov_b32_dpp v36, v29 row_bcast:15 row_mask:0xf bank_mask:0xf
	v_and_b32_e32 v36, v37, v36
	v_add_u32_e32 v29, v29, v36
	s_nop 1
	v_mov_b32_dpp v36, v29 row_bcast:31 row_mask:0xf bank_mask:0xf
	v_cndmask_b32_e64 v36, 0, v36, s[12:13]
	v_add_u32_e32 v29, v29, v36
	v_lshrrev_b32_e32 v36, 6, v0
	v_cmp_eq_u32_e64 s[12:13], v0, v7
	s_and_saveexec_b64 s[14:15], s[12:13]
; %bb.26:
	v_lshlrev_b32_e32 v7, 2, v36
	ds_write_b32 v7, v29
; %bb.27:
	s_or_b64 exec, exec, s[14:15]
	v_cmp_gt_u32_e64 s[12:13], 8, v0
	s_waitcnt lgkmcnt(0)
	s_barrier
	s_and_saveexec_b64 s[14:15], s[12:13]
	s_cbranch_execz .LBB39_29
; %bb.28:
	v_lshlrev_b32_e32 v7, 2, v0
	ds_read_b32 v37, v7
	v_and_b32_e32 v38, 7, v12
	v_cmp_ne_u32_e64 s[12:13], 0, v38
	s_waitcnt lgkmcnt(0)
	v_mov_b32_dpp v39, v37 row_shr:1 row_mask:0xf bank_mask:0xf
	v_cndmask_b32_e64 v39, 0, v39, s[12:13]
	v_add_u32_e32 v37, v39, v37
	v_cmp_lt_u32_e64 s[12:13], 1, v38
	s_nop 0
	v_mov_b32_dpp v39, v37 row_shr:2 row_mask:0xf bank_mask:0xf
	v_cndmask_b32_e64 v39, 0, v39, s[12:13]
	v_add_u32_e32 v37, v37, v39
	v_cmp_lt_u32_e64 s[12:13], 3, v38
	s_nop 0
	v_mov_b32_dpp v39, v37 row_shr:4 row_mask:0xf bank_mask:0xf
	v_cndmask_b32_e64 v38, 0, v39, s[12:13]
	v_add_u32_e32 v37, v37, v38
	ds_write_b32 v7, v37
.LBB39_29:
	s_or_b64 exec, exec, s[14:15]
	v_cmp_lt_u32_e64 s[12:13], 63, v0
	v_mov_b32_e32 v7, 0
	s_waitcnt lgkmcnt(0)
	s_barrier
	s_and_saveexec_b64 s[14:15], s[12:13]
; %bb.30:
	v_lshl_add_u32 v7, v36, 2, -4
	ds_read_b32 v7, v7
; %bb.31:
	s_or_b64 exec, exec, s[14:15]
	v_add_u32_e32 v36, -1, v12
	v_and_b32_e32 v37, 64, v12
	v_cmp_lt_i32_e64 s[12:13], v36, v37
	v_cndmask_b32_e64 v36, v36, v12, s[12:13]
	s_waitcnt lgkmcnt(0)
	v_add_u32_e32 v29, v7, v29
	v_lshlrev_b32_e32 v36, 2, v36
	ds_bpermute_b32 v29, v36, v29
	v_cmp_eq_u32_e64 s[12:13], 0, v12
	s_movk_i32 s16, 0x100
	v_cmp_gt_u32_e64 s[14:15], s16, v0
	s_waitcnt lgkmcnt(0)
	v_cndmask_b32_e64 v7, v29, v7, s[12:13]
	v_cmp_ne_u32_e64 s[12:13], 0, v0
	v_cndmask_b32_e64 v7, 0, v7, s[12:13]
	v_add_u32_e32 v5, v7, v5
	v_add_u32_e32 v6, v5, v6
	;; [unrolled: 1-line block ×4, first 2 shown]
	ds_write2_b32 v9, v7, v5 offset0:8 offset1:9
	ds_write2_b32 v9, v6, v3 offset0:10 offset1:11
	ds_write_b32 v9, v4 offset:48
	s_waitcnt lgkmcnt(0)
	s_barrier
	ds_read_b32 v5, v16 offset:32
	ds_read_b32 v6, v22 offset:32
	;; [unrolled: 1-line block ×6, first 2 shown]
	s_movk_i32 s12, 0xff
	v_mov_b32_e32 v3, 0
	v_cmp_lt_u32_e64 s[12:13], s12, v0
	v_mov_b32_e32 v4, 0
                                        ; implicit-def: $vgpr20
	s_and_saveexec_b64 s[18:19], s[14:15]
	s_cbranch_execz .LBB39_35
; %bb.32:
	v_mul_u32_u24_e32 v3, 36, v0
	ds_read_b32 v3, v3 offset:32
	v_add_u32_e32 v20, 1, v0
	v_cmp_ne_u32_e64 s[16:17], s16, v20
	v_mov_b32_e32 v4, 0xc00
	s_and_saveexec_b64 s[20:21], s[16:17]
; %bb.33:
	v_mul_u32_u24_e32 v4, 36, v20
	ds_read_b32 v4, v4 offset:32
; %bb.34:
	s_or_b64 exec, exec, s[20:21]
	s_waitcnt lgkmcnt(0)
	v_sub_u32_e32 v20, v4, v3
	v_mov_b32_e32 v4, 0
.LBB39_35:
	s_or_b64 exec, exec, s[18:19]
	s_waitcnt lgkmcnt(5)
	v_add_u32_e32 v29, v5, v10
	s_waitcnt lgkmcnt(4)
	v_add3_u32 v28, v17, v15, v6
	s_waitcnt lgkmcnt(3)
	v_add3_u32 v27, v24, v21, v7
	;; [unrolled: 2-line block ×5, first 2 shown]
	v_mov_b32_e32 v6, 0
	v_lshlrev_b32_e32 v21, 3, v0
	s_barrier
	ds_write_b8 v29, v8 offset:2048
	ds_write_b8 v28, v13 offset:2048
	;; [unrolled: 1-line block ×6, first 2 shown]
	s_waitcnt lgkmcnt(0)
	s_barrier
	s_and_saveexec_b64 s[16:17], s[14:15]
	s_cbranch_execz .LBB39_45
; %bb.36:
	v_lshl_add_u32 v5, s6, 8, v0
	v_lshlrev_b64 v[7:8], 2, v[5:6]
	v_mov_b32_e32 v13, s35
	v_add_co_u32_e64 v7, s[14:15], s34, v7
	v_addc_co_u32_e64 v8, s[14:15], v13, v8, s[14:15]
	v_or_b32_e32 v5, 2.0, v20
	s_mov_b64 s[18:19], 0
	s_brev_b32 s24, -4
	s_mov_b32 s25, s6
	v_mov_b32_e32 v14, 0
	global_store_dword v[7:8], v5, off
                                        ; implicit-def: $sgpr14_sgpr15
	s_branch .LBB39_39
.LBB39_37:                              ;   in Loop: Header=BB39_39 Depth=1
	s_or_b64 exec, exec, s[22:23]
.LBB39_38:                              ;   in Loop: Header=BB39_39 Depth=1
	s_or_b64 exec, exec, s[20:21]
	v_and_b32_e32 v9, 0x3fffffff, v5
	v_add_u32_e32 v14, v9, v14
	v_cmp_gt_i32_e64 s[14:15], -2.0, v5
	s_and_b64 s[20:21], exec, s[14:15]
	s_or_b64 s[18:19], s[20:21], s[18:19]
	s_andn2_b64 exec, exec, s[18:19]
	s_cbranch_execz .LBB39_44
.LBB39_39:                              ; =>This Loop Header: Depth=1
                                        ;     Child Loop BB39_42 Depth 2
	s_or_b64 s[14:15], s[14:15], exec
	s_cmp_eq_u32 s25, 0
	s_cbranch_scc1 .LBB39_43
; %bb.40:                               ;   in Loop: Header=BB39_39 Depth=1
	s_add_i32 s25, s25, -1
	v_lshl_or_b32 v5, s25, 8, v0
	v_lshlrev_b64 v[9:10], 2, v[5:6]
	v_add_co_u32_e64 v9, s[14:15], s34, v9
	v_addc_co_u32_e64 v10, s[14:15], v13, v10, s[14:15]
	global_load_dword v5, v[9:10], off glc
	s_waitcnt vmcnt(0)
	v_cmp_gt_u32_e64 s[14:15], 2.0, v5
	s_and_saveexec_b64 s[20:21], s[14:15]
	s_cbranch_execz .LBB39_38
; %bb.41:                               ;   in Loop: Header=BB39_39 Depth=1
	s_mov_b64 s[22:23], 0
.LBB39_42:                              ;   Parent Loop BB39_39 Depth=1
                                        ; =>  This Inner Loop Header: Depth=2
	global_load_dword v5, v[9:10], off glc
	s_waitcnt vmcnt(0)
	v_cmp_lt_u32_e64 s[14:15], s24, v5
	s_or_b64 s[22:23], s[14:15], s[22:23]
	s_andn2_b64 exec, exec, s[22:23]
	s_cbranch_execnz .LBB39_42
	s_branch .LBB39_37
.LBB39_43:                              ;   in Loop: Header=BB39_39 Depth=1
                                        ; implicit-def: $sgpr25
	s_and_b64 s[20:21], exec, s[14:15]
	s_or_b64 s[18:19], s[20:21], s[18:19]
	s_andn2_b64 exec, exec, s[18:19]
	s_cbranch_execnz .LBB39_39
.LBB39_44:
	s_or_b64 exec, exec, s[18:19]
	v_add_u32_e32 v5, v14, v20
	v_or_b32_e32 v5, 0x80000000, v5
	global_store_dword v[7:8], v5, off
	global_load_dwordx2 v[5:6], v21, s[44:45]
	v_sub_co_u32_e64 v7, s[14:15], v14, v3
	v_subb_co_u32_e64 v8, s[14:15], 0, v4, s[14:15]
	s_waitcnt vmcnt(0)
	v_add_co_u32_e64 v5, s[14:15], v7, v5
	v_addc_co_u32_e64 v6, s[14:15], v8, v6, s[14:15]
	ds_write_b64 v21, v[5:6]
.LBB39_45:
	s_or_b64 exec, exec, s[16:17]
	v_cmp_gt_u32_e64 s[14:15], s33, v0
	s_waitcnt lgkmcnt(0)
	s_barrier
	s_and_saveexec_b64 s[18:19], s[14:15]
	s_cbranch_execz .LBB39_47
; %bb.46:
	ds_read_u8 v7, v0 offset:2048
	v_mov_b32_e32 v8, s39
	s_waitcnt lgkmcnt(0)
	v_lshrrev_b32_sdwa v5, s48, v7 dst_sel:DWORD dst_unused:UNUSED_PAD src0_sel:DWORD src1_sel:BYTE_0
	v_and_b32_e32 v5, s52, v5
	v_lshlrev_b32_e32 v5, 3, v5
	ds_read_b64 v[5:6], v5
	v_xor_b32_e32 v7, 0x7f, v7
	s_waitcnt lgkmcnt(0)
	v_add_co_u32_e64 v5, s[16:17], s38, v5
	v_addc_co_u32_e64 v6, s[16:17], v8, v6, s[16:17]
	v_add_co_u32_e64 v5, s[16:17], v5, v0
	v_addc_co_u32_e64 v6, s[16:17], 0, v6, s[16:17]
	global_store_byte v[5:6], v7, off
.LBB39_47:
	s_or_b64 exec, exec, s[18:19]
	v_or_b32_e32 v25, 0x200, v0
	v_cmp_gt_u32_e64 s[16:17], s33, v25
	s_and_saveexec_b64 s[20:21], s[16:17]
	s_cbranch_execz .LBB39_49
; %bb.48:
	ds_read_u8 v7, v0 offset:2560
	v_mov_b32_e32 v8, s39
	s_waitcnt lgkmcnt(0)
	v_lshrrev_b32_sdwa v5, s48, v7 dst_sel:DWORD dst_unused:UNUSED_PAD src0_sel:DWORD src1_sel:BYTE_0
	v_and_b32_e32 v5, s52, v5
	v_lshlrev_b32_e32 v5, 3, v5
	ds_read_b64 v[5:6], v5
	v_xor_b32_e32 v7, 0x7f, v7
	s_waitcnt lgkmcnt(0)
	v_add_co_u32_e64 v5, s[18:19], s38, v5
	v_addc_co_u32_e64 v6, s[18:19], v8, v6, s[18:19]
	v_add_co_u32_e64 v5, s[18:19], v5, v0
	v_addc_co_u32_e64 v6, s[18:19], 0, v6, s[18:19]
	global_store_byte v[5:6], v7, off offset:512
.LBB39_49:
	s_or_b64 exec, exec, s[20:21]
	v_or_b32_e32 v26, 0x400, v0
	v_cmp_gt_u32_e64 s[18:19], s33, v26
	s_and_saveexec_b64 s[22:23], s[18:19]
	s_cbranch_execz .LBB39_51
; %bb.50:
	ds_read_u8 v7, v0 offset:3072
	v_mov_b32_e32 v8, s39
	s_waitcnt lgkmcnt(0)
	v_lshrrev_b32_sdwa v5, s48, v7 dst_sel:DWORD dst_unused:UNUSED_PAD src0_sel:DWORD src1_sel:BYTE_0
	v_and_b32_e32 v5, s52, v5
	v_lshlrev_b32_e32 v5, 3, v5
	ds_read_b64 v[5:6], v5
	v_xor_b32_e32 v7, 0x7f, v7
	s_waitcnt lgkmcnt(0)
	v_add_co_u32_e64 v5, s[20:21], s38, v5
	v_addc_co_u32_e64 v6, s[20:21], v8, v6, s[20:21]
	v_add_co_u32_e64 v5, s[20:21], v5, v0
	v_addc_co_u32_e64 v6, s[20:21], 0, v6, s[20:21]
	global_store_byte v[5:6], v7, off offset:1024
.LBB39_51:
	;; [unrolled: 21-line block ×5, first 2 shown]
	s_or_b64 exec, exec, s[50:51]
	s_lshl_b64 s[28:29], s[30:31], 3
	s_add_u32 s28, s40, s28
	s_addc_u32 s29, s41, s29
	v_lshlrev_b32_e32 v5, 3, v12
	v_mov_b32_e32 v6, s29
	v_add_co_u32_e64 v5, s[28:29], s28, v5
	v_addc_co_u32_e64 v6, s[28:29], 0, v6, s[28:29]
	v_lshlrev_b32_e32 v7, 3, v11
	v_add_co_u32_e64 v17, s[28:29], v5, v7
	v_addc_co_u32_e64 v18, s[28:29], 0, v6, s[28:29]
                                        ; implicit-def: $vgpr5_vgpr6
	s_and_saveexec_b64 s[28:29], vcc
	s_xor_b64 s[28:29], exec, s[28:29]
	s_cbranch_execz .LBB39_63
; %bb.58:
	global_load_dwordx2 v[5:6], v[17:18], off
	s_or_b64 exec, exec, s[28:29]
                                        ; implicit-def: $vgpr7_vgpr8
	s_and_saveexec_b64 s[28:29], s[0:1]
	s_cbranch_execnz .LBB39_64
.LBB39_59:
	s_or_b64 exec, exec, s[28:29]
                                        ; implicit-def: $vgpr9_vgpr10
	s_and_saveexec_b64 s[0:1], s[2:3]
	s_cbranch_execz .LBB39_65
.LBB39_60:
	global_load_dwordx2 v[9:10], v[17:18], off offset:1024
	s_or_b64 exec, exec, s[0:1]
                                        ; implicit-def: $vgpr11_vgpr12
	s_and_saveexec_b64 s[0:1], s[26:27]
	s_cbranch_execnz .LBB39_66
.LBB39_61:
	s_or_b64 exec, exec, s[0:1]
                                        ; implicit-def: $vgpr13_vgpr14
	s_and_saveexec_b64 s[0:1], s[8:9]
	s_cbranch_execz .LBB39_67
.LBB39_62:
	global_load_dwordx2 v[13:14], v[17:18], off offset:2048
	s_or_b64 exec, exec, s[0:1]
                                        ; implicit-def: $vgpr15_vgpr16
	s_and_saveexec_b64 s[0:1], s[10:11]
	s_cbranch_execnz .LBB39_68
	s_branch .LBB39_69
.LBB39_63:
	s_or_b64 exec, exec, s[28:29]
                                        ; implicit-def: $vgpr7_vgpr8
	s_and_saveexec_b64 s[28:29], s[0:1]
	s_cbranch_execz .LBB39_59
.LBB39_64:
	global_load_dwordx2 v[7:8], v[17:18], off offset:512
	s_or_b64 exec, exec, s[28:29]
                                        ; implicit-def: $vgpr9_vgpr10
	s_and_saveexec_b64 s[0:1], s[2:3]
	s_cbranch_execnz .LBB39_60
.LBB39_65:
	s_or_b64 exec, exec, s[0:1]
                                        ; implicit-def: $vgpr11_vgpr12
	s_and_saveexec_b64 s[0:1], s[26:27]
	s_cbranch_execz .LBB39_61
.LBB39_66:
	global_load_dwordx2 v[11:12], v[17:18], off offset:1536
	s_or_b64 exec, exec, s[0:1]
                                        ; implicit-def: $vgpr13_vgpr14
	s_and_saveexec_b64 s[0:1], s[8:9]
	s_cbranch_execnz .LBB39_62
.LBB39_67:
	s_or_b64 exec, exec, s[0:1]
                                        ; implicit-def: $vgpr15_vgpr16
	s_and_saveexec_b64 s[0:1], s[10:11]
	s_cbranch_execz .LBB39_69
.LBB39_68:
	global_load_dwordx2 v[15:16], v[17:18], off offset:2560
.LBB39_69:
	s_or_b64 exec, exec, s[0:1]
	v_mov_b32_e32 v34, 0
	v_mov_b32_e32 v36, 0
	s_and_saveexec_b64 s[0:1], s[14:15]
	s_cbranch_execz .LBB39_71
; %bb.70:
	ds_read_u8 v17, v0 offset:2048
	s_waitcnt lgkmcnt(0)
	v_lshrrev_b32_e32 v17, s48, v17
	v_and_b32_e32 v36, s52, v17
.LBB39_71:
	s_or_b64 exec, exec, s[0:1]
	s_and_saveexec_b64 s[0:1], s[16:17]
	s_cbranch_execz .LBB39_73
; %bb.72:
	ds_read_u8 v17, v0 offset:2560
	s_waitcnt lgkmcnt(0)
	v_lshrrev_b32_e32 v17, s48, v17
	v_and_b32_e32 v34, s52, v17
.LBB39_73:
	s_or_b64 exec, exec, s[0:1]
	v_mov_b32_e32 v18, 0
	v_mov_b32_e32 v35, 0
	s_and_saveexec_b64 s[0:1], s[18:19]
	s_cbranch_execz .LBB39_75
; %bb.74:
	ds_read_u8 v17, v0 offset:3072
	s_waitcnt lgkmcnt(0)
	v_lshrrev_b32_e32 v17, s48, v17
	v_and_b32_e32 v35, s52, v17
.LBB39_75:
	s_or_b64 exec, exec, s[0:1]
	s_and_saveexec_b64 s[0:1], s[20:21]
	s_cbranch_execz .LBB39_77
; %bb.76:
	ds_read_u8 v17, v0 offset:3584
	s_waitcnt lgkmcnt(0)
	v_lshrrev_b32_e32 v17, s48, v17
	v_and_b32_e32 v18, s52, v17
.LBB39_77:
	;; [unrolled: 20-line block ×3, first 2 shown]
	s_or_b64 exec, exec, s[0:1]
	v_lshlrev_b32_e32 v29, 3, v29
	s_waitcnt vmcnt(0)
	s_barrier
	ds_write_b64 v29, v[5:6] offset:2048
	v_lshlrev_b32_e32 v5, 3, v28
	ds_write_b64 v5, v[7:8] offset:2048
	v_lshlrev_b32_e32 v5, 3, v27
	;; [unrolled: 2-line block ×5, first 2 shown]
	ds_write_b64 v5, v[15:16] offset:2048
	s_waitcnt lgkmcnt(0)
	s_barrier
	s_and_saveexec_b64 s[0:1], s[14:15]
	s_cbranch_execz .LBB39_87
; %bb.82:
	v_lshlrev_b32_e32 v5, 3, v36
	ds_read_b64 v[5:6], v5
	ds_read_b64 v[7:8], v21 offset:2048
	v_mov_b32_e32 v9, s43
	s_waitcnt lgkmcnt(1)
	v_lshlrev_b64 v[5:6], 3, v[5:6]
	v_add_co_u32_e32 v5, vcc, s42, v5
	v_addc_co_u32_e32 v6, vcc, v9, v6, vcc
	v_add_co_u32_e32 v5, vcc, v5, v21
	v_addc_co_u32_e32 v6, vcc, 0, v6, vcc
	s_waitcnt lgkmcnt(0)
	global_store_dwordx2 v[5:6], v[7:8], off
	s_or_b64 exec, exec, s[0:1]
	s_and_saveexec_b64 s[0:1], s[16:17]
	s_cbranch_execnz .LBB39_88
.LBB39_83:
	s_or_b64 exec, exec, s[0:1]
	s_and_saveexec_b64 s[0:1], s[18:19]
	s_cbranch_execz .LBB39_89
.LBB39_84:
	v_lshlrev_b32_e32 v5, 3, v35
	ds_read_b64 v[5:6], v5
	ds_read_b64 v[7:8], v21 offset:10240
	v_mov_b32_e32 v9, s43
	s_waitcnt lgkmcnt(1)
	v_lshlrev_b64 v[5:6], 3, v[5:6]
	v_add_co_u32_e32 v5, vcc, s42, v5
	v_addc_co_u32_e32 v6, vcc, v9, v6, vcc
	v_lshlrev_b32_e32 v9, 3, v26
	v_add_co_u32_e32 v5, vcc, v5, v9
	v_addc_co_u32_e32 v6, vcc, 0, v6, vcc
	s_waitcnt lgkmcnt(0)
	global_store_dwordx2 v[5:6], v[7:8], off
	s_or_b64 exec, exec, s[0:1]
	s_and_saveexec_b64 s[0:1], s[20:21]
	s_cbranch_execnz .LBB39_90
.LBB39_85:
	s_or_b64 exec, exec, s[0:1]
	s_and_saveexec_b64 s[0:1], s[22:23]
	s_cbranch_execz .LBB39_91
.LBB39_86:
	v_lshlrev_b32_e32 v5, 3, v33
	ds_read_b64 v[5:6], v5
	ds_read_b64 v[7:8], v21 offset:18432
	v_mov_b32_e32 v9, s43
	s_waitcnt lgkmcnt(1)
	v_lshlrev_b64 v[5:6], 3, v[5:6]
	v_add_co_u32_e32 v5, vcc, s42, v5
	v_addc_co_u32_e32 v6, vcc, v9, v6, vcc
	v_lshlrev_b32_e32 v9, 3, v31
	v_add_co_u32_e32 v5, vcc, v5, v9
	v_addc_co_u32_e32 v6, vcc, 0, v6, vcc
	s_waitcnt lgkmcnt(0)
	global_store_dwordx2 v[5:6], v[7:8], off
	s_or_b64 exec, exec, s[0:1]
	s_and_saveexec_b64 s[0:1], s[24:25]
	s_cbranch_execnz .LBB39_92
	s_branch .LBB39_93
.LBB39_87:
	s_or_b64 exec, exec, s[0:1]
	s_and_saveexec_b64 s[0:1], s[16:17]
	s_cbranch_execz .LBB39_83
.LBB39_88:
	v_lshlrev_b32_e32 v5, 3, v34
	ds_read_b64 v[5:6], v5
	ds_read_b64 v[7:8], v21 offset:6144
	v_mov_b32_e32 v9, s43
	s_waitcnt lgkmcnt(1)
	v_lshlrev_b64 v[5:6], 3, v[5:6]
	v_add_co_u32_e32 v5, vcc, s42, v5
	v_addc_co_u32_e32 v6, vcc, v9, v6, vcc
	v_lshlrev_b32_e32 v9, 3, v25
	v_add_co_u32_e32 v5, vcc, v5, v9
	v_addc_co_u32_e32 v6, vcc, 0, v6, vcc
	s_waitcnt lgkmcnt(0)
	global_store_dwordx2 v[5:6], v[7:8], off
	s_or_b64 exec, exec, s[0:1]
	s_and_saveexec_b64 s[0:1], s[18:19]
	s_cbranch_execnz .LBB39_84
.LBB39_89:
	s_or_b64 exec, exec, s[0:1]
	s_and_saveexec_b64 s[0:1], s[20:21]
	s_cbranch_execz .LBB39_85
.LBB39_90:
	v_lshlrev_b32_e32 v5, 3, v18
	ds_read_b64 v[5:6], v5
	ds_read_b64 v[7:8], v21 offset:14336
	v_mov_b32_e32 v9, s43
	s_waitcnt lgkmcnt(1)
	v_lshlrev_b64 v[5:6], 3, v[5:6]
	v_add_co_u32_e32 v5, vcc, s42, v5
	v_addc_co_u32_e32 v6, vcc, v9, v6, vcc
	v_lshlrev_b32_e32 v9, 3, v30
	v_add_co_u32_e32 v5, vcc, v5, v9
	v_addc_co_u32_e32 v6, vcc, 0, v6, vcc
	s_waitcnt lgkmcnt(0)
	global_store_dwordx2 v[5:6], v[7:8], off
	s_or_b64 exec, exec, s[0:1]
	s_and_saveexec_b64 s[0:1], s[22:23]
	s_cbranch_execnz .LBB39_86
.LBB39_91:
	s_or_b64 exec, exec, s[0:1]
	s_and_saveexec_b64 s[0:1], s[24:25]
	s_cbranch_execz .LBB39_93
.LBB39_92:
	v_lshlrev_b32_e32 v5, 3, v17
	ds_read_b64 v[5:6], v5
	ds_read_b64 v[7:8], v21 offset:22528
	v_mov_b32_e32 v9, s43
	s_waitcnt lgkmcnt(1)
	v_lshlrev_b64 v[5:6], 3, v[5:6]
	v_add_co_u32_e32 v5, vcc, s42, v5
	v_addc_co_u32_e32 v6, vcc, v9, v6, vcc
	v_lshlrev_b32_e32 v9, 3, v32
	v_add_co_u32_e32 v5, vcc, v5, v9
	v_addc_co_u32_e32 v6, vcc, 0, v6, vcc
	s_waitcnt lgkmcnt(0)
	global_store_dwordx2 v[5:6], v[7:8], off
.LBB39_93:
	s_or_b64 exec, exec, s[0:1]
	s_add_i32 s7, s7, -1
	s_cmp_eq_u32 s6, s7
	s_cselect_b64 s[0:1], -1, 0
	s_xor_b64 s[2:3], s[12:13], -1
	s_and_b64 s[2:3], s[2:3], s[0:1]
	s_and_saveexec_b64 s[0:1], s[2:3]
	s_cbranch_execz .LBB39_95
; %bb.94:
	ds_read_b64 v[5:6], v21
	v_add_co_u32_e32 v3, vcc, v3, v20
	v_addc_co_u32_e32 v4, vcc, 0, v4, vcc
	s_waitcnt lgkmcnt(0)
	v_add_co_u32_e32 v3, vcc, v3, v5
	v_addc_co_u32_e32 v4, vcc, v4, v6, vcc
	global_store_dwordx2 v21, v[3:4], s[46:47]
.LBB39_95:
	s_or_b64 exec, exec, s[0:1]
	s_mov_b64 s[0:1], 0
.LBB39_96:
	s_and_b64 vcc, exec, s[0:1]
	s_cbranch_vccz .LBB39_131
; %bb.97:
	s_add_u32 s0, s36, s30
	s_addc_u32 s1, s37, 0
	v_mbcnt_hi_u32_b32 v10, -1, v19
	v_and_b32_e32 v7, 0x1c0, v0
	v_mov_b32_e32 v3, s1
	v_add_co_u32_e32 v4, vcc, s0, v10
	v_mul_u32_u24_e32 v9, 6, v7
	v_addc_co_u32_e32 v3, vcc, 0, v3, vcc
	v_add_co_u32_e32 v4, vcc, v4, v9
	v_addc_co_u32_e32 v5, vcc, 0, v3, vcc
	global_load_ubyte v8, v[4:5], off
	s_load_dword s0, s[4:5], 0x5c
	s_load_dword s7, s[4:5], 0x50
	s_add_u32 s1, s4, 0x50
	s_addc_u32 s2, s5, 0
	v_mov_b32_e32 v3, 0
	s_waitcnt lgkmcnt(0)
	s_lshr_b32 s3, s0, 16
	s_cmp_lt_u32 s6, s7
	s_cselect_b32 s0, 12, 18
	s_add_u32 s0, s1, s0
	s_addc_u32 s1, s2, 0
	global_load_ushort v12, v3, s[0:1]
	v_mul_u32_u24_e32 v6, 20, v0
	ds_write2_b32 v6, v3, v3 offset0:8 offset1:9
	ds_write2_b32 v6, v3, v3 offset0:10 offset1:11
	ds_write_b32 v6, v3 offset:48
	global_load_ubyte v11, v[4:5], off offset:64
	global_load_ubyte v15, v[4:5], off offset:128
	;; [unrolled: 1-line block ×5, first 2 shown]
	s_lshl_b32 s0, -1, s49
	v_mad_u32_u24 v1, v2, s3, v1
	s_not_b32 s12, s0
	s_mov_b32 s31, 0
	s_waitcnt vmcnt(0) lgkmcnt(0)
	s_barrier
	; wave barrier
	v_xor_b32_e32 v5, 0x7f, v8
	v_lshrrev_b32_e32 v2, s48, v5
	v_and_b32_e32 v8, s12, v2
	v_and_b32_e32 v2, 1, v8
	v_add_co_u32_e32 v14, vcc, -1, v2
	v_lshlrev_b32_e32 v4, 30, v8
	v_addc_co_u32_e64 v16, s[0:1], 0, -1, vcc
	v_cmp_ne_u32_e32 vcc, 0, v2
	v_cmp_gt_i64_e64 s[0:1], 0, v[3:4]
	v_not_b32_e32 v18, v4
	v_lshlrev_b32_e32 v4, 29, v8
	v_mad_u64_u32 v[1:2], s[2:3], v1, v12, v[0:1]
	v_xor_b32_e32 v2, vcc_hi, v16
	v_xor_b32_e32 v12, vcc_lo, v14
	v_ashrrev_i32_e32 v14, 31, v18
	v_cmp_gt_i64_e32 vcc, 0, v[3:4]
	v_not_b32_e32 v16, v4
	v_lshlrev_b32_e32 v4, 28, v8
	v_and_b32_e32 v2, exec_hi, v2
	v_and_b32_e32 v12, exec_lo, v12
	v_xor_b32_e32 v18, s1, v14
	v_xor_b32_e32 v14, s0, v14
	v_ashrrev_i32_e32 v16, 31, v16
	v_cmp_gt_i64_e64 s[0:1], 0, v[3:4]
	v_not_b32_e32 v19, v4
	v_lshlrev_b32_e32 v4, 27, v8
	v_and_b32_e32 v2, v2, v18
	v_and_b32_e32 v12, v12, v14
	v_xor_b32_e32 v14, vcc_hi, v16
	v_xor_b32_e32 v16, vcc_lo, v16
	v_ashrrev_i32_e32 v18, 31, v19
	v_cmp_gt_i64_e32 vcc, 0, v[3:4]
	v_not_b32_e32 v19, v4
	v_lshlrev_b32_e32 v4, 26, v8
	v_and_b32_e32 v2, v2, v14
	v_and_b32_e32 v12, v12, v16
	v_xor_b32_e32 v14, s1, v18
	v_xor_b32_e32 v16, s0, v18
	v_ashrrev_i32_e32 v18, 31, v19
	v_cmp_gt_i64_e64 s[0:1], 0, v[3:4]
	v_not_b32_e32 v4, v4
	v_lshrrev_b32_e32 v1, 4, v1
	v_and_b32_e32 v2, v2, v14
	v_and_b32_e32 v12, v12, v16
	v_xor_b32_e32 v14, vcc_hi, v18
	v_xor_b32_e32 v16, vcc_lo, v18
	v_ashrrev_i32_e32 v4, 31, v4
	v_and_b32_e32 v18, 0xffffffc, v1
	v_and_b32_e32 v1, v2, v14
	;; [unrolled: 1-line block ×3, first 2 shown]
	v_xor_b32_e32 v12, s1, v4
	v_xor_b32_e32 v4, s0, v4
	v_and_b32_e32 v2, v2, v4
	v_lshlrev_b32_e32 v4, 25, v8
	v_cmp_gt_i64_e32 vcc, 0, v[3:4]
	v_not_b32_e32 v4, v4
	v_ashrrev_i32_e32 v4, 31, v4
	v_and_b32_e32 v1, v1, v12
	v_xor_b32_e32 v12, vcc_hi, v4
	v_xor_b32_e32 v4, vcc_lo, v4
	v_and_b32_e32 v1, v1, v12
	v_and_b32_e32 v12, v2, v4
	v_lshlrev_b32_e32 v4, 24, v8
	v_cmp_gt_i64_e32 vcc, 0, v[3:4]
	v_not_b32_e32 v2, v4
	v_ashrrev_i32_e32 v2, 31, v2
	v_mul_u32_u24_e32 v13, 36, v8
	v_xor_b32_e32 v4, vcc_hi, v2
	v_xor_b32_e32 v8, vcc_lo, v2
	v_and_b32_e32 v2, v1, v4
	v_and_b32_e32 v1, v12, v8
	v_mbcnt_lo_u32_b32 v4, v1, 0
	v_mbcnt_hi_u32_b32 v8, v2, v4
	v_cmp_ne_u64_e32 vcc, 0, v[1:2]
	v_cmp_eq_u32_e64 s[0:1], 0, v8
	s_and_b64 s[2:3], vcc, s[0:1]
	v_add_u32_e32 v13, v18, v13
	s_and_saveexec_b64 s[0:1], s[2:3]
; %bb.98:
	v_bcnt_u32_b32 v1, v1, 0
	v_bcnt_u32_b32 v1, v2, v1
	ds_write_b32 v13, v1 offset:32
; %bb.99:
	s_or_b64 exec, exec, s[0:1]
	v_xor_b32_e32 v11, 0x7f, v11
	v_lshrrev_b32_sdwa v1, s48, v11 dst_sel:DWORD dst_unused:UNUSED_PAD src0_sel:DWORD src1_sel:BYTE_0
	v_and_b32_e32 v1, s12, v1
	v_mad_u32_u24 v2, v1, 36, v18
	; wave barrier
	ds_read_b32 v12, v2 offset:32
	v_and_b32_e32 v2, 1, v1
	v_add_co_u32_e32 v4, vcc, -1, v2
	v_addc_co_u32_e64 v14, s[0:1], 0, -1, vcc
	v_cmp_ne_u32_e32 vcc, 0, v2
	v_xor_b32_e32 v4, vcc_lo, v4
	v_xor_b32_e32 v2, vcc_hi, v14
	v_and_b32_e32 v14, exec_lo, v4
	v_lshlrev_b32_e32 v4, 30, v1
	v_cmp_gt_i64_e32 vcc, 0, v[3:4]
	v_not_b32_e32 v4, v4
	v_ashrrev_i32_e32 v4, 31, v4
	v_xor_b32_e32 v19, vcc_hi, v4
	v_xor_b32_e32 v4, vcc_lo, v4
	v_and_b32_e32 v14, v14, v4
	v_lshlrev_b32_e32 v4, 29, v1
	v_cmp_gt_i64_e32 vcc, 0, v[3:4]
	v_not_b32_e32 v4, v4
	v_and_b32_e32 v2, exec_hi, v2
	v_ashrrev_i32_e32 v4, 31, v4
	v_and_b32_e32 v2, v2, v19
	v_xor_b32_e32 v19, vcc_hi, v4
	v_xor_b32_e32 v4, vcc_lo, v4
	v_and_b32_e32 v14, v14, v4
	v_lshlrev_b32_e32 v4, 28, v1
	v_cmp_gt_i64_e32 vcc, 0, v[3:4]
	v_not_b32_e32 v4, v4
	v_ashrrev_i32_e32 v4, 31, v4
	v_and_b32_e32 v2, v2, v19
	v_xor_b32_e32 v19, vcc_hi, v4
	v_xor_b32_e32 v4, vcc_lo, v4
	v_and_b32_e32 v14, v14, v4
	v_lshlrev_b32_e32 v4, 27, v1
	v_cmp_gt_i64_e32 vcc, 0, v[3:4]
	v_not_b32_e32 v4, v4
	;; [unrolled: 8-line block ×4, first 2 shown]
	v_ashrrev_i32_e32 v4, 31, v4
	v_and_b32_e32 v2, v2, v19
	v_xor_b32_e32 v19, vcc_hi, v4
	v_xor_b32_e32 v4, vcc_lo, v4
	v_and_b32_e32 v14, v14, v4
	v_lshlrev_b32_e32 v4, 24, v1
	v_mul_u32_u24_e32 v16, 36, v1
	v_cmp_gt_i64_e32 vcc, 0, v[3:4]
	v_not_b32_e32 v1, v4
	v_ashrrev_i32_e32 v1, 31, v1
	v_xor_b32_e32 v3, vcc_hi, v1
	v_xor_b32_e32 v1, vcc_lo, v1
	v_and_b32_e32 v2, v2, v19
	v_and_b32_e32 v1, v14, v1
	;; [unrolled: 1-line block ×3, first 2 shown]
	v_mbcnt_lo_u32_b32 v3, v1, 0
	v_mbcnt_hi_u32_b32 v14, v2, v3
	v_cmp_ne_u64_e32 vcc, 0, v[1:2]
	v_cmp_eq_u32_e64 s[0:1], 0, v14
	s_and_b64 s[2:3], vcc, s[0:1]
	v_add_u32_e32 v19, v18, v16
	; wave barrier
	s_and_saveexec_b64 s[0:1], s[2:3]
	s_cbranch_execz .LBB39_101
; %bb.100:
	v_bcnt_u32_b32 v1, v1, 0
	v_bcnt_u32_b32 v1, v2, v1
	s_waitcnt lgkmcnt(0)
	v_add_u32_e32 v1, v12, v1
	ds_write_b32 v19, v1 offset:32
.LBB39_101:
	s_or_b64 exec, exec, s[0:1]
	v_xor_b32_e32 v15, 0x7f, v15
	v_lshrrev_b32_sdwa v1, s48, v15 dst_sel:DWORD dst_unused:UNUSED_PAD src0_sel:DWORD src1_sel:BYTE_0
	v_and_b32_e32 v3, s12, v1
	v_and_b32_e32 v2, 1, v3
	v_add_co_u32_e32 v20, vcc, -1, v2
	v_addc_co_u32_e64 v22, s[0:1], 0, -1, vcc
	v_cmp_ne_u32_e32 vcc, 0, v2
	v_mad_u32_u24 v1, v3, 36, v18
	v_xor_b32_e32 v2, vcc_hi, v22
	; wave barrier
	ds_read_b32 v16, v1 offset:32
	v_mov_b32_e32 v1, 0
	v_and_b32_e32 v22, exec_hi, v2
	v_lshlrev_b32_e32 v2, 30, v3
	v_xor_b32_e32 v20, vcc_lo, v20
	v_cmp_gt_i64_e32 vcc, 0, v[1:2]
	v_not_b32_e32 v2, v2
	v_ashrrev_i32_e32 v2, 31, v2
	v_and_b32_e32 v20, exec_lo, v20
	v_xor_b32_e32 v24, vcc_hi, v2
	v_xor_b32_e32 v2, vcc_lo, v2
	v_and_b32_e32 v20, v20, v2
	v_lshlrev_b32_e32 v2, 29, v3
	v_cmp_gt_i64_e32 vcc, 0, v[1:2]
	v_not_b32_e32 v2, v2
	v_ashrrev_i32_e32 v2, 31, v2
	v_and_b32_e32 v22, v22, v24
	v_xor_b32_e32 v24, vcc_hi, v2
	v_xor_b32_e32 v2, vcc_lo, v2
	v_and_b32_e32 v20, v20, v2
	v_lshlrev_b32_e32 v2, 28, v3
	v_cmp_gt_i64_e32 vcc, 0, v[1:2]
	v_not_b32_e32 v2, v2
	v_ashrrev_i32_e32 v2, 31, v2
	v_and_b32_e32 v22, v22, v24
	;; [unrolled: 8-line block ×5, first 2 shown]
	v_xor_b32_e32 v24, vcc_hi, v2
	v_xor_b32_e32 v2, vcc_lo, v2
	v_and_b32_e32 v20, v20, v2
	v_lshlrev_b32_e32 v2, 24, v3
	v_cmp_gt_i64_e32 vcc, 0, v[1:2]
	v_not_b32_e32 v2, v2
	v_ashrrev_i32_e32 v2, 31, v2
	v_mul_u32_u24_e32 v4, 36, v3
	v_xor_b32_e32 v3, vcc_hi, v2
	v_xor_b32_e32 v2, vcc_lo, v2
	v_and_b32_e32 v22, v22, v24
	v_and_b32_e32 v2, v20, v2
	v_and_b32_e32 v3, v22, v3
	v_mbcnt_lo_u32_b32 v20, v2, 0
	v_mbcnt_hi_u32_b32 v20, v3, v20
	v_cmp_ne_u64_e32 vcc, 0, v[2:3]
	v_cmp_eq_u32_e64 s[0:1], 0, v20
	s_and_b64 s[2:3], vcc, s[0:1]
	v_add_u32_e32 v24, v18, v4
	; wave barrier
	s_and_saveexec_b64 s[0:1], s[2:3]
	s_cbranch_execz .LBB39_103
; %bb.102:
	v_bcnt_u32_b32 v2, v2, 0
	v_bcnt_u32_b32 v2, v3, v2
	s_waitcnt lgkmcnt(0)
	v_add_u32_e32 v2, v16, v2
	ds_write_b32 v24, v2 offset:32
.LBB39_103:
	s_or_b64 exec, exec, s[0:1]
	v_xor_b32_e32 v21, 0x7f, v21
	v_lshrrev_b32_sdwa v2, s48, v21 dst_sel:DWORD dst_unused:UNUSED_PAD src0_sel:DWORD src1_sel:BYTE_0
	v_and_b32_e32 v3, s12, v2
	v_mad_u32_u24 v2, v3, 36, v18
	; wave barrier
	ds_read_b32 v22, v2 offset:32
	v_and_b32_e32 v2, 1, v3
	v_add_co_u32_e32 v25, vcc, -1, v2
	v_addc_co_u32_e64 v26, s[0:1], 0, -1, vcc
	v_cmp_ne_u32_e32 vcc, 0, v2
	v_xor_b32_e32 v2, vcc_hi, v26
	v_and_b32_e32 v26, exec_hi, v2
	v_lshlrev_b32_e32 v2, 30, v3
	v_xor_b32_e32 v25, vcc_lo, v25
	v_cmp_gt_i64_e32 vcc, 0, v[1:2]
	v_not_b32_e32 v2, v2
	v_ashrrev_i32_e32 v2, 31, v2
	v_and_b32_e32 v25, exec_lo, v25
	v_xor_b32_e32 v27, vcc_hi, v2
	v_xor_b32_e32 v2, vcc_lo, v2
	v_and_b32_e32 v25, v25, v2
	v_lshlrev_b32_e32 v2, 29, v3
	v_cmp_gt_i64_e32 vcc, 0, v[1:2]
	v_not_b32_e32 v2, v2
	v_ashrrev_i32_e32 v2, 31, v2
	v_and_b32_e32 v26, v26, v27
	v_xor_b32_e32 v27, vcc_hi, v2
	v_xor_b32_e32 v2, vcc_lo, v2
	v_and_b32_e32 v25, v25, v2
	v_lshlrev_b32_e32 v2, 28, v3
	v_cmp_gt_i64_e32 vcc, 0, v[1:2]
	v_not_b32_e32 v2, v2
	v_ashrrev_i32_e32 v2, 31, v2
	v_and_b32_e32 v26, v26, v27
	;; [unrolled: 8-line block ×5, first 2 shown]
	v_xor_b32_e32 v27, vcc_hi, v2
	v_xor_b32_e32 v2, vcc_lo, v2
	v_and_b32_e32 v25, v25, v2
	v_lshlrev_b32_e32 v2, 24, v3
	v_cmp_gt_i64_e32 vcc, 0, v[1:2]
	v_not_b32_e32 v1, v2
	v_ashrrev_i32_e32 v1, 31, v1
	v_xor_b32_e32 v2, vcc_hi, v1
	v_xor_b32_e32 v1, vcc_lo, v1
	v_and_b32_e32 v26, v26, v27
	v_and_b32_e32 v1, v25, v1
	v_mul_u32_u24_e32 v4, 36, v3
	v_and_b32_e32 v2, v26, v2
	v_mbcnt_lo_u32_b32 v3, v1, 0
	v_mbcnt_hi_u32_b32 v25, v2, v3
	v_cmp_ne_u64_e32 vcc, 0, v[1:2]
	v_cmp_eq_u32_e64 s[0:1], 0, v25
	s_and_b64 s[2:3], vcc, s[0:1]
	v_add_u32_e32 v27, v18, v4
	; wave barrier
	s_and_saveexec_b64 s[0:1], s[2:3]
	s_cbranch_execz .LBB39_105
; %bb.104:
	v_bcnt_u32_b32 v1, v1, 0
	v_bcnt_u32_b32 v1, v2, v1
	s_waitcnt lgkmcnt(0)
	v_add_u32_e32 v1, v22, v1
	ds_write_b32 v27, v1 offset:32
.LBB39_105:
	s_or_b64 exec, exec, s[0:1]
	v_xor_b32_e32 v23, 0x7f, v23
	v_lshrrev_b32_sdwa v1, s48, v23 dst_sel:DWORD dst_unused:UNUSED_PAD src0_sel:DWORD src1_sel:BYTE_0
	v_and_b32_e32 v3, s12, v1
	v_and_b32_e32 v2, 1, v3
	v_add_co_u32_e32 v28, vcc, -1, v2
	v_addc_co_u32_e64 v29, s[0:1], 0, -1, vcc
	v_cmp_ne_u32_e32 vcc, 0, v2
	v_mad_u32_u24 v1, v3, 36, v18
	v_xor_b32_e32 v2, vcc_hi, v29
	; wave barrier
	ds_read_b32 v26, v1 offset:32
	v_mov_b32_e32 v1, 0
	v_and_b32_e32 v29, exec_hi, v2
	v_lshlrev_b32_e32 v2, 30, v3
	v_xor_b32_e32 v28, vcc_lo, v28
	v_cmp_gt_i64_e32 vcc, 0, v[1:2]
	v_not_b32_e32 v2, v2
	v_ashrrev_i32_e32 v2, 31, v2
	v_and_b32_e32 v28, exec_lo, v28
	v_xor_b32_e32 v30, vcc_hi, v2
	v_xor_b32_e32 v2, vcc_lo, v2
	v_and_b32_e32 v28, v28, v2
	v_lshlrev_b32_e32 v2, 29, v3
	v_cmp_gt_i64_e32 vcc, 0, v[1:2]
	v_not_b32_e32 v2, v2
	v_ashrrev_i32_e32 v2, 31, v2
	v_and_b32_e32 v29, v29, v30
	v_xor_b32_e32 v30, vcc_hi, v2
	v_xor_b32_e32 v2, vcc_lo, v2
	v_and_b32_e32 v28, v28, v2
	v_lshlrev_b32_e32 v2, 28, v3
	v_cmp_gt_i64_e32 vcc, 0, v[1:2]
	v_not_b32_e32 v2, v2
	v_ashrrev_i32_e32 v2, 31, v2
	v_and_b32_e32 v29, v29, v30
	;; [unrolled: 8-line block ×5, first 2 shown]
	v_xor_b32_e32 v30, vcc_hi, v2
	v_xor_b32_e32 v2, vcc_lo, v2
	v_and_b32_e32 v28, v28, v2
	v_lshlrev_b32_e32 v2, 24, v3
	v_cmp_gt_i64_e32 vcc, 0, v[1:2]
	v_not_b32_e32 v2, v2
	v_ashrrev_i32_e32 v2, 31, v2
	v_mul_u32_u24_e32 v4, 36, v3
	v_xor_b32_e32 v3, vcc_hi, v2
	v_xor_b32_e32 v2, vcc_lo, v2
	v_and_b32_e32 v29, v29, v30
	v_and_b32_e32 v2, v28, v2
	;; [unrolled: 1-line block ×3, first 2 shown]
	v_mbcnt_lo_u32_b32 v28, v2, 0
	v_mbcnt_hi_u32_b32 v28, v3, v28
	v_cmp_ne_u64_e32 vcc, 0, v[2:3]
	v_cmp_eq_u32_e64 s[0:1], 0, v28
	s_and_b64 s[2:3], vcc, s[0:1]
	v_add_u32_e32 v31, v18, v4
	; wave barrier
	s_and_saveexec_b64 s[0:1], s[2:3]
	s_cbranch_execz .LBB39_107
; %bb.106:
	v_bcnt_u32_b32 v2, v2, 0
	v_bcnt_u32_b32 v2, v3, v2
	s_waitcnt lgkmcnt(0)
	v_add_u32_e32 v2, v26, v2
	ds_write_b32 v31, v2 offset:32
.LBB39_107:
	s_or_b64 exec, exec, s[0:1]
	v_xor_b32_e32 v29, 0x7f, v17
	v_lshrrev_b32_sdwa v2, s48, v29 dst_sel:DWORD dst_unused:UNUSED_PAD src0_sel:DWORD src1_sel:BYTE_0
	v_and_b32_e32 v3, s12, v2
	v_mad_u32_u24 v2, v3, 36, v18
	; wave barrier
	ds_read_b32 v30, v2 offset:32
	v_and_b32_e32 v2, 1, v3
	v_add_co_u32_e32 v17, vcc, -1, v2
	v_addc_co_u32_e64 v32, s[0:1], 0, -1, vcc
	v_cmp_ne_u32_e32 vcc, 0, v2
	v_xor_b32_e32 v2, vcc_hi, v32
	v_and_b32_e32 v32, exec_hi, v2
	v_lshlrev_b32_e32 v2, 30, v3
	v_xor_b32_e32 v17, vcc_lo, v17
	v_cmp_gt_i64_e32 vcc, 0, v[1:2]
	v_not_b32_e32 v2, v2
	v_ashrrev_i32_e32 v2, 31, v2
	v_and_b32_e32 v17, exec_lo, v17
	v_xor_b32_e32 v33, vcc_hi, v2
	v_xor_b32_e32 v2, vcc_lo, v2
	v_and_b32_e32 v17, v17, v2
	v_lshlrev_b32_e32 v2, 29, v3
	v_cmp_gt_i64_e32 vcc, 0, v[1:2]
	v_not_b32_e32 v2, v2
	v_ashrrev_i32_e32 v2, 31, v2
	v_and_b32_e32 v32, v32, v33
	v_xor_b32_e32 v33, vcc_hi, v2
	v_xor_b32_e32 v2, vcc_lo, v2
	v_and_b32_e32 v17, v17, v2
	v_lshlrev_b32_e32 v2, 28, v3
	v_cmp_gt_i64_e32 vcc, 0, v[1:2]
	v_not_b32_e32 v2, v2
	v_ashrrev_i32_e32 v2, 31, v2
	v_and_b32_e32 v32, v32, v33
	;; [unrolled: 8-line block ×5, first 2 shown]
	v_xor_b32_e32 v33, vcc_hi, v2
	v_xor_b32_e32 v2, vcc_lo, v2
	v_and_b32_e32 v17, v17, v2
	v_lshlrev_b32_e32 v2, 24, v3
	v_cmp_gt_i64_e32 vcc, 0, v[1:2]
	v_not_b32_e32 v1, v2
	v_ashrrev_i32_e32 v1, 31, v1
	v_xor_b32_e32 v2, vcc_hi, v1
	v_xor_b32_e32 v1, vcc_lo, v1
	v_and_b32_e32 v32, v32, v33
	v_and_b32_e32 v1, v17, v1
	v_mul_u32_u24_e32 v4, 36, v3
	v_and_b32_e32 v2, v32, v2
	v_mbcnt_lo_u32_b32 v3, v1, 0
	v_mbcnt_hi_u32_b32 v32, v2, v3
	v_cmp_ne_u64_e32 vcc, 0, v[1:2]
	v_cmp_eq_u32_e64 s[0:1], 0, v32
	s_and_b64 s[2:3], vcc, s[0:1]
	v_add_u32_e32 v17, v18, v4
	; wave barrier
	s_and_saveexec_b64 s[0:1], s[2:3]
	s_cbranch_execz .LBB39_109
; %bb.108:
	v_bcnt_u32_b32 v1, v1, 0
	v_bcnt_u32_b32 v1, v2, v1
	s_waitcnt lgkmcnt(0)
	v_add_u32_e32 v1, v30, v1
	ds_write_b32 v17, v1 offset:32
.LBB39_109:
	s_or_b64 exec, exec, s[0:1]
	; wave barrier
	s_waitcnt lgkmcnt(0)
	s_barrier
	ds_read2_b32 v[3:4], v6 offset0:8 offset1:9
	ds_read2_b32 v[1:2], v6 offset0:10 offset1:11
	ds_read_b32 v18, v6 offset:48
	v_min_u32_e32 v7, 0x1c0, v7
	v_or_b32_e32 v7, 63, v7
	s_waitcnt lgkmcnt(1)
	v_add3_u32 v33, v4, v3, v1
	s_waitcnt lgkmcnt(0)
	v_add3_u32 v18, v33, v2, v18
	v_and_b32_e32 v33, 15, v10
	v_cmp_ne_u32_e32 vcc, 0, v33
	v_mov_b32_dpp v34, v18 row_shr:1 row_mask:0xf bank_mask:0xf
	v_cndmask_b32_e32 v34, 0, v34, vcc
	v_add_u32_e32 v18, v34, v18
	v_cmp_lt_u32_e32 vcc, 1, v33
	s_nop 0
	v_mov_b32_dpp v34, v18 row_shr:2 row_mask:0xf bank_mask:0xf
	v_cndmask_b32_e32 v34, 0, v34, vcc
	v_add_u32_e32 v18, v18, v34
	v_cmp_lt_u32_e32 vcc, 3, v33
	s_nop 0
	;; [unrolled: 5-line block ×3, first 2 shown]
	v_mov_b32_dpp v34, v18 row_shr:8 row_mask:0xf bank_mask:0xf
	v_cndmask_b32_e32 v33, 0, v34, vcc
	v_add_u32_e32 v18, v18, v33
	v_bfe_i32 v34, v10, 4, 1
	v_cmp_lt_u32_e32 vcc, 31, v10
	v_mov_b32_dpp v33, v18 row_bcast:15 row_mask:0xf bank_mask:0xf
	v_and_b32_e32 v33, v34, v33
	v_add_u32_e32 v18, v18, v33
	s_nop 1
	v_mov_b32_dpp v33, v18 row_bcast:31 row_mask:0xf bank_mask:0xf
	v_cndmask_b32_e32 v33, 0, v33, vcc
	v_add_u32_e32 v18, v18, v33
	v_lshrrev_b32_e32 v33, 6, v0
	v_cmp_eq_u32_e32 vcc, v0, v7
	s_and_saveexec_b64 s[0:1], vcc
; %bb.110:
	v_lshlrev_b32_e32 v7, 2, v33
	ds_write_b32 v7, v18
; %bb.111:
	s_or_b64 exec, exec, s[0:1]
	v_cmp_gt_u32_e32 vcc, 8, v0
	s_waitcnt lgkmcnt(0)
	s_barrier
	s_and_saveexec_b64 s[0:1], vcc
	s_cbranch_execz .LBB39_113
; %bb.112:
	v_lshlrev_b32_e32 v7, 2, v0
	ds_read_b32 v34, v7
	v_and_b32_e32 v35, 7, v10
	v_cmp_ne_u32_e32 vcc, 0, v35
	s_waitcnt lgkmcnt(0)
	v_mov_b32_dpp v36, v34 row_shr:1 row_mask:0xf bank_mask:0xf
	v_cndmask_b32_e32 v36, 0, v36, vcc
	v_add_u32_e32 v34, v36, v34
	v_cmp_lt_u32_e32 vcc, 1, v35
	s_nop 0
	v_mov_b32_dpp v36, v34 row_shr:2 row_mask:0xf bank_mask:0xf
	v_cndmask_b32_e32 v36, 0, v36, vcc
	v_add_u32_e32 v34, v34, v36
	v_cmp_lt_u32_e32 vcc, 3, v35
	s_nop 0
	v_mov_b32_dpp v36, v34 row_shr:4 row_mask:0xf bank_mask:0xf
	v_cndmask_b32_e32 v35, 0, v36, vcc
	v_add_u32_e32 v34, v34, v35
	ds_write_b32 v7, v34
.LBB39_113:
	s_or_b64 exec, exec, s[0:1]
	v_cmp_lt_u32_e32 vcc, 63, v0
	v_mov_b32_e32 v7, 0
	s_waitcnt lgkmcnt(0)
	s_barrier
	s_and_saveexec_b64 s[0:1], vcc
; %bb.114:
	v_lshl_add_u32 v7, v33, 2, -4
	ds_read_b32 v7, v7
; %bb.115:
	s_or_b64 exec, exec, s[0:1]
	v_add_u32_e32 v33, -1, v10
	v_and_b32_e32 v34, 64, v10
	v_cmp_lt_i32_e32 vcc, v33, v34
	v_cndmask_b32_e32 v33, v33, v10, vcc
	s_waitcnt lgkmcnt(0)
	v_add_u32_e32 v18, v7, v18
	v_lshlrev_b32_e32 v33, 2, v33
	ds_bpermute_b32 v18, v33, v18
	v_cmp_eq_u32_e32 vcc, 0, v10
	s_movk_i32 s0, 0xff
	s_movk_i32 s2, 0x100
	s_waitcnt lgkmcnt(0)
	v_cndmask_b32_e32 v7, v18, v7, vcc
	v_cmp_ne_u32_e32 vcc, 0, v0
	v_cndmask_b32_e32 v7, 0, v7, vcc
	v_add_u32_e32 v3, v7, v3
	v_add_u32_e32 v4, v3, v4
	;; [unrolled: 1-line block ×4, first 2 shown]
	ds_write2_b32 v6, v7, v3 offset0:8 offset1:9
	ds_write2_b32 v6, v4, v1 offset0:10 offset1:11
	ds_write_b32 v6, v2 offset:48
	s_waitcnt lgkmcnt(0)
	s_barrier
	ds_read_b32 v3, v13 offset:32
	ds_read_b32 v4, v19 offset:32
	;; [unrolled: 1-line block ×6, first 2 shown]
	v_mov_b32_e32 v1, 0
	v_cmp_lt_u32_e32 vcc, s0, v0
	v_mov_b32_e32 v2, 0
	v_cmp_gt_u32_e64 s[0:1], s2, v0
                                        ; implicit-def: $vgpr13
	s_and_saveexec_b64 s[4:5], s[0:1]
	s_cbranch_execz .LBB39_119
; %bb.116:
	v_mul_u32_u24_e32 v1, 36, v0
	ds_read_b32 v1, v1 offset:32
	v_add_u32_e32 v13, 1, v0
	v_cmp_ne_u32_e64 s[2:3], s2, v13
	v_mov_b32_e32 v2, 0xc00
	s_and_saveexec_b64 s[8:9], s[2:3]
; %bb.117:
	v_mul_u32_u24_e32 v2, 36, v13
	ds_read_b32 v2, v2 offset:32
; %bb.118:
	s_or_b64 exec, exec, s[8:9]
	s_waitcnt lgkmcnt(0)
	v_sub_u32_e32 v13, v2, v1
	v_mov_b32_e32 v2, 0
.LBB39_119:
	s_or_b64 exec, exec, s[4:5]
	s_waitcnt lgkmcnt(5)
	v_add_u32_e32 v19, v3, v8
	s_waitcnt lgkmcnt(4)
	v_add3_u32 v18, v14, v12, v4
	s_waitcnt lgkmcnt(3)
	v_add3_u32 v17, v20, v16, v6
	;; [unrolled: 2-line block ×5, first 2 shown]
	s_barrier
	ds_write_b8 v19, v5 offset:2048
	ds_write_b8 v18, v11 offset:2048
	;; [unrolled: 1-line block ×6, first 2 shown]
	v_mov_b32_e32 v4, 0
	v_lshlrev_b32_e32 v11, 3, v0
	s_waitcnt lgkmcnt(0)
	s_barrier
	s_and_saveexec_b64 s[2:3], s[0:1]
	s_cbranch_execz .LBB39_129
; %bb.120:
	v_lshl_add_u32 v3, s6, 8, v0
	v_lshlrev_b64 v[5:6], 2, v[3:4]
	v_mov_b32_e32 v15, s35
	v_add_co_u32_e64 v5, s[0:1], s34, v5
	v_addc_co_u32_e64 v6, s[0:1], v15, v6, s[0:1]
	v_or_b32_e32 v3, 2.0, v13
	s_mov_b64 s[4:5], 0
	s_brev_b32 s13, -4
	s_mov_b32 s14, s6
	v_mov_b32_e32 v20, 0
	global_store_dword v[5:6], v3, off
                                        ; implicit-def: $sgpr0_sgpr1
	s_branch .LBB39_123
.LBB39_121:                             ;   in Loop: Header=BB39_123 Depth=1
	s_or_b64 exec, exec, s[10:11]
.LBB39_122:                             ;   in Loop: Header=BB39_123 Depth=1
	s_or_b64 exec, exec, s[8:9]
	v_and_b32_e32 v7, 0x3fffffff, v3
	v_add_u32_e32 v20, v7, v20
	v_cmp_gt_i32_e64 s[0:1], -2.0, v3
	s_and_b64 s[8:9], exec, s[0:1]
	s_or_b64 s[4:5], s[8:9], s[4:5]
	s_andn2_b64 exec, exec, s[4:5]
	s_cbranch_execz .LBB39_128
.LBB39_123:                             ; =>This Loop Header: Depth=1
                                        ;     Child Loop BB39_126 Depth 2
	s_or_b64 s[0:1], s[0:1], exec
	s_cmp_eq_u32 s14, 0
	s_cbranch_scc1 .LBB39_127
; %bb.124:                              ;   in Loop: Header=BB39_123 Depth=1
	s_add_i32 s14, s14, -1
	v_lshl_or_b32 v3, s14, 8, v0
	v_lshlrev_b64 v[7:8], 2, v[3:4]
	v_add_co_u32_e64 v7, s[0:1], s34, v7
	v_addc_co_u32_e64 v8, s[0:1], v15, v8, s[0:1]
	global_load_dword v3, v[7:8], off glc
	s_waitcnt vmcnt(0)
	v_cmp_gt_u32_e64 s[0:1], 2.0, v3
	s_and_saveexec_b64 s[8:9], s[0:1]
	s_cbranch_execz .LBB39_122
; %bb.125:                              ;   in Loop: Header=BB39_123 Depth=1
	s_mov_b64 s[10:11], 0
.LBB39_126:                             ;   Parent Loop BB39_123 Depth=1
                                        ; =>  This Inner Loop Header: Depth=2
	global_load_dword v3, v[7:8], off glc
	s_waitcnt vmcnt(0)
	v_cmp_lt_u32_e64 s[0:1], s13, v3
	s_or_b64 s[10:11], s[0:1], s[10:11]
	s_andn2_b64 exec, exec, s[10:11]
	s_cbranch_execnz .LBB39_126
	s_branch .LBB39_121
.LBB39_127:                             ;   in Loop: Header=BB39_123 Depth=1
                                        ; implicit-def: $sgpr14
	s_and_b64 s[8:9], exec, s[0:1]
	s_or_b64 s[4:5], s[8:9], s[4:5]
	s_andn2_b64 exec, exec, s[4:5]
	s_cbranch_execnz .LBB39_123
.LBB39_128:
	s_or_b64 exec, exec, s[4:5]
	v_add_u32_e32 v3, v20, v13
	v_or_b32_e32 v3, 0x80000000, v3
	global_store_dword v[5:6], v3, off
	global_load_dwordx2 v[3:4], v11, s[44:45]
	v_sub_co_u32_e64 v5, s[0:1], v20, v1
	v_subb_co_u32_e64 v6, s[0:1], 0, v2, s[0:1]
	s_waitcnt vmcnt(0)
	v_add_co_u32_e64 v3, s[0:1], v5, v3
	v_addc_co_u32_e64 v4, s[0:1], v6, v4, s[0:1]
	ds_write_b64 v11, v[3:4]
.LBB39_129:
	s_or_b64 exec, exec, s[2:3]
	s_waitcnt lgkmcnt(0)
	s_barrier
	ds_read_u8 v15, v0 offset:4096
	ds_read_u8 v26, v0 offset:3072
	;; [unrolled: 1-line block ×5, first 2 shown]
	s_waitcnt lgkmcnt(4)
	v_lshrrev_b32_sdwa v3, s48, v15 dst_sel:DWORD dst_unused:UNUSED_PAD src0_sel:DWORD src1_sel:BYTE_0
	v_and_b32_e32 v3, s12, v3
	v_lshlrev_b32_e32 v29, 3, v3
	s_waitcnt lgkmcnt(1)
	v_lshrrev_b32_sdwa v3, s48, v28 dst_sel:DWORD dst_unused:UNUSED_PAD src0_sel:DWORD src1_sel:BYTE_0
	v_and_b32_e32 v3, s12, v3
	v_lshlrev_b32_e32 v30, 3, v3
	ds_read_u8 v31, v0 offset:2560
	ds_read_b64 v[3:4], v29
	ds_read_b64 v[5:6], v30
	s_waitcnt lgkmcnt(3)
	v_lshrrev_b32_sdwa v8, s48, v7 dst_sel:DWORD dst_unused:UNUSED_PAD src0_sel:DWORD src1_sel:BYTE_0
	v_xor_b32_e32 v32, 0x7f, v7
	s_waitcnt lgkmcnt(2)
	v_lshrrev_b32_sdwa v7, s48, v31 dst_sel:DWORD dst_unused:UNUSED_PAD src0_sel:DWORD src1_sel:BYTE_0
	v_and_b32_e32 v7, s12, v7
	v_lshlrev_b32_e32 v35, 3, v7
	v_lshrrev_b32_sdwa v7, s48, v26 dst_sel:DWORD dst_unused:UNUSED_PAD src0_sel:DWORD src1_sel:BYTE_0
	v_and_b32_e32 v7, s12, v7
	v_and_b32_e32 v8, s12, v8
	v_lshlrev_b32_e32 v36, 3, v7
	v_lshrrev_b32_sdwa v7, s48, v27 dst_sel:DWORD dst_unused:UNUSED_PAD src0_sel:DWORD src1_sel:BYTE_0
	v_lshlrev_b32_e32 v33, 3, v8
	v_and_b32_e32 v7, s12, v7
	v_lshlrev_b32_e32 v37, 3, v7
	ds_read_b64 v[7:8], v33
	ds_read_b64 v[20:21], v35
	;; [unrolled: 1-line block ×4, first 2 shown]
	v_mov_b32_e32 v34, s39
	s_waitcnt lgkmcnt(3)
	v_add_co_u32_e64 v7, s[0:1], s38, v7
	v_addc_co_u32_e64 v8, s[0:1], v34, v8, s[0:1]
	v_add_co_u32_e64 v7, s[0:1], v7, v0
	v_addc_co_u32_e64 v8, s[0:1], 0, v8, s[0:1]
	global_store_byte v[7:8], v32, off
	v_mov_b32_e32 v7, s39
	s_waitcnt lgkmcnt(2)
	v_add_co_u32_e64 v8, s[0:1], s38, v20
	v_addc_co_u32_e64 v20, s[0:1], v7, v21, s[0:1]
	v_add_co_u32_e64 v7, s[0:1], v8, v0
	v_xor_b32_e32 v31, 0x7f, v31
	v_addc_co_u32_e64 v8, s[0:1], 0, v20, s[0:1]
	global_store_byte v[7:8], v31, off offset:512
	v_mov_b32_e32 v7, s39
	s_waitcnt lgkmcnt(1)
	v_add_co_u32_e64 v8, s[0:1], s38, v22
	v_addc_co_u32_e64 v21, s[0:1], v7, v23, s[0:1]
	v_add_co_u32_e64 v7, s[0:1], v8, v0
	v_xor_b32_e32 v20, 0x7f, v26
	v_addc_co_u32_e64 v8, s[0:1], 0, v21, s[0:1]
	global_store_byte v[7:8], v20, off offset:1024
	;; [unrolled: 8-line block ×3, first 2 shown]
	v_mov_b32_e32 v8, s39
	v_add_co_u32_e64 v3, s[0:1], s38, v3
	v_addc_co_u32_e64 v4, s[0:1], v8, v4, s[0:1]
	v_add_co_u32_e64 v3, s[0:1], v3, v0
	v_xor_b32_e32 v7, 0x7f, v15
	v_addc_co_u32_e64 v4, s[0:1], 0, v4, s[0:1]
	global_store_byte v[3:4], v7, off offset:2048
	v_mov_b32_e32 v3, s39
	v_add_co_u32_e64 v4, s[0:1], s38, v5
	v_addc_co_u32_e64 v5, s[0:1], v3, v6, s[0:1]
	v_add_co_u32_e64 v3, s[0:1], v4, v0
	v_addc_co_u32_e64 v4, s[0:1], 0, v5, s[0:1]
	s_lshl_b64 s[0:1], s[30:31], 3
	v_xor_b32_e32 v7, 0x7f, v28
	s_add_u32 s0, s40, s0
	global_store_byte v[3:4], v7, off offset:2560
	s_addc_u32 s1, s41, s1
	v_lshlrev_b32_e32 v3, 3, v10
	v_mov_b32_e32 v4, s1
	v_add_co_u32_e64 v3, s[0:1], s0, v3
	v_addc_co_u32_e64 v4, s[0:1], 0, v4, s[0:1]
	v_lshlrev_b32_e32 v5, 3, v9
	v_add_co_u32_e64 v3, s[0:1], v3, v5
	v_addc_co_u32_e64 v4, s[0:1], 0, v4, s[0:1]
	global_load_dwordx2 v[5:6], v[3:4], off
	global_load_dwordx2 v[7:8], v[3:4], off offset:512
	global_load_dwordx2 v[9:10], v[3:4], off offset:1024
	;; [unrolled: 1-line block ×5, first 2 shown]
	v_lshlrev_b32_e32 v3, 3, v19
	s_waitcnt vmcnt(0)
	s_barrier
	v_mad_u32_u24 v0, v0, 7, v0
	s_add_i32 s7, s7, -1
	s_cmp_eq_u32 s6, s7
	ds_write_b64 v3, v[5:6] offset:2048
	v_lshlrev_b32_e32 v3, 3, v18
	ds_write_b64 v3, v[7:8] offset:2048
	v_lshlrev_b32_e32 v3, 3, v17
	;; [unrolled: 2-line block ×5, first 2 shown]
	ds_write_b64 v3, v[24:25] offset:2048
	s_waitcnt lgkmcnt(0)
	s_barrier
	ds_read_b64 v[7:8], v33
	ds_read2st64_b64 v[3:6], v0 offset0:4 offset1:12
	ds_read_b64 v[9:10], v35
	ds_read_b64 v[14:15], v36
	;; [unrolled: 1-line block ×3, first 2 shown]
	s_waitcnt lgkmcnt(4)
	v_lshlrev_b64 v[7:8], 3, v[7:8]
	v_mov_b32_e32 v12, s43
	v_add_co_u32_e64 v7, s[0:1], s42, v7
	v_addc_co_u32_e64 v8, s[0:1], v12, v8, s[0:1]
	v_add_co_u32_e64 v7, s[0:1], v7, v11
	v_addc_co_u32_e64 v8, s[0:1], 0, v8, s[0:1]
	s_waitcnt lgkmcnt(3)
	global_store_dwordx2 v[7:8], v[3:4], off
	s_waitcnt lgkmcnt(2)
	v_lshlrev_b64 v[3:4], 3, v[9:10]
	v_mov_b32_e32 v7, s43
	v_add_co_u32_e64 v3, s[0:1], s42, v3
	v_addc_co_u32_e64 v4, s[0:1], v7, v4, s[0:1]
	v_or_b32_e32 v7, 0x1000, v11
	v_add_co_u32_e64 v3, s[0:1], v3, v7
	v_addc_co_u32_e64 v4, s[0:1], 0, v4, s[0:1]
	s_waitcnt lgkmcnt(1)
	v_lshlrev_b64 v[7:8], 3, v[14:15]
	global_store_dwordx2 v[3:4], v[5:6], off
	ds_read2st64_b64 v[3:6], v0 offset0:20 offset1:28
	v_mov_b32_e32 v9, s43
	v_add_co_u32_e64 v7, s[0:1], s42, v7
	v_addc_co_u32_e64 v8, s[0:1], v9, v8, s[0:1]
	v_or_b32_e32 v9, 0x2000, v11
	v_add_co_u32_e64 v7, s[0:1], v7, v9
	v_addc_co_u32_e64 v8, s[0:1], 0, v8, s[0:1]
	s_waitcnt lgkmcnt(0)
	global_store_dwordx2 v[7:8], v[3:4], off
	v_lshlrev_b64 v[3:4], 3, v[16:17]
	v_mov_b32_e32 v7, s43
	v_add_co_u32_e64 v3, s[0:1], s42, v3
	v_addc_co_u32_e64 v4, s[0:1], v7, v4, s[0:1]
	ds_read_b64 v[7:8], v29
	v_or_b32_e32 v9, 0x3000, v11
	v_add_co_u32_e64 v3, s[0:1], v3, v9
	v_addc_co_u32_e64 v4, s[0:1], 0, v4, s[0:1]
	global_store_dwordx2 v[3:4], v[5:6], off
	s_waitcnt lgkmcnt(0)
	v_lshlrev_b64 v[7:8], 3, v[7:8]
	ds_read2st64_b64 v[3:6], v0 offset0:36 offset1:44
	ds_read_b64 v[9:10], v30
	v_mov_b32_e32 v0, s43
	v_add_co_u32_e64 v7, s[0:1], s42, v7
	v_addc_co_u32_e64 v0, s[0:1], v0, v8, s[0:1]
	v_or_b32_e32 v8, 0x4000, v11
	v_add_co_u32_e64 v7, s[0:1], v7, v8
	v_addc_co_u32_e64 v8, s[0:1], 0, v0, s[0:1]
	s_waitcnt lgkmcnt(1)
	global_store_dwordx2 v[7:8], v[3:4], off
	s_waitcnt lgkmcnt(0)
	v_lshlrev_b64 v[3:4], 3, v[9:10]
	v_mov_b32_e32 v0, s43
	v_add_co_u32_e64 v3, s[0:1], s42, v3
	v_addc_co_u32_e64 v0, s[0:1], v0, v4, s[0:1]
	v_or_b32_e32 v4, 0x5000, v11
	v_add_co_u32_e64 v3, s[0:1], v3, v4
	v_addc_co_u32_e64 v4, s[0:1], 0, v0, s[0:1]
	s_cselect_b64 s[0:1], -1, 0
	s_xor_b64 s[2:3], vcc, -1
	s_and_b64 s[0:1], s[2:3], s[0:1]
	global_store_dwordx2 v[3:4], v[5:6], off
	s_and_saveexec_b64 s[2:3], s[0:1]
	s_cbranch_execz .LBB39_131
; %bb.130:
	ds_read_b64 v[3:4], v11
	v_add_co_u32_e32 v0, vcc, v1, v13
	v_addc_co_u32_e32 v1, vcc, 0, v2, vcc
	s_waitcnt lgkmcnt(0)
	v_add_co_u32_e32 v0, vcc, v0, v3
	v_addc_co_u32_e32 v1, vcc, v1, v4, vcc
	global_store_dwordx2 v11, v[0:1], s[46:47]
.LBB39_131:
	s_endpgm
	.section	.rodata,"a",@progbits
	.p2align	6, 0x0
	.amdhsa_kernel _ZN7rocprim17ROCPRIM_304000_NS6detail25onesweep_iteration_kernelINS1_34wrapped_radix_sort_onesweep_configINS0_14default_configEaN2at4cuda3cub6detail10OpaqueTypeILi8EEEEELb1EPaSC_PSA_SD_mNS0_19identity_decomposerEEEvT1_T2_T3_T4_jPT5_SK_PNS1_23onesweep_lookback_stateET6_jjj
		.amdhsa_group_segment_fixed_size 26624
		.amdhsa_private_segment_fixed_size 0
		.amdhsa_kernarg_size 336
		.amdhsa_user_sgpr_count 6
		.amdhsa_user_sgpr_private_segment_buffer 1
		.amdhsa_user_sgpr_dispatch_ptr 0
		.amdhsa_user_sgpr_queue_ptr 0
		.amdhsa_user_sgpr_kernarg_segment_ptr 1
		.amdhsa_user_sgpr_dispatch_id 0
		.amdhsa_user_sgpr_flat_scratch_init 0
		.amdhsa_user_sgpr_private_segment_size 0
		.amdhsa_uses_dynamic_stack 0
		.amdhsa_system_sgpr_private_segment_wavefront_offset 0
		.amdhsa_system_sgpr_workgroup_id_x 1
		.amdhsa_system_sgpr_workgroup_id_y 0
		.amdhsa_system_sgpr_workgroup_id_z 0
		.amdhsa_system_sgpr_workgroup_info 0
		.amdhsa_system_vgpr_workitem_id 2
		.amdhsa_next_free_vgpr 49
		.amdhsa_next_free_sgpr 98
		.amdhsa_reserve_vcc 1
		.amdhsa_reserve_flat_scratch 0
		.amdhsa_float_round_mode_32 0
		.amdhsa_float_round_mode_16_64 0
		.amdhsa_float_denorm_mode_32 3
		.amdhsa_float_denorm_mode_16_64 3
		.amdhsa_dx10_clamp 1
		.amdhsa_ieee_mode 1
		.amdhsa_fp16_overflow 0
		.amdhsa_exception_fp_ieee_invalid_op 0
		.amdhsa_exception_fp_denorm_src 0
		.amdhsa_exception_fp_ieee_div_zero 0
		.amdhsa_exception_fp_ieee_overflow 0
		.amdhsa_exception_fp_ieee_underflow 0
		.amdhsa_exception_fp_ieee_inexact 0
		.amdhsa_exception_int_div_zero 0
	.end_amdhsa_kernel
	.section	.text._ZN7rocprim17ROCPRIM_304000_NS6detail25onesweep_iteration_kernelINS1_34wrapped_radix_sort_onesweep_configINS0_14default_configEaN2at4cuda3cub6detail10OpaqueTypeILi8EEEEELb1EPaSC_PSA_SD_mNS0_19identity_decomposerEEEvT1_T2_T3_T4_jPT5_SK_PNS1_23onesweep_lookback_stateET6_jjj,"axG",@progbits,_ZN7rocprim17ROCPRIM_304000_NS6detail25onesweep_iteration_kernelINS1_34wrapped_radix_sort_onesweep_configINS0_14default_configEaN2at4cuda3cub6detail10OpaqueTypeILi8EEEEELb1EPaSC_PSA_SD_mNS0_19identity_decomposerEEEvT1_T2_T3_T4_jPT5_SK_PNS1_23onesweep_lookback_stateET6_jjj,comdat
.Lfunc_end39:
	.size	_ZN7rocprim17ROCPRIM_304000_NS6detail25onesweep_iteration_kernelINS1_34wrapped_radix_sort_onesweep_configINS0_14default_configEaN2at4cuda3cub6detail10OpaqueTypeILi8EEEEELb1EPaSC_PSA_SD_mNS0_19identity_decomposerEEEvT1_T2_T3_T4_jPT5_SK_PNS1_23onesweep_lookback_stateET6_jjj, .Lfunc_end39-_ZN7rocprim17ROCPRIM_304000_NS6detail25onesweep_iteration_kernelINS1_34wrapped_radix_sort_onesweep_configINS0_14default_configEaN2at4cuda3cub6detail10OpaqueTypeILi8EEEEELb1EPaSC_PSA_SD_mNS0_19identity_decomposerEEEvT1_T2_T3_T4_jPT5_SK_PNS1_23onesweep_lookback_stateET6_jjj
                                        ; -- End function
	.set _ZN7rocprim17ROCPRIM_304000_NS6detail25onesweep_iteration_kernelINS1_34wrapped_radix_sort_onesweep_configINS0_14default_configEaN2at4cuda3cub6detail10OpaqueTypeILi8EEEEELb1EPaSC_PSA_SD_mNS0_19identity_decomposerEEEvT1_T2_T3_T4_jPT5_SK_PNS1_23onesweep_lookback_stateET6_jjj.num_vgpr, 40
	.set _ZN7rocprim17ROCPRIM_304000_NS6detail25onesweep_iteration_kernelINS1_34wrapped_radix_sort_onesweep_configINS0_14default_configEaN2at4cuda3cub6detail10OpaqueTypeILi8EEEEELb1EPaSC_PSA_SD_mNS0_19identity_decomposerEEEvT1_T2_T3_T4_jPT5_SK_PNS1_23onesweep_lookback_stateET6_jjj.num_agpr, 0
	.set _ZN7rocprim17ROCPRIM_304000_NS6detail25onesweep_iteration_kernelINS1_34wrapped_radix_sort_onesweep_configINS0_14default_configEaN2at4cuda3cub6detail10OpaqueTypeILi8EEEEELb1EPaSC_PSA_SD_mNS0_19identity_decomposerEEEvT1_T2_T3_T4_jPT5_SK_PNS1_23onesweep_lookback_stateET6_jjj.numbered_sgpr, 53
	.set _ZN7rocprim17ROCPRIM_304000_NS6detail25onesweep_iteration_kernelINS1_34wrapped_radix_sort_onesweep_configINS0_14default_configEaN2at4cuda3cub6detail10OpaqueTypeILi8EEEEELb1EPaSC_PSA_SD_mNS0_19identity_decomposerEEEvT1_T2_T3_T4_jPT5_SK_PNS1_23onesweep_lookback_stateET6_jjj.num_named_barrier, 0
	.set _ZN7rocprim17ROCPRIM_304000_NS6detail25onesweep_iteration_kernelINS1_34wrapped_radix_sort_onesweep_configINS0_14default_configEaN2at4cuda3cub6detail10OpaqueTypeILi8EEEEELb1EPaSC_PSA_SD_mNS0_19identity_decomposerEEEvT1_T2_T3_T4_jPT5_SK_PNS1_23onesweep_lookback_stateET6_jjj.private_seg_size, 0
	.set _ZN7rocprim17ROCPRIM_304000_NS6detail25onesweep_iteration_kernelINS1_34wrapped_radix_sort_onesweep_configINS0_14default_configEaN2at4cuda3cub6detail10OpaqueTypeILi8EEEEELb1EPaSC_PSA_SD_mNS0_19identity_decomposerEEEvT1_T2_T3_T4_jPT5_SK_PNS1_23onesweep_lookback_stateET6_jjj.uses_vcc, 1
	.set _ZN7rocprim17ROCPRIM_304000_NS6detail25onesweep_iteration_kernelINS1_34wrapped_radix_sort_onesweep_configINS0_14default_configEaN2at4cuda3cub6detail10OpaqueTypeILi8EEEEELb1EPaSC_PSA_SD_mNS0_19identity_decomposerEEEvT1_T2_T3_T4_jPT5_SK_PNS1_23onesweep_lookback_stateET6_jjj.uses_flat_scratch, 0
	.set _ZN7rocprim17ROCPRIM_304000_NS6detail25onesweep_iteration_kernelINS1_34wrapped_radix_sort_onesweep_configINS0_14default_configEaN2at4cuda3cub6detail10OpaqueTypeILi8EEEEELb1EPaSC_PSA_SD_mNS0_19identity_decomposerEEEvT1_T2_T3_T4_jPT5_SK_PNS1_23onesweep_lookback_stateET6_jjj.has_dyn_sized_stack, 0
	.set _ZN7rocprim17ROCPRIM_304000_NS6detail25onesweep_iteration_kernelINS1_34wrapped_radix_sort_onesweep_configINS0_14default_configEaN2at4cuda3cub6detail10OpaqueTypeILi8EEEEELb1EPaSC_PSA_SD_mNS0_19identity_decomposerEEEvT1_T2_T3_T4_jPT5_SK_PNS1_23onesweep_lookback_stateET6_jjj.has_recursion, 0
	.set _ZN7rocprim17ROCPRIM_304000_NS6detail25onesweep_iteration_kernelINS1_34wrapped_radix_sort_onesweep_configINS0_14default_configEaN2at4cuda3cub6detail10OpaqueTypeILi8EEEEELb1EPaSC_PSA_SD_mNS0_19identity_decomposerEEEvT1_T2_T3_T4_jPT5_SK_PNS1_23onesweep_lookback_stateET6_jjj.has_indirect_call, 0
	.section	.AMDGPU.csdata,"",@progbits
; Kernel info:
; codeLenInByte = 11084
; TotalNumSgprs: 57
; NumVgprs: 40
; ScratchSize: 0
; MemoryBound: 0
; FloatMode: 240
; IeeeMode: 1
; LDSByteSize: 26624 bytes/workgroup (compile time only)
; SGPRBlocks: 12
; VGPRBlocks: 12
; NumSGPRsForWavesPerEU: 102
; NumVGPRsForWavesPerEU: 49
; Occupancy: 4
; WaveLimiterHint : 1
; COMPUTE_PGM_RSRC2:SCRATCH_EN: 0
; COMPUTE_PGM_RSRC2:USER_SGPR: 6
; COMPUTE_PGM_RSRC2:TRAP_HANDLER: 0
; COMPUTE_PGM_RSRC2:TGID_X_EN: 1
; COMPUTE_PGM_RSRC2:TGID_Y_EN: 0
; COMPUTE_PGM_RSRC2:TGID_Z_EN: 0
; COMPUTE_PGM_RSRC2:TIDIG_COMP_CNT: 2
	.section	.text._ZN7rocprim17ROCPRIM_304000_NS6detail28radix_sort_block_sort_kernelINS1_36wrapped_radix_sort_block_sort_configINS0_13kernel_configILj256ELj4ELj4294967295EEEaN2at4cuda3cub6detail10OpaqueTypeILi8EEEEELb0EPKaPaPKSB_PSB_NS0_19identity_decomposerEEEvT1_T2_T3_T4_jT5_jj,"axG",@progbits,_ZN7rocprim17ROCPRIM_304000_NS6detail28radix_sort_block_sort_kernelINS1_36wrapped_radix_sort_block_sort_configINS0_13kernel_configILj256ELj4ELj4294967295EEEaN2at4cuda3cub6detail10OpaqueTypeILi8EEEEELb0EPKaPaPKSB_PSB_NS0_19identity_decomposerEEEvT1_T2_T3_T4_jT5_jj,comdat
	.protected	_ZN7rocprim17ROCPRIM_304000_NS6detail28radix_sort_block_sort_kernelINS1_36wrapped_radix_sort_block_sort_configINS0_13kernel_configILj256ELj4ELj4294967295EEEaN2at4cuda3cub6detail10OpaqueTypeILi8EEEEELb0EPKaPaPKSB_PSB_NS0_19identity_decomposerEEEvT1_T2_T3_T4_jT5_jj ; -- Begin function _ZN7rocprim17ROCPRIM_304000_NS6detail28radix_sort_block_sort_kernelINS1_36wrapped_radix_sort_block_sort_configINS0_13kernel_configILj256ELj4ELj4294967295EEEaN2at4cuda3cub6detail10OpaqueTypeILi8EEEEELb0EPKaPaPKSB_PSB_NS0_19identity_decomposerEEEvT1_T2_T3_T4_jT5_jj
	.globl	_ZN7rocprim17ROCPRIM_304000_NS6detail28radix_sort_block_sort_kernelINS1_36wrapped_radix_sort_block_sort_configINS0_13kernel_configILj256ELj4ELj4294967295EEEaN2at4cuda3cub6detail10OpaqueTypeILi8EEEEELb0EPKaPaPKSB_PSB_NS0_19identity_decomposerEEEvT1_T2_T3_T4_jT5_jj
	.p2align	8
	.type	_ZN7rocprim17ROCPRIM_304000_NS6detail28radix_sort_block_sort_kernelINS1_36wrapped_radix_sort_block_sort_configINS0_13kernel_configILj256ELj4ELj4294967295EEEaN2at4cuda3cub6detail10OpaqueTypeILi8EEEEELb0EPKaPaPKSB_PSB_NS0_19identity_decomposerEEEvT1_T2_T3_T4_jT5_jj,@function
_ZN7rocprim17ROCPRIM_304000_NS6detail28radix_sort_block_sort_kernelINS1_36wrapped_radix_sort_block_sort_configINS0_13kernel_configILj256ELj4ELj4294967295EEEaN2at4cuda3cub6detail10OpaqueTypeILi8EEEEELb0EPKaPaPKSB_PSB_NS0_19identity_decomposerEEEvT1_T2_T3_T4_jT5_jj: ; @_ZN7rocprim17ROCPRIM_304000_NS6detail28radix_sort_block_sort_kernelINS1_36wrapped_radix_sort_block_sort_configINS0_13kernel_configILj256ELj4ELj4294967295EEEaN2at4cuda3cub6detail10OpaqueTypeILi8EEEEELb0EPKaPaPKSB_PSB_NS0_19identity_decomposerEEEvT1_T2_T3_T4_jT5_jj
; %bb.0:
	s_load_dword s2, s[4:5], 0x20
	s_load_dwordx8 s[36:43], s[4:5], 0x0
	s_lshl_b32 s28, s6, 10
	v_mbcnt_lo_u32_b32 v3, -1, 0
	v_mbcnt_hi_u32_b32 v7, -1, v3
	s_waitcnt lgkmcnt(0)
	s_lshr_b32 s0, s2, 10
	s_cmp_lg_u32 s6, s0
	s_cselect_b64 s[30:31], -1, 0
	s_add_u32 s1, s36, s28
	s_addc_u32 s3, s37, 0
	v_lshlrev_b32_e32 v8, 2, v0
	v_mov_b32_e32 v3, s3
	v_add_co_u32_e32 v4, vcc, s1, v7
	v_and_b32_e32 v16, 0x300, v8
	v_addc_co_u32_e32 v3, vcc, 0, v3, vcc
	v_add_co_u32_e32 v5, vcc, v4, v16
	s_mov_b32 s29, 0
	s_cmp_eq_u32 s6, s0
	v_addc_co_u32_e32 v6, vcc, 0, v3, vcc
	v_lshlrev_b32_e32 v15, 3, v7
	v_lshlrev_b32_e32 v14, 3, v16
	v_add_u32_e32 v13, v7, v16
	s_cbranch_scc1 .LBB40_2
; %bb.1:
	s_lshl_b64 s[0:1], s[28:29], 3
	s_add_u32 s0, s40, s0
	s_addc_u32 s1, s41, s1
	v_mov_b32_e32 v3, s1
	v_add_co_u32_e32 v4, vcc, s0, v15
	v_addc_co_u32_e32 v3, vcc, 0, v3, vcc
	v_add_co_u32_e32 v24, vcc, v4, v14
	v_addc_co_u32_e32 v25, vcc, 0, v3, vcc
	global_load_ubyte v9, v[5:6], off offset:192
	global_load_ubyte v11, v[5:6], off offset:128
	;; [unrolled: 1-line block ×3, first 2 shown]
	global_load_ubyte v12, v[5:6], off
	global_load_dwordx2 v[3:4], v[24:25], off
	global_load_dwordx2 v[18:19], v[24:25], off offset:512
	global_load_dwordx2 v[20:21], v[24:25], off offset:1024
	;; [unrolled: 1-line block ×3, first 2 shown]
	v_add_u32_e32 v28, v7, v16
	v_add_u32_e32 v25, 64, v28
	;; [unrolled: 1-line block ×4, first 2 shown]
	s_sub_i32 s33, s2, s28
	s_cbranch_execz .LBB40_3
	s_branch .LBB40_17
.LBB40_2:
                                        ; implicit-def: $vgpr12
                                        ; implicit-def: $vgpr10
                                        ; implicit-def: $vgpr11
                                        ; implicit-def: $vgpr9
                                        ; implicit-def: $vgpr3_vgpr4
                                        ; implicit-def: $vgpr18_vgpr19
                                        ; implicit-def: $vgpr20_vgpr21
                                        ; implicit-def: $vgpr22_vgpr23
                                        ; implicit-def: $vgpr28
                                        ; implicit-def: $vgpr25
                                        ; implicit-def: $vgpr26
                                        ; implicit-def: $vgpr27
	s_sub_i32 s33, s2, s28
.LBB40_3:
	v_cmp_gt_u32_e32 vcc, s33, v13
	s_waitcnt vmcnt(7)
	v_mov_b32_e32 v9, 0x7f
	s_waitcnt vmcnt(4)
	v_mov_b32_e32 v12, 0x7f
	v_mov_b32_e32 v10, 0x7f
	;; [unrolled: 1-line block ×3, first 2 shown]
	s_and_saveexec_b64 s[0:1], vcc
	s_cbranch_execz .LBB40_5
; %bb.4:
	global_load_ubyte v12, v[5:6], off
	v_mov_b32_e32 v9, 0x7f
	v_mov_b32_e32 v10, 0x7f
	;; [unrolled: 1-line block ×3, first 2 shown]
.LBB40_5:
	s_or_b64 exec, exec, s[0:1]
	v_add_u32_e32 v25, 64, v13
	v_cmp_gt_u32_e64 s[0:1], s33, v25
	s_and_saveexec_b64 s[2:3], s[0:1]
	s_cbranch_execz .LBB40_7
; %bb.6:
	global_load_ubyte v10, v[5:6], off offset:64
.LBB40_7:
	s_or_b64 exec, exec, s[2:3]
	v_add_u32_e32 v26, 0x80, v13
	v_cmp_gt_u32_e64 s[2:3], s33, v26
	s_and_saveexec_b64 s[6:7], s[2:3]
	s_cbranch_execz .LBB40_9
; %bb.8:
	global_load_ubyte v11, v[5:6], off offset:128
.LBB40_9:
	;; [unrolled: 8-line block ×3, first 2 shown]
	s_or_b64 exec, exec, s[8:9]
	s_lshl_b64 s[8:9], s[28:29], 3
	s_add_u32 s8, s40, s8
	s_addc_u32 s9, s41, s9
	s_waitcnt vmcnt(3)
	v_mov_b32_e32 v3, s9
	v_add_co_u32_e64 v4, s[8:9], s8, v15
	v_addc_co_u32_e64 v3, s[8:9], 0, v3, s[8:9]
	v_add_co_u32_e64 v5, s[8:9], v4, v14
	v_addc_co_u32_e64 v6, s[8:9], 0, v3, s[8:9]
                                        ; implicit-def: $vgpr3_vgpr4
	s_and_saveexec_b64 s[8:9], vcc
	s_cbranch_execnz .LBB40_54
; %bb.12:
	s_or_b64 exec, exec, s[8:9]
                                        ; implicit-def: $vgpr18_vgpr19
	s_and_saveexec_b64 s[8:9], s[0:1]
	s_cbranch_execnz .LBB40_55
.LBB40_13:
	s_or_b64 exec, exec, s[8:9]
                                        ; implicit-def: $vgpr20_vgpr21
	s_and_saveexec_b64 s[0:1], s[2:3]
	s_cbranch_execnz .LBB40_56
.LBB40_14:
	s_or_b64 exec, exec, s[0:1]
                                        ; implicit-def: $vgpr22_vgpr23
	s_and_saveexec_b64 s[0:1], s[6:7]
	s_cbranch_execz .LBB40_16
.LBB40_15:
	global_load_dwordx2 v[22:23], v[5:6], off offset:1536
.LBB40_16:
	s_or_b64 exec, exec, s[0:1]
	v_mov_b32_e32 v28, v13
.LBB40_17:
	s_load_dwordx2 s[34:35], s[4:5], 0x28
	s_load_dword s1, s[4:5], 0x3c
	s_movk_i32 s0, 0x80
	s_waitcnt vmcnt(0)
	v_xor_b32_sdwa v6, v10, s0 dst_sel:BYTE_1 dst_unused:UNUSED_PAD src0_sel:DWORD src1_sel:DWORD
	v_xor_b32_sdwa v9, v9, s0 dst_sel:BYTE_1 dst_unused:UNUSED_PAD src0_sel:DWORD src1_sel:DWORD
	v_xor_b32_e32 v5, 0x80, v12
	s_waitcnt lgkmcnt(0)
	s_lshr_b32 s0, s1, 16
	s_and_b32 s1, s1, 0xffff
	v_mad_u32_u24 v1, v2, s0, v1
	v_mad_u64_u32 v[1:2], s[0:1], v1, s1, v[0:1]
	v_or_b32_sdwa v5, v5, v6 dst_sel:DWORD dst_unused:UNUSED_PAD src0_sel:BYTE_0 src1_sel:DWORD
	v_xor_b32_e32 v6, 0x80, v11
	v_lshrrev_b32_e32 v1, 4, v1
	v_and_b32_e32 v30, 0xffffffc, v1
	v_and_b32_e32 v1, 15, v7
	v_cmp_eq_u32_e64 s[0:1], 0, v1
	v_cmp_lt_u32_e64 s[2:3], 1, v1
	v_cmp_lt_u32_e64 s[4:5], 3, v1
	;; [unrolled: 1-line block ×3, first 2 shown]
	v_and_b32_e32 v1, 16, v7
	v_or_b32_sdwa v2, v6, v9 dst_sel:WORD_1 dst_unused:UNUSED_PAD src0_sel:BYTE_0 src1_sel:DWORD
	v_cmp_eq_u32_e64 s[8:9], 0, v1
	v_or_b32_e32 v1, 63, v0
	v_or_b32_sdwa v31, v5, v2 dst_sel:DWORD dst_unused:UNUSED_PAD src0_sel:WORD_0 src1_sel:DWORD
	v_cmp_eq_u32_e64 s[12:13], v0, v1
	v_subrev_co_u32_e64 v1, s[18:19], 1, v7
	v_and_b32_e32 v2, 64, v7
	v_cmp_lt_i32_e32 vcc, v1, v2
	v_and_b32_e32 v2, 3, v7
	v_cmp_lt_u32_e64 s[10:11], 31, v7
	v_cndmask_b32_e32 v1, v1, v7, vcc
	v_cmp_eq_u32_e64 s[22:23], 0, v2
	v_cmp_lt_u32_e64 s[24:25], 1, v2
	v_mul_lo_u32 v2, v28, 7
	v_mul_lo_u32 v5, v25, 7
	;; [unrolled: 1-line block ×4, first 2 shown]
	s_mov_b32 s26, 0
	v_lshlrev_b32_e32 v32, 2, v1
	v_lshrrev_b32_e32 v1, 4, v0
	s_mov_b32 s40, s26
	v_lshlrev_b32_e32 v29, 2, v8
	v_and_b32_e32 v33, 12, v1
	v_mul_i32_i24_e32 v1, -12, v0
	s_mov_b32 s27, s26
	s_mov_b32 s41, s26
	v_mov_b32_e32 v13, s26
	v_mov_b32_e32 v15, s40
	s_add_i32 s36, s35, s34
	v_cmp_gt_u32_e64 s[14:15], 4, v0
	v_cmp_lt_u32_e64 s[16:17], 63, v0
	v_cmp_eq_u32_e64 s[20:21], 0, v0
	v_mov_b32_e32 v14, s27
	v_mov_b32_e32 v16, s41
	;; [unrolled: 1-line block ×3, first 2 shown]
	v_add_u32_e32 v34, v29, v1
	s_mov_b32 s37, 0xc0c0004
	v_add_u32_e32 v35, v28, v2
	v_add_u32_e32 v36, v25, v5
	;; [unrolled: 1-line block ×4, first 2 shown]
	s_branch .LBB40_19
.LBB40_18:                              ;   in Loop: Header=BB40_19 Depth=1
	s_andn2_b64 vcc, exec, s[26:27]
	s_mov_b32 s35, s40
	s_cbranch_vccz .LBB40_35
.LBB40_19:                              ; =>This Inner Loop Header: Depth=1
	s_min_u32 s26, s35, 8
	s_lshl_b32 s26, -1, s26
	s_not_b32 s40, s26
	v_lshrrev_b32_sdwa v1, s34, v31 dst_sel:DWORD dst_unused:UNUSED_PAD src0_sel:DWORD src1_sel:BYTE_0
	v_and_b32_e32 v1, s40, v1
	v_mov_b32_e32 v12, v4
	v_and_b32_e32 v2, 1, v1
	v_mov_b32_e32 v11, v3
	v_mov_b32_e32 v9, v18
	v_add_co_u32_e32 v4, vcc, -1, v2
	v_mov_b32_e32 v10, v19
	v_addc_co_u32_e64 v18, s[26:27], 0, -1, vcc
	v_cmp_ne_u32_e32 vcc, 0, v2
	v_xor_b32_e32 v2, vcc_hi, v18
	v_lshlrev_b32_e32 v18, 30, v1
	v_xor_b32_e32 v4, vcc_lo, v4
	v_cmp_gt_i64_e32 vcc, 0, v[17:18]
	v_not_b32_e32 v18, v18
	v_ashrrev_i32_e32 v18, 31, v18
	v_and_b32_e32 v4, exec_lo, v4
	v_xor_b32_e32 v19, vcc_hi, v18
	v_xor_b32_e32 v18, vcc_lo, v18
	v_and_b32_e32 v4, v4, v18
	v_lshlrev_b32_e32 v18, 29, v1
	v_cmp_gt_i64_e32 vcc, 0, v[17:18]
	v_not_b32_e32 v18, v18
	v_and_b32_e32 v2, exec_hi, v2
	v_ashrrev_i32_e32 v18, 31, v18
	v_and_b32_e32 v2, v2, v19
	v_xor_b32_e32 v19, vcc_hi, v18
	v_xor_b32_e32 v18, vcc_lo, v18
	v_and_b32_e32 v4, v4, v18
	v_lshlrev_b32_e32 v18, 28, v1
	v_cmp_gt_i64_e32 vcc, 0, v[17:18]
	v_not_b32_e32 v18, v18
	v_ashrrev_i32_e32 v18, 31, v18
	v_and_b32_e32 v2, v2, v19
	v_xor_b32_e32 v19, vcc_hi, v18
	v_xor_b32_e32 v18, vcc_lo, v18
	v_and_b32_e32 v4, v4, v18
	v_lshlrev_b32_e32 v18, 27, v1
	v_cmp_gt_i64_e32 vcc, 0, v[17:18]
	v_not_b32_e32 v18, v18
	;; [unrolled: 8-line block ×4, first 2 shown]
	v_ashrrev_i32_e32 v18, 31, v18
	v_and_b32_e32 v2, v2, v19
	v_xor_b32_e32 v19, vcc_hi, v18
	v_xor_b32_e32 v18, vcc_lo, v18
	v_and_b32_e32 v4, v4, v18
	v_lshlrev_b32_e32 v18, 24, v1
	v_lshlrev_b32_e32 v3, 4, v1
	v_cmp_gt_i64_e32 vcc, 0, v[17:18]
	v_not_b32_e32 v1, v18
	v_ashrrev_i32_e32 v1, 31, v1
	v_xor_b32_e32 v18, vcc_hi, v1
	v_xor_b32_e32 v1, vcc_lo, v1
	v_and_b32_e32 v2, v2, v19
	v_and_b32_e32 v1, v4, v1
	;; [unrolled: 1-line block ×3, first 2 shown]
	v_mbcnt_lo_u32_b32 v4, v1, 0
	v_mbcnt_hi_u32_b32 v19, v2, v4
	v_cmp_ne_u64_e32 vcc, 0, v[1:2]
	v_mov_b32_e32 v7, v20
	v_mov_b32_e32 v5, v22
	v_cmp_eq_u32_e64 s[26:27], 0, v19
	v_mov_b32_e32 v8, v21
	v_mov_b32_e32 v6, v23
	s_and_b64 s[44:45], vcc, s[26:27]
	v_add_u32_e32 v20, v30, v3
	ds_write2_b64 v29, v[13:14], v[15:16] offset0:2 offset1:3
	s_waitcnt lgkmcnt(0)
	s_barrier
	; wave barrier
	s_and_saveexec_b64 s[26:27], s[44:45]
; %bb.20:                               ;   in Loop: Header=BB40_19 Depth=1
	v_bcnt_u32_b32 v1, v1, 0
	v_bcnt_u32_b32 v1, v2, v1
	ds_write_b32 v20, v1 offset:16
; %bb.21:                               ;   in Loop: Header=BB40_19 Depth=1
	s_or_b64 exec, exec, s[26:27]
	v_lshrrev_b32_sdwa v1, s34, v31 dst_sel:DWORD dst_unused:UNUSED_PAD src0_sel:DWORD src1_sel:BYTE_1
	v_and_b32_e32 v1, s40, v1
	v_lshlrev_b32_e32 v2, 4, v1
	v_add_u32_e32 v22, v30, v2
	v_and_b32_e32 v2, 1, v1
	v_add_co_u32_e32 v3, vcc, -1, v2
	v_addc_co_u32_e64 v4, s[26:27], 0, -1, vcc
	v_cmp_ne_u32_e32 vcc, 0, v2
	v_lshlrev_b32_e32 v18, 30, v1
	v_xor_b32_e32 v2, vcc_hi, v4
	v_xor_b32_e32 v3, vcc_lo, v3
	v_cmp_gt_i64_e32 vcc, 0, v[17:18]
	v_not_b32_e32 v4, v18
	v_ashrrev_i32_e32 v4, 31, v4
	v_and_b32_e32 v2, exec_hi, v2
	v_xor_b32_e32 v18, vcc_hi, v4
	v_and_b32_e32 v3, exec_lo, v3
	v_xor_b32_e32 v4, vcc_lo, v4
	v_and_b32_e32 v2, v2, v18
	v_lshlrev_b32_e32 v18, 29, v1
	v_and_b32_e32 v3, v3, v4
	v_cmp_gt_i64_e32 vcc, 0, v[17:18]
	v_not_b32_e32 v4, v18
	v_ashrrev_i32_e32 v4, 31, v4
	v_xor_b32_e32 v18, vcc_hi, v4
	v_xor_b32_e32 v4, vcc_lo, v4
	v_and_b32_e32 v2, v2, v18
	v_lshlrev_b32_e32 v18, 28, v1
	v_and_b32_e32 v3, v3, v4
	v_cmp_gt_i64_e32 vcc, 0, v[17:18]
	v_not_b32_e32 v4, v18
	v_ashrrev_i32_e32 v4, 31, v4
	v_xor_b32_e32 v18, vcc_hi, v4
	;; [unrolled: 8-line block ×5, first 2 shown]
	v_and_b32_e32 v2, v2, v18
	v_lshlrev_b32_e32 v18, 24, v1
	v_xor_b32_e32 v4, vcc_lo, v4
	v_cmp_gt_i64_e32 vcc, 0, v[17:18]
	v_not_b32_e32 v1, v18
	v_ashrrev_i32_e32 v1, 31, v1
	v_and_b32_e32 v3, v3, v4
	v_xor_b32_e32 v4, vcc_hi, v1
	v_xor_b32_e32 v1, vcc_lo, v1
	; wave barrier
	ds_read_b32 v21, v22 offset:16
	v_and_b32_e32 v1, v3, v1
	v_and_b32_e32 v2, v2, v4
	v_mbcnt_lo_u32_b32 v3, v1, 0
	v_mbcnt_hi_u32_b32 v23, v2, v3
	v_cmp_ne_u64_e32 vcc, 0, v[1:2]
	v_cmp_eq_u32_e64 s[26:27], 0, v23
	s_and_b64 s[44:45], vcc, s[26:27]
	; wave barrier
	s_and_saveexec_b64 s[26:27], s[44:45]
	s_cbranch_execz .LBB40_23
; %bb.22:                               ;   in Loop: Header=BB40_19 Depth=1
	v_bcnt_u32_b32 v1, v1, 0
	v_bcnt_u32_b32 v1, v2, v1
	s_waitcnt lgkmcnt(0)
	v_add_u32_e32 v1, v21, v1
	ds_write_b32 v22, v1 offset:16
.LBB40_23:                              ;   in Loop: Header=BB40_19 Depth=1
	s_or_b64 exec, exec, s[26:27]
	v_lshrrev_b32_sdwa v1, s34, v31 dst_sel:DWORD dst_unused:UNUSED_PAD src0_sel:DWORD src1_sel:BYTE_2
	v_and_b32_e32 v1, s40, v1
	v_lshlrev_b32_e32 v2, 4, v1
	v_add_u32_e32 v24, v30, v2
	v_and_b32_e32 v2, 1, v1
	v_add_co_u32_e32 v3, vcc, -1, v2
	v_addc_co_u32_e64 v4, s[26:27], 0, -1, vcc
	v_cmp_ne_u32_e32 vcc, 0, v2
	v_lshlrev_b32_e32 v18, 30, v1
	v_xor_b32_e32 v2, vcc_hi, v4
	v_xor_b32_e32 v3, vcc_lo, v3
	v_cmp_gt_i64_e32 vcc, 0, v[17:18]
	v_not_b32_e32 v4, v18
	v_ashrrev_i32_e32 v4, 31, v4
	v_and_b32_e32 v2, exec_hi, v2
	v_xor_b32_e32 v18, vcc_hi, v4
	v_and_b32_e32 v3, exec_lo, v3
	v_xor_b32_e32 v4, vcc_lo, v4
	v_and_b32_e32 v2, v2, v18
	v_lshlrev_b32_e32 v18, 29, v1
	v_and_b32_e32 v3, v3, v4
	v_cmp_gt_i64_e32 vcc, 0, v[17:18]
	v_not_b32_e32 v4, v18
	v_ashrrev_i32_e32 v4, 31, v4
	v_xor_b32_e32 v18, vcc_hi, v4
	v_xor_b32_e32 v4, vcc_lo, v4
	v_and_b32_e32 v2, v2, v18
	v_lshlrev_b32_e32 v18, 28, v1
	v_and_b32_e32 v3, v3, v4
	v_cmp_gt_i64_e32 vcc, 0, v[17:18]
	v_not_b32_e32 v4, v18
	v_ashrrev_i32_e32 v4, 31, v4
	v_xor_b32_e32 v18, vcc_hi, v4
	;; [unrolled: 8-line block ×5, first 2 shown]
	v_and_b32_e32 v2, v2, v18
	v_lshlrev_b32_e32 v18, 24, v1
	v_xor_b32_e32 v4, vcc_lo, v4
	v_cmp_gt_i64_e32 vcc, 0, v[17:18]
	v_not_b32_e32 v1, v18
	v_ashrrev_i32_e32 v1, 31, v1
	v_and_b32_e32 v3, v3, v4
	v_xor_b32_e32 v4, vcc_hi, v1
	v_xor_b32_e32 v1, vcc_lo, v1
	; wave barrier
	ds_read_b32 v39, v24 offset:16
	v_and_b32_e32 v1, v3, v1
	v_and_b32_e32 v2, v2, v4
	v_mbcnt_lo_u32_b32 v3, v1, 0
	v_mbcnt_hi_u32_b32 v41, v2, v3
	v_cmp_ne_u64_e32 vcc, 0, v[1:2]
	v_cmp_eq_u32_e64 s[26:27], 0, v41
	s_and_b64 s[44:45], vcc, s[26:27]
	; wave barrier
	s_and_saveexec_b64 s[26:27], s[44:45]
	s_cbranch_execz .LBB40_25
; %bb.24:                               ;   in Loop: Header=BB40_19 Depth=1
	v_bcnt_u32_b32 v1, v1, 0
	v_bcnt_u32_b32 v1, v2, v1
	s_waitcnt lgkmcnt(0)
	v_add_u32_e32 v1, v39, v1
	ds_write_b32 v24, v1 offset:16
.LBB40_25:                              ;   in Loop: Header=BB40_19 Depth=1
	s_or_b64 exec, exec, s[26:27]
	v_lshrrev_b32_e32 v40, 24, v31
	v_lshrrev_b32_e32 v1, s34, v40
	v_and_b32_e32 v1, s40, v1
	v_lshlrev_b32_e32 v2, 4, v1
	v_add_u32_e32 v43, v30, v2
	v_and_b32_e32 v2, 1, v1
	v_add_co_u32_e32 v3, vcc, -1, v2
	v_addc_co_u32_e64 v4, s[26:27], 0, -1, vcc
	v_cmp_ne_u32_e32 vcc, 0, v2
	v_lshlrev_b32_e32 v18, 30, v1
	v_xor_b32_e32 v2, vcc_hi, v4
	v_xor_b32_e32 v3, vcc_lo, v3
	v_cmp_gt_i64_e32 vcc, 0, v[17:18]
	v_not_b32_e32 v4, v18
	v_ashrrev_i32_e32 v4, 31, v4
	v_and_b32_e32 v2, exec_hi, v2
	v_xor_b32_e32 v18, vcc_hi, v4
	v_and_b32_e32 v3, exec_lo, v3
	v_xor_b32_e32 v4, vcc_lo, v4
	v_and_b32_e32 v2, v2, v18
	v_lshlrev_b32_e32 v18, 29, v1
	v_and_b32_e32 v3, v3, v4
	v_cmp_gt_i64_e32 vcc, 0, v[17:18]
	v_not_b32_e32 v4, v18
	v_ashrrev_i32_e32 v4, 31, v4
	v_xor_b32_e32 v18, vcc_hi, v4
	v_xor_b32_e32 v4, vcc_lo, v4
	v_and_b32_e32 v2, v2, v18
	v_lshlrev_b32_e32 v18, 28, v1
	v_and_b32_e32 v3, v3, v4
	v_cmp_gt_i64_e32 vcc, 0, v[17:18]
	v_not_b32_e32 v4, v18
	v_ashrrev_i32_e32 v4, 31, v4
	v_xor_b32_e32 v18, vcc_hi, v4
	;; [unrolled: 8-line block ×5, first 2 shown]
	v_and_b32_e32 v2, v2, v18
	v_lshlrev_b32_e32 v18, 24, v1
	v_xor_b32_e32 v4, vcc_lo, v4
	v_cmp_gt_i64_e32 vcc, 0, v[17:18]
	v_not_b32_e32 v1, v18
	v_ashrrev_i32_e32 v1, 31, v1
	v_and_b32_e32 v3, v3, v4
	v_xor_b32_e32 v4, vcc_hi, v1
	v_xor_b32_e32 v1, vcc_lo, v1
	; wave barrier
	ds_read_b32 v42, v43 offset:16
	v_and_b32_e32 v1, v3, v1
	v_and_b32_e32 v2, v2, v4
	v_mbcnt_lo_u32_b32 v3, v1, 0
	v_mbcnt_hi_u32_b32 v18, v2, v3
	v_cmp_ne_u64_e32 vcc, 0, v[1:2]
	v_cmp_eq_u32_e64 s[26:27], 0, v18
	s_and_b64 s[40:41], vcc, s[26:27]
	; wave barrier
	s_and_saveexec_b64 s[26:27], s[40:41]
	s_cbranch_execz .LBB40_27
; %bb.26:                               ;   in Loop: Header=BB40_19 Depth=1
	v_bcnt_u32_b32 v1, v1, 0
	v_bcnt_u32_b32 v1, v2, v1
	s_waitcnt lgkmcnt(0)
	v_add_u32_e32 v1, v42, v1
	ds_write_b32 v43, v1 offset:16
.LBB40_27:                              ;   in Loop: Header=BB40_19 Depth=1
	s_or_b64 exec, exec, s[26:27]
	; wave barrier
	s_waitcnt lgkmcnt(0)
	s_barrier
	ds_read2_b64 v[1:4], v29 offset0:2 offset1:3
	s_waitcnt lgkmcnt(0)
	v_add_u32_e32 v44, v2, v1
	v_add3_u32 v4, v44, v3, v4
	s_nop 1
	v_mov_b32_dpp v44, v4 row_shr:1 row_mask:0xf bank_mask:0xf
	v_cndmask_b32_e64 v44, v44, 0, s[0:1]
	v_add_u32_e32 v4, v44, v4
	s_nop 1
	v_mov_b32_dpp v44, v4 row_shr:2 row_mask:0xf bank_mask:0xf
	v_cndmask_b32_e64 v44, 0, v44, s[2:3]
	v_add_u32_e32 v4, v4, v44
	;; [unrolled: 4-line block ×4, first 2 shown]
	s_nop 1
	v_mov_b32_dpp v44, v4 row_bcast:15 row_mask:0xf bank_mask:0xf
	v_cndmask_b32_e64 v44, v44, 0, s[8:9]
	v_add_u32_e32 v4, v4, v44
	s_nop 1
	v_mov_b32_dpp v44, v4 row_bcast:31 row_mask:0xf bank_mask:0xf
	v_cndmask_b32_e64 v44, 0, v44, s[10:11]
	v_add_u32_e32 v4, v4, v44
	s_and_saveexec_b64 s[26:27], s[12:13]
; %bb.28:                               ;   in Loop: Header=BB40_19 Depth=1
	ds_write_b32 v33, v4
; %bb.29:                               ;   in Loop: Header=BB40_19 Depth=1
	s_or_b64 exec, exec, s[26:27]
	s_waitcnt lgkmcnt(0)
	s_barrier
	s_and_saveexec_b64 s[26:27], s[14:15]
	s_cbranch_execz .LBB40_31
; %bb.30:                               ;   in Loop: Header=BB40_19 Depth=1
	ds_read_b32 v44, v34
	s_waitcnt lgkmcnt(0)
	s_nop 0
	v_mov_b32_dpp v45, v44 row_shr:1 row_mask:0xf bank_mask:0xf
	v_cndmask_b32_e64 v45, v45, 0, s[22:23]
	v_add_u32_e32 v44, v45, v44
	s_nop 1
	v_mov_b32_dpp v45, v44 row_shr:2 row_mask:0xf bank_mask:0xf
	v_cndmask_b32_e64 v45, 0, v45, s[24:25]
	v_add_u32_e32 v44, v44, v45
	ds_write_b32 v34, v44
.LBB40_31:                              ;   in Loop: Header=BB40_19 Depth=1
	s_or_b64 exec, exec, s[26:27]
	v_mov_b32_e32 v46, 0
	s_waitcnt lgkmcnt(0)
	s_barrier
	s_and_saveexec_b64 s[26:27], s[16:17]
; %bb.32:                               ;   in Loop: Header=BB40_19 Depth=1
	v_add_u32_e32 v44, -4, v33
	ds_read_b32 v46, v44
; %bb.33:                               ;   in Loop: Header=BB40_19 Depth=1
	s_or_b64 exec, exec, s[26:27]
	s_waitcnt lgkmcnt(0)
	v_add_u32_e32 v4, v46, v4
	ds_bpermute_b32 v4, v32, v4
	s_add_i32 s34, s34, 8
	v_mov_b32_e32 v44, v31
	v_lshrrev_b32_e32 v45, 8, v31
	s_cmp_ge_u32 s34, s36
	s_waitcnt lgkmcnt(0)
	v_cndmask_b32_e64 v4, v4, v46, s[18:19]
	v_cndmask_b32_e64 v46, v4, 0, s[20:21]
	v_add_u32_e32 v47, v46, v1
	v_add_u32_e32 v1, v47, v2
	;; [unrolled: 1-line block ×3, first 2 shown]
	ds_write2_b64 v29, v[46:47], v[1:2] offset0:2 offset1:3
	s_waitcnt lgkmcnt(0)
	s_barrier
	ds_read_b32 v1, v20 offset:16
	ds_read_b32 v2, v22 offset:16
	;; [unrolled: 1-line block ×4, first 2 shown]
	v_lshrrev_b32_e32 v46, 16, v31
	s_waitcnt lgkmcnt(3)
	v_add_u32_e32 v43, v1, v19
	s_waitcnt lgkmcnt(2)
	v_add3_u32 v24, v23, v21, v2
	s_waitcnt lgkmcnt(1)
	v_add3_u32 v2, v41, v39, v3
	v_mul_lo_u32 v39, v43, 7
	s_waitcnt lgkmcnt(0)
	v_add3_u32 v1, v18, v42, v4
	s_mov_b64 s[26:27], -1
	v_readfirstlane_b32 s40, v0
                                        ; implicit-def: $vgpr3_vgpr4
                                        ; implicit-def: $vgpr18_vgpr19
                                        ; implicit-def: $vgpr20_vgpr21
                                        ; implicit-def: $vgpr22_vgpr23
	s_cbranch_scc1 .LBB40_18
; %bb.34:                               ;   in Loop: Header=BB40_19 Depth=1
	s_barrier
	ds_write_b8 v43, v31
	ds_write_b8 v24, v45
	;; [unrolled: 1-line block ×4, first 2 shown]
	s_waitcnt lgkmcnt(0)
	s_barrier
	ds_read_u8 v3, v25
	ds_read_u8 v4, v26
	;; [unrolled: 1-line block ×4, first 2 shown]
	v_add_u32_e32 v21, v43, v39
	s_waitcnt lgkmcnt(0)
	s_barrier
	v_perm_b32 v3, v18, v3, s37
	v_perm_b32 v4, v4, v19, s37
	v_lshl_or_b32 v31, v4, 16, v3
	v_mad_u64_u32 v[3:4], s[26:27], v24, 7, v[24:25]
	s_add_i32 s40, s35, -8
	v_mad_u64_u32 v[18:19], s[26:27], v2, 7, v[2:3]
	v_mad_u64_u32 v[19:20], s[26:27], v1, 7, v[1:2]
	ds_write_b64 v21, v[11:12]
	ds_write_b64 v3, v[9:10]
	;; [unrolled: 1-line block ×4, first 2 shown]
	s_waitcnt lgkmcnt(0)
	s_barrier
	ds_read_b64 v[3:4], v35
	ds_read_b64 v[18:19], v36
	ds_read_b64 v[20:21], v37
	ds_read_b64 v[22:23], v38
	s_mov_b64 s[26:27], 0
	s_waitcnt lgkmcnt(0)
	s_barrier
	s_branch .LBB40_18
.LBB40_35:
	v_mad_u64_u32 v[3:4], s[0:1], v24, 7, v[24:25]
	s_barrier
	v_mad_u64_u32 v[13:14], s[0:1], v2, 7, v[2:3]
	ds_write_b8 v43, v44
	ds_write_b8 v24, v45
	;; [unrolled: 1-line block ×4, first 2 shown]
	v_add_u32_e32 v19, v43, v39
	v_mad_u64_u32 v[1:2], s[0:1], v1, 7, v[1:2]
	s_waitcnt lgkmcnt(0)
	s_barrier
	ds_read_u8 v15, v0
	ds_read_u8 v16, v0 offset:256
	ds_read_u8 v17, v0 offset:512
	;; [unrolled: 1-line block ×3, first 2 shown]
	s_waitcnt lgkmcnt(0)
	s_barrier
	ds_write_b64 v19, v[11:12]
	ds_write_b64 v3, v[9:10]
	;; [unrolled: 1-line block ×4, first 2 shown]
	v_mad_u32_u24 v1, v0, 7, v0
	s_waitcnt lgkmcnt(0)
	s_barrier
	ds_read2st64_b64 v[5:8], v1 offset1:4
	ds_read2st64_b64 v[1:4], v1 offset0:8 offset1:12
	s_add_u32 s0, s38, s28
	s_addc_u32 s1, s39, 0
	v_mov_b32_e32 v10, s1
	v_add_co_u32_e32 v9, vcc, s0, v0
	v_addc_co_u32_e32 v10, vcc, 0, v10, vcc
	v_xor_b32_e32 v15, 0xffffff80, v15
	v_xor_b32_e32 v14, 0xffffff80, v16
	;; [unrolled: 1-line block ×4, first 2 shown]
	s_andn2_b64 vcc, exec, s[30:31]
	v_lshlrev_b32_e32 v11, 3, v0
	s_cbranch_vccnz .LBB40_37
; %bb.36:
	s_lshl_b64 s[0:1], s[28:29], 3
	s_add_u32 s0, s42, s0
	s_addc_u32 s1, s43, s1
	v_mov_b32_e32 v16, s1
	v_add_co_u32_e32 v17, vcc, s0, v11
	v_addc_co_u32_e32 v18, vcc, 0, v16, vcc
	v_add_co_u32_e32 v16, vcc, 0x1000, v17
	global_store_byte v[9:10], v15, off
	global_store_byte v[9:10], v14, off offset:256
	global_store_byte v[9:10], v13, off offset:512
	global_store_byte v[9:10], v12, off offset:768
	s_waitcnt lgkmcnt(1)
	global_store_dwordx2 v11, v[5:6], s[0:1]
	global_store_dwordx2 v11, v[7:8], s[0:1] offset:2048
	v_addc_co_u32_e32 v17, vcc, 0, v18, vcc
	s_mov_b64 s[6:7], -1
	s_waitcnt lgkmcnt(0)
	global_store_dwordx2 v[16:17], v[1:2], off
	s_cbranch_execz .LBB40_38
	s_branch .LBB40_51
.LBB40_37:
	s_mov_b64 s[6:7], 0
.LBB40_38:
	v_cmp_gt_u32_e32 vcc, s33, v0
	s_and_saveexec_b64 s[0:1], vcc
	s_cbranch_execz .LBB40_40
; %bb.39:
	global_store_byte v[9:10], v15, off
.LBB40_40:
	s_or_b64 exec, exec, s[0:1]
	v_or_b32_e32 v15, 0x100, v0
	v_cmp_gt_u32_e64 s[0:1], s33, v15
	s_and_saveexec_b64 s[2:3], s[0:1]
	s_cbranch_execz .LBB40_42
; %bb.41:
	global_store_byte v[9:10], v14, off offset:256
.LBB40_42:
	s_or_b64 exec, exec, s[2:3]
	v_or_b32_e32 v14, 0x200, v0
	v_cmp_gt_u32_e64 s[2:3], s33, v14
	s_and_saveexec_b64 s[4:5], s[2:3]
	s_cbranch_execz .LBB40_44
; %bb.43:
	global_store_byte v[9:10], v13, off offset:512
.LBB40_44:
	;; [unrolled: 8-line block ×3, first 2 shown]
	s_or_b64 exec, exec, s[4:5]
	s_lshl_b64 s[4:5], s[28:29], 3
	s_add_u32 s4, s42, s4
	s_addc_u32 s5, s43, s5
	v_mov_b32_e32 v0, s5
	v_add_co_u32_e64 v9, s[4:5], s4, v11
	v_addc_co_u32_e64 v10, s[4:5], 0, v0, s[4:5]
	s_and_saveexec_b64 s[4:5], vcc
	s_cbranch_execnz .LBB40_57
; %bb.47:
	s_or_b64 exec, exec, s[4:5]
	s_and_saveexec_b64 s[4:5], s[0:1]
	s_cbranch_execnz .LBB40_58
.LBB40_48:
	s_or_b64 exec, exec, s[4:5]
	s_and_saveexec_b64 s[0:1], s[2:3]
	s_cbranch_execz .LBB40_50
.LBB40_49:
	s_waitcnt lgkmcnt(1)
	v_add_co_u32_e32 v5, vcc, 0x1000, v9
	v_addc_co_u32_e32 v6, vcc, 0, v10, vcc
	s_waitcnt lgkmcnt(0)
	global_store_dwordx2 v[5:6], v[1:2], off
.LBB40_50:
	s_or_b64 exec, exec, s[0:1]
.LBB40_51:
	s_and_saveexec_b64 s[0:1], s[6:7]
	s_cbranch_execnz .LBB40_53
; %bb.52:
	s_endpgm
.LBB40_53:
	s_lshl_b64 s[0:1], s[28:29], 3
	s_add_u32 s0, s42, s0
	s_addc_u32 s1, s43, s1
	v_mov_b32_e32 v0, s1
	s_waitcnt lgkmcnt(0)
	v_add_co_u32_e32 v1, vcc, s0, v11
	v_addc_co_u32_e32 v2, vcc, 0, v0, vcc
	v_add_co_u32_e32 v0, vcc, 0x1000, v1
	v_addc_co_u32_e32 v1, vcc, 0, v2, vcc
	global_store_dwordx2 v[0:1], v[3:4], off offset:2048
	s_endpgm
.LBB40_54:
	global_load_dwordx2 v[3:4], v[5:6], off
	s_or_b64 exec, exec, s[8:9]
                                        ; implicit-def: $vgpr18_vgpr19
	s_and_saveexec_b64 s[8:9], s[0:1]
	s_cbranch_execz .LBB40_13
.LBB40_55:
	global_load_dwordx2 v[18:19], v[5:6], off offset:512
	s_or_b64 exec, exec, s[8:9]
                                        ; implicit-def: $vgpr20_vgpr21
	s_and_saveexec_b64 s[0:1], s[2:3]
	s_cbranch_execz .LBB40_14
.LBB40_56:
	global_load_dwordx2 v[20:21], v[5:6], off offset:1024
	s_or_b64 exec, exec, s[0:1]
                                        ; implicit-def: $vgpr22_vgpr23
	s_and_saveexec_b64 s[0:1], s[6:7]
	s_cbranch_execnz .LBB40_15
	s_branch .LBB40_16
.LBB40_57:
	s_waitcnt lgkmcnt(1)
	global_store_dwordx2 v[9:10], v[5:6], off
	s_or_b64 exec, exec, s[4:5]
	s_and_saveexec_b64 s[4:5], s[0:1]
	s_cbranch_execz .LBB40_48
.LBB40_58:
	s_waitcnt lgkmcnt(1)
	global_store_dwordx2 v[9:10], v[7:8], off offset:2048
	s_or_b64 exec, exec, s[4:5]
	s_and_saveexec_b64 s[0:1], s[2:3]
	s_cbranch_execnz .LBB40_49
	s_branch .LBB40_50
	.section	.rodata,"a",@progbits
	.p2align	6, 0x0
	.amdhsa_kernel _ZN7rocprim17ROCPRIM_304000_NS6detail28radix_sort_block_sort_kernelINS1_36wrapped_radix_sort_block_sort_configINS0_13kernel_configILj256ELj4ELj4294967295EEEaN2at4cuda3cub6detail10OpaqueTypeILi8EEEEELb0EPKaPaPKSB_PSB_NS0_19identity_decomposerEEEvT1_T2_T3_T4_jT5_jj
		.amdhsa_group_segment_fixed_size 8192
		.amdhsa_private_segment_fixed_size 0
		.amdhsa_kernarg_size 304
		.amdhsa_user_sgpr_count 6
		.amdhsa_user_sgpr_private_segment_buffer 1
		.amdhsa_user_sgpr_dispatch_ptr 0
		.amdhsa_user_sgpr_queue_ptr 0
		.amdhsa_user_sgpr_kernarg_segment_ptr 1
		.amdhsa_user_sgpr_dispatch_id 0
		.amdhsa_user_sgpr_flat_scratch_init 0
		.amdhsa_user_sgpr_private_segment_size 0
		.amdhsa_uses_dynamic_stack 0
		.amdhsa_system_sgpr_private_segment_wavefront_offset 0
		.amdhsa_system_sgpr_workgroup_id_x 1
		.amdhsa_system_sgpr_workgroup_id_y 0
		.amdhsa_system_sgpr_workgroup_id_z 0
		.amdhsa_system_sgpr_workgroup_info 0
		.amdhsa_system_vgpr_workitem_id 2
		.amdhsa_next_free_vgpr 48
		.amdhsa_next_free_sgpr 61
		.amdhsa_reserve_vcc 1
		.amdhsa_reserve_flat_scratch 0
		.amdhsa_float_round_mode_32 0
		.amdhsa_float_round_mode_16_64 0
		.amdhsa_float_denorm_mode_32 3
		.amdhsa_float_denorm_mode_16_64 3
		.amdhsa_dx10_clamp 1
		.amdhsa_ieee_mode 1
		.amdhsa_fp16_overflow 0
		.amdhsa_exception_fp_ieee_invalid_op 0
		.amdhsa_exception_fp_denorm_src 0
		.amdhsa_exception_fp_ieee_div_zero 0
		.amdhsa_exception_fp_ieee_overflow 0
		.amdhsa_exception_fp_ieee_underflow 0
		.amdhsa_exception_fp_ieee_inexact 0
		.amdhsa_exception_int_div_zero 0
	.end_amdhsa_kernel
	.section	.text._ZN7rocprim17ROCPRIM_304000_NS6detail28radix_sort_block_sort_kernelINS1_36wrapped_radix_sort_block_sort_configINS0_13kernel_configILj256ELj4ELj4294967295EEEaN2at4cuda3cub6detail10OpaqueTypeILi8EEEEELb0EPKaPaPKSB_PSB_NS0_19identity_decomposerEEEvT1_T2_T3_T4_jT5_jj,"axG",@progbits,_ZN7rocprim17ROCPRIM_304000_NS6detail28radix_sort_block_sort_kernelINS1_36wrapped_radix_sort_block_sort_configINS0_13kernel_configILj256ELj4ELj4294967295EEEaN2at4cuda3cub6detail10OpaqueTypeILi8EEEEELb0EPKaPaPKSB_PSB_NS0_19identity_decomposerEEEvT1_T2_T3_T4_jT5_jj,comdat
.Lfunc_end40:
	.size	_ZN7rocprim17ROCPRIM_304000_NS6detail28radix_sort_block_sort_kernelINS1_36wrapped_radix_sort_block_sort_configINS0_13kernel_configILj256ELj4ELj4294967295EEEaN2at4cuda3cub6detail10OpaqueTypeILi8EEEEELb0EPKaPaPKSB_PSB_NS0_19identity_decomposerEEEvT1_T2_T3_T4_jT5_jj, .Lfunc_end40-_ZN7rocprim17ROCPRIM_304000_NS6detail28radix_sort_block_sort_kernelINS1_36wrapped_radix_sort_block_sort_configINS0_13kernel_configILj256ELj4ELj4294967295EEEaN2at4cuda3cub6detail10OpaqueTypeILi8EEEEELb0EPKaPaPKSB_PSB_NS0_19identity_decomposerEEEvT1_T2_T3_T4_jT5_jj
                                        ; -- End function
	.set _ZN7rocprim17ROCPRIM_304000_NS6detail28radix_sort_block_sort_kernelINS1_36wrapped_radix_sort_block_sort_configINS0_13kernel_configILj256ELj4ELj4294967295EEEaN2at4cuda3cub6detail10OpaqueTypeILi8EEEEELb0EPKaPaPKSB_PSB_NS0_19identity_decomposerEEEvT1_T2_T3_T4_jT5_jj.num_vgpr, 48
	.set _ZN7rocprim17ROCPRIM_304000_NS6detail28radix_sort_block_sort_kernelINS1_36wrapped_radix_sort_block_sort_configINS0_13kernel_configILj256ELj4ELj4294967295EEEaN2at4cuda3cub6detail10OpaqueTypeILi8EEEEELb0EPKaPaPKSB_PSB_NS0_19identity_decomposerEEEvT1_T2_T3_T4_jT5_jj.num_agpr, 0
	.set _ZN7rocprim17ROCPRIM_304000_NS6detail28radix_sort_block_sort_kernelINS1_36wrapped_radix_sort_block_sort_configINS0_13kernel_configILj256ELj4ELj4294967295EEEaN2at4cuda3cub6detail10OpaqueTypeILi8EEEEELb0EPKaPaPKSB_PSB_NS0_19identity_decomposerEEEvT1_T2_T3_T4_jT5_jj.numbered_sgpr, 46
	.set _ZN7rocprim17ROCPRIM_304000_NS6detail28radix_sort_block_sort_kernelINS1_36wrapped_radix_sort_block_sort_configINS0_13kernel_configILj256ELj4ELj4294967295EEEaN2at4cuda3cub6detail10OpaqueTypeILi8EEEEELb0EPKaPaPKSB_PSB_NS0_19identity_decomposerEEEvT1_T2_T3_T4_jT5_jj.num_named_barrier, 0
	.set _ZN7rocprim17ROCPRIM_304000_NS6detail28radix_sort_block_sort_kernelINS1_36wrapped_radix_sort_block_sort_configINS0_13kernel_configILj256ELj4ELj4294967295EEEaN2at4cuda3cub6detail10OpaqueTypeILi8EEEEELb0EPKaPaPKSB_PSB_NS0_19identity_decomposerEEEvT1_T2_T3_T4_jT5_jj.private_seg_size, 0
	.set _ZN7rocprim17ROCPRIM_304000_NS6detail28radix_sort_block_sort_kernelINS1_36wrapped_radix_sort_block_sort_configINS0_13kernel_configILj256ELj4ELj4294967295EEEaN2at4cuda3cub6detail10OpaqueTypeILi8EEEEELb0EPKaPaPKSB_PSB_NS0_19identity_decomposerEEEvT1_T2_T3_T4_jT5_jj.uses_vcc, 1
	.set _ZN7rocprim17ROCPRIM_304000_NS6detail28radix_sort_block_sort_kernelINS1_36wrapped_radix_sort_block_sort_configINS0_13kernel_configILj256ELj4ELj4294967295EEEaN2at4cuda3cub6detail10OpaqueTypeILi8EEEEELb0EPKaPaPKSB_PSB_NS0_19identity_decomposerEEEvT1_T2_T3_T4_jT5_jj.uses_flat_scratch, 0
	.set _ZN7rocprim17ROCPRIM_304000_NS6detail28radix_sort_block_sort_kernelINS1_36wrapped_radix_sort_block_sort_configINS0_13kernel_configILj256ELj4ELj4294967295EEEaN2at4cuda3cub6detail10OpaqueTypeILi8EEEEELb0EPKaPaPKSB_PSB_NS0_19identity_decomposerEEEvT1_T2_T3_T4_jT5_jj.has_dyn_sized_stack, 0
	.set _ZN7rocprim17ROCPRIM_304000_NS6detail28radix_sort_block_sort_kernelINS1_36wrapped_radix_sort_block_sort_configINS0_13kernel_configILj256ELj4ELj4294967295EEEaN2at4cuda3cub6detail10OpaqueTypeILi8EEEEELb0EPKaPaPKSB_PSB_NS0_19identity_decomposerEEEvT1_T2_T3_T4_jT5_jj.has_recursion, 0
	.set _ZN7rocprim17ROCPRIM_304000_NS6detail28radix_sort_block_sort_kernelINS1_36wrapped_radix_sort_block_sort_configINS0_13kernel_configILj256ELj4ELj4294967295EEEaN2at4cuda3cub6detail10OpaqueTypeILi8EEEEELb0EPKaPaPKSB_PSB_NS0_19identity_decomposerEEEvT1_T2_T3_T4_jT5_jj.has_indirect_call, 0
	.section	.AMDGPU.csdata,"",@progbits
; Kernel info:
; codeLenInByte = 3928
; TotalNumSgprs: 50
; NumVgprs: 48
; ScratchSize: 0
; MemoryBound: 0
; FloatMode: 240
; IeeeMode: 1
; LDSByteSize: 8192 bytes/workgroup (compile time only)
; SGPRBlocks: 8
; VGPRBlocks: 11
; NumSGPRsForWavesPerEU: 65
; NumVGPRsForWavesPerEU: 48
; Occupancy: 5
; WaveLimiterHint : 1
; COMPUTE_PGM_RSRC2:SCRATCH_EN: 0
; COMPUTE_PGM_RSRC2:USER_SGPR: 6
; COMPUTE_PGM_RSRC2:TRAP_HANDLER: 0
; COMPUTE_PGM_RSRC2:TGID_X_EN: 1
; COMPUTE_PGM_RSRC2:TGID_Y_EN: 0
; COMPUTE_PGM_RSRC2:TGID_Z_EN: 0
; COMPUTE_PGM_RSRC2:TIDIG_COMP_CNT: 2
	.section	.text._ZN7rocprim17ROCPRIM_304000_NS6detail45device_block_merge_mergepath_partition_kernelINS1_37wrapped_merge_sort_block_merge_configINS0_14default_configEaN2at4cuda3cub6detail10OpaqueTypeILi8EEEEEPajNS1_19radix_merge_compareILb0ELb0EaNS0_19identity_decomposerEEEEEvT0_T1_jPSH_T2_SH_,"axG",@progbits,_ZN7rocprim17ROCPRIM_304000_NS6detail45device_block_merge_mergepath_partition_kernelINS1_37wrapped_merge_sort_block_merge_configINS0_14default_configEaN2at4cuda3cub6detail10OpaqueTypeILi8EEEEEPajNS1_19radix_merge_compareILb0ELb0EaNS0_19identity_decomposerEEEEEvT0_T1_jPSH_T2_SH_,comdat
	.protected	_ZN7rocprim17ROCPRIM_304000_NS6detail45device_block_merge_mergepath_partition_kernelINS1_37wrapped_merge_sort_block_merge_configINS0_14default_configEaN2at4cuda3cub6detail10OpaqueTypeILi8EEEEEPajNS1_19radix_merge_compareILb0ELb0EaNS0_19identity_decomposerEEEEEvT0_T1_jPSH_T2_SH_ ; -- Begin function _ZN7rocprim17ROCPRIM_304000_NS6detail45device_block_merge_mergepath_partition_kernelINS1_37wrapped_merge_sort_block_merge_configINS0_14default_configEaN2at4cuda3cub6detail10OpaqueTypeILi8EEEEEPajNS1_19radix_merge_compareILb0ELb0EaNS0_19identity_decomposerEEEEEvT0_T1_jPSH_T2_SH_
	.globl	_ZN7rocprim17ROCPRIM_304000_NS6detail45device_block_merge_mergepath_partition_kernelINS1_37wrapped_merge_sort_block_merge_configINS0_14default_configEaN2at4cuda3cub6detail10OpaqueTypeILi8EEEEEPajNS1_19radix_merge_compareILb0ELb0EaNS0_19identity_decomposerEEEEEvT0_T1_jPSH_T2_SH_
	.p2align	8
	.type	_ZN7rocprim17ROCPRIM_304000_NS6detail45device_block_merge_mergepath_partition_kernelINS1_37wrapped_merge_sort_block_merge_configINS0_14default_configEaN2at4cuda3cub6detail10OpaqueTypeILi8EEEEEPajNS1_19radix_merge_compareILb0ELb0EaNS0_19identity_decomposerEEEEEvT0_T1_jPSH_T2_SH_,@function
_ZN7rocprim17ROCPRIM_304000_NS6detail45device_block_merge_mergepath_partition_kernelINS1_37wrapped_merge_sort_block_merge_configINS0_14default_configEaN2at4cuda3cub6detail10OpaqueTypeILi8EEEEEPajNS1_19radix_merge_compareILb0ELb0EaNS0_19identity_decomposerEEEEEvT0_T1_jPSH_T2_SH_: ; @_ZN7rocprim17ROCPRIM_304000_NS6detail45device_block_merge_mergepath_partition_kernelINS1_37wrapped_merge_sort_block_merge_configINS0_14default_configEaN2at4cuda3cub6detail10OpaqueTypeILi8EEEEEPajNS1_19radix_merge_compareILb0ELb0EaNS0_19identity_decomposerEEEEEvT0_T1_jPSH_T2_SH_
; %bb.0:
	s_load_dwordx2 s[0:1], s[4:5], 0x8
	v_lshl_or_b32 v0, s6, 7, v0
	s_waitcnt lgkmcnt(0)
	v_cmp_gt_u32_e32 vcc, s1, v0
	s_and_saveexec_b64 s[2:3], vcc
	s_cbranch_execz .LBB41_6
; %bb.1:
	s_load_dword s1, s[4:5], 0x1c
	s_waitcnt lgkmcnt(0)
	s_lshr_b32 s2, s1, 9
	s_and_b32 s2, s2, 0x7ffffe
	s_add_i32 s3, s2, -1
	s_sub_i32 s2, 0, s2
	v_and_b32_e32 v1, s2, v0
	v_lshlrev_b32_e32 v3, 10, v1
	v_min_u32_e32 v1, s0, v3
	v_add_u32_e32 v3, s1, v3
	v_min_u32_e32 v7, s0, v3
	v_add_u32_e32 v3, s1, v7
	v_and_b32_e32 v2, s3, v0
	v_min_u32_e32 v4, s0, v3
	v_lshlrev_b32_e32 v2, 10, v2
	v_sub_u32_e32 v3, v4, v1
	v_min_u32_e32 v3, v3, v2
	v_sub_u32_e32 v5, v7, v1
	v_sub_u32_e32 v2, v4, v7
	v_sub_u32_e64 v2, v3, v2 clamp
	v_min_u32_e32 v4, v3, v5
	v_cmp_lt_u32_e32 vcc, v2, v4
	s_and_saveexec_b64 s[0:1], vcc
	s_cbranch_execz .LBB41_5
; %bb.2:
	s_load_dwordx2 s[2:3], s[4:5], 0x0
	s_waitcnt lgkmcnt(0)
	v_mov_b32_e32 v8, s3
	v_add_co_u32_e32 v5, vcc, s2, v1
	v_addc_co_u32_e32 v6, vcc, 0, v8, vcc
	v_add_co_u32_e32 v7, vcc, s2, v7
	v_addc_co_u32_e32 v8, vcc, 0, v8, vcc
	s_mov_b64 s[2:3], 0
.LBB41_3:                               ; =>This Inner Loop Header: Depth=1
	v_add_u32_e32 v9, v4, v2
	v_lshrrev_b32_e32 v13, 1, v9
	v_add_co_u32_e32 v9, vcc, v5, v13
	v_xad_u32 v11, v13, -1, v3
	v_addc_co_u32_e32 v10, vcc, 0, v6, vcc
	v_add_co_u32_e32 v11, vcc, v7, v11
	v_addc_co_u32_e32 v12, vcc, 0, v8, vcc
	global_load_sbyte v14, v[9:10], off
	global_load_sbyte v15, v[11:12], off
	v_add_u32_e32 v9, 1, v13
	s_waitcnt vmcnt(0)
	v_cmp_gt_i16_e32 vcc, v14, v15
	v_cndmask_b32_e32 v4, v4, v13, vcc
	v_cndmask_b32_e32 v2, v9, v2, vcc
	v_cmp_ge_u32_e32 vcc, v2, v4
	s_or_b64 s[2:3], vcc, s[2:3]
	s_andn2_b64 exec, exec, s[2:3]
	s_cbranch_execnz .LBB41_3
; %bb.4:
	s_or_b64 exec, exec, s[2:3]
.LBB41_5:
	s_or_b64 exec, exec, s[0:1]
	s_load_dwordx2 s[0:1], s[4:5], 0x10
	v_add_u32_e32 v2, v2, v1
	v_mov_b32_e32 v1, 0
	v_lshlrev_b64 v[0:1], 2, v[0:1]
	s_waitcnt lgkmcnt(0)
	v_mov_b32_e32 v3, s1
	v_add_co_u32_e32 v0, vcc, s0, v0
	v_addc_co_u32_e32 v1, vcc, v3, v1, vcc
	global_store_dword v[0:1], v2, off
.LBB41_6:
	s_endpgm
	.section	.rodata,"a",@progbits
	.p2align	6, 0x0
	.amdhsa_kernel _ZN7rocprim17ROCPRIM_304000_NS6detail45device_block_merge_mergepath_partition_kernelINS1_37wrapped_merge_sort_block_merge_configINS0_14default_configEaN2at4cuda3cub6detail10OpaqueTypeILi8EEEEEPajNS1_19radix_merge_compareILb0ELb0EaNS0_19identity_decomposerEEEEEvT0_T1_jPSH_T2_SH_
		.amdhsa_group_segment_fixed_size 0
		.amdhsa_private_segment_fixed_size 0
		.amdhsa_kernarg_size 32
		.amdhsa_user_sgpr_count 6
		.amdhsa_user_sgpr_private_segment_buffer 1
		.amdhsa_user_sgpr_dispatch_ptr 0
		.amdhsa_user_sgpr_queue_ptr 0
		.amdhsa_user_sgpr_kernarg_segment_ptr 1
		.amdhsa_user_sgpr_dispatch_id 0
		.amdhsa_user_sgpr_flat_scratch_init 0
		.amdhsa_user_sgpr_private_segment_size 0
		.amdhsa_uses_dynamic_stack 0
		.amdhsa_system_sgpr_private_segment_wavefront_offset 0
		.amdhsa_system_sgpr_workgroup_id_x 1
		.amdhsa_system_sgpr_workgroup_id_y 0
		.amdhsa_system_sgpr_workgroup_id_z 0
		.amdhsa_system_sgpr_workgroup_info 0
		.amdhsa_system_vgpr_workitem_id 0
		.amdhsa_next_free_vgpr 16
		.amdhsa_next_free_sgpr 7
		.amdhsa_reserve_vcc 1
		.amdhsa_reserve_flat_scratch 0
		.amdhsa_float_round_mode_32 0
		.amdhsa_float_round_mode_16_64 0
		.amdhsa_float_denorm_mode_32 3
		.amdhsa_float_denorm_mode_16_64 3
		.amdhsa_dx10_clamp 1
		.amdhsa_ieee_mode 1
		.amdhsa_fp16_overflow 0
		.amdhsa_exception_fp_ieee_invalid_op 0
		.amdhsa_exception_fp_denorm_src 0
		.amdhsa_exception_fp_ieee_div_zero 0
		.amdhsa_exception_fp_ieee_overflow 0
		.amdhsa_exception_fp_ieee_underflow 0
		.amdhsa_exception_fp_ieee_inexact 0
		.amdhsa_exception_int_div_zero 0
	.end_amdhsa_kernel
	.section	.text._ZN7rocprim17ROCPRIM_304000_NS6detail45device_block_merge_mergepath_partition_kernelINS1_37wrapped_merge_sort_block_merge_configINS0_14default_configEaN2at4cuda3cub6detail10OpaqueTypeILi8EEEEEPajNS1_19radix_merge_compareILb0ELb0EaNS0_19identity_decomposerEEEEEvT0_T1_jPSH_T2_SH_,"axG",@progbits,_ZN7rocprim17ROCPRIM_304000_NS6detail45device_block_merge_mergepath_partition_kernelINS1_37wrapped_merge_sort_block_merge_configINS0_14default_configEaN2at4cuda3cub6detail10OpaqueTypeILi8EEEEEPajNS1_19radix_merge_compareILb0ELb0EaNS0_19identity_decomposerEEEEEvT0_T1_jPSH_T2_SH_,comdat
.Lfunc_end41:
	.size	_ZN7rocprim17ROCPRIM_304000_NS6detail45device_block_merge_mergepath_partition_kernelINS1_37wrapped_merge_sort_block_merge_configINS0_14default_configEaN2at4cuda3cub6detail10OpaqueTypeILi8EEEEEPajNS1_19radix_merge_compareILb0ELb0EaNS0_19identity_decomposerEEEEEvT0_T1_jPSH_T2_SH_, .Lfunc_end41-_ZN7rocprim17ROCPRIM_304000_NS6detail45device_block_merge_mergepath_partition_kernelINS1_37wrapped_merge_sort_block_merge_configINS0_14default_configEaN2at4cuda3cub6detail10OpaqueTypeILi8EEEEEPajNS1_19radix_merge_compareILb0ELb0EaNS0_19identity_decomposerEEEEEvT0_T1_jPSH_T2_SH_
                                        ; -- End function
	.set _ZN7rocprim17ROCPRIM_304000_NS6detail45device_block_merge_mergepath_partition_kernelINS1_37wrapped_merge_sort_block_merge_configINS0_14default_configEaN2at4cuda3cub6detail10OpaqueTypeILi8EEEEEPajNS1_19radix_merge_compareILb0ELb0EaNS0_19identity_decomposerEEEEEvT0_T1_jPSH_T2_SH_.num_vgpr, 16
	.set _ZN7rocprim17ROCPRIM_304000_NS6detail45device_block_merge_mergepath_partition_kernelINS1_37wrapped_merge_sort_block_merge_configINS0_14default_configEaN2at4cuda3cub6detail10OpaqueTypeILi8EEEEEPajNS1_19radix_merge_compareILb0ELb0EaNS0_19identity_decomposerEEEEEvT0_T1_jPSH_T2_SH_.num_agpr, 0
	.set _ZN7rocprim17ROCPRIM_304000_NS6detail45device_block_merge_mergepath_partition_kernelINS1_37wrapped_merge_sort_block_merge_configINS0_14default_configEaN2at4cuda3cub6detail10OpaqueTypeILi8EEEEEPajNS1_19radix_merge_compareILb0ELb0EaNS0_19identity_decomposerEEEEEvT0_T1_jPSH_T2_SH_.numbered_sgpr, 7
	.set _ZN7rocprim17ROCPRIM_304000_NS6detail45device_block_merge_mergepath_partition_kernelINS1_37wrapped_merge_sort_block_merge_configINS0_14default_configEaN2at4cuda3cub6detail10OpaqueTypeILi8EEEEEPajNS1_19radix_merge_compareILb0ELb0EaNS0_19identity_decomposerEEEEEvT0_T1_jPSH_T2_SH_.num_named_barrier, 0
	.set _ZN7rocprim17ROCPRIM_304000_NS6detail45device_block_merge_mergepath_partition_kernelINS1_37wrapped_merge_sort_block_merge_configINS0_14default_configEaN2at4cuda3cub6detail10OpaqueTypeILi8EEEEEPajNS1_19radix_merge_compareILb0ELb0EaNS0_19identity_decomposerEEEEEvT0_T1_jPSH_T2_SH_.private_seg_size, 0
	.set _ZN7rocprim17ROCPRIM_304000_NS6detail45device_block_merge_mergepath_partition_kernelINS1_37wrapped_merge_sort_block_merge_configINS0_14default_configEaN2at4cuda3cub6detail10OpaqueTypeILi8EEEEEPajNS1_19radix_merge_compareILb0ELb0EaNS0_19identity_decomposerEEEEEvT0_T1_jPSH_T2_SH_.uses_vcc, 1
	.set _ZN7rocprim17ROCPRIM_304000_NS6detail45device_block_merge_mergepath_partition_kernelINS1_37wrapped_merge_sort_block_merge_configINS0_14default_configEaN2at4cuda3cub6detail10OpaqueTypeILi8EEEEEPajNS1_19radix_merge_compareILb0ELb0EaNS0_19identity_decomposerEEEEEvT0_T1_jPSH_T2_SH_.uses_flat_scratch, 0
	.set _ZN7rocprim17ROCPRIM_304000_NS6detail45device_block_merge_mergepath_partition_kernelINS1_37wrapped_merge_sort_block_merge_configINS0_14default_configEaN2at4cuda3cub6detail10OpaqueTypeILi8EEEEEPajNS1_19radix_merge_compareILb0ELb0EaNS0_19identity_decomposerEEEEEvT0_T1_jPSH_T2_SH_.has_dyn_sized_stack, 0
	.set _ZN7rocprim17ROCPRIM_304000_NS6detail45device_block_merge_mergepath_partition_kernelINS1_37wrapped_merge_sort_block_merge_configINS0_14default_configEaN2at4cuda3cub6detail10OpaqueTypeILi8EEEEEPajNS1_19radix_merge_compareILb0ELb0EaNS0_19identity_decomposerEEEEEvT0_T1_jPSH_T2_SH_.has_recursion, 0
	.set _ZN7rocprim17ROCPRIM_304000_NS6detail45device_block_merge_mergepath_partition_kernelINS1_37wrapped_merge_sort_block_merge_configINS0_14default_configEaN2at4cuda3cub6detail10OpaqueTypeILi8EEEEEPajNS1_19radix_merge_compareILb0ELb0EaNS0_19identity_decomposerEEEEEvT0_T1_jPSH_T2_SH_.has_indirect_call, 0
	.section	.AMDGPU.csdata,"",@progbits
; Kernel info:
; codeLenInByte = 320
; TotalNumSgprs: 11
; NumVgprs: 16
; ScratchSize: 0
; MemoryBound: 0
; FloatMode: 240
; IeeeMode: 1
; LDSByteSize: 0 bytes/workgroup (compile time only)
; SGPRBlocks: 1
; VGPRBlocks: 3
; NumSGPRsForWavesPerEU: 11
; NumVGPRsForWavesPerEU: 16
; Occupancy: 10
; WaveLimiterHint : 0
; COMPUTE_PGM_RSRC2:SCRATCH_EN: 0
; COMPUTE_PGM_RSRC2:USER_SGPR: 6
; COMPUTE_PGM_RSRC2:TRAP_HANDLER: 0
; COMPUTE_PGM_RSRC2:TGID_X_EN: 1
; COMPUTE_PGM_RSRC2:TGID_Y_EN: 0
; COMPUTE_PGM_RSRC2:TGID_Z_EN: 0
; COMPUTE_PGM_RSRC2:TIDIG_COMP_CNT: 0
	.section	.text._ZN7rocprim17ROCPRIM_304000_NS6detail35device_block_merge_mergepath_kernelINS1_37wrapped_merge_sort_block_merge_configINS0_14default_configEaN2at4cuda3cub6detail10OpaqueTypeILi8EEEEEPaSC_PSA_SD_jNS1_19radix_merge_compareILb0ELb0EaNS0_19identity_decomposerEEEEEvT0_T1_T2_T3_T4_SL_jT5_PKSL_NS1_7vsmem_tE,"axG",@progbits,_ZN7rocprim17ROCPRIM_304000_NS6detail35device_block_merge_mergepath_kernelINS1_37wrapped_merge_sort_block_merge_configINS0_14default_configEaN2at4cuda3cub6detail10OpaqueTypeILi8EEEEEPaSC_PSA_SD_jNS1_19radix_merge_compareILb0ELb0EaNS0_19identity_decomposerEEEEEvT0_T1_T2_T3_T4_SL_jT5_PKSL_NS1_7vsmem_tE,comdat
	.protected	_ZN7rocprim17ROCPRIM_304000_NS6detail35device_block_merge_mergepath_kernelINS1_37wrapped_merge_sort_block_merge_configINS0_14default_configEaN2at4cuda3cub6detail10OpaqueTypeILi8EEEEEPaSC_PSA_SD_jNS1_19radix_merge_compareILb0ELb0EaNS0_19identity_decomposerEEEEEvT0_T1_T2_T3_T4_SL_jT5_PKSL_NS1_7vsmem_tE ; -- Begin function _ZN7rocprim17ROCPRIM_304000_NS6detail35device_block_merge_mergepath_kernelINS1_37wrapped_merge_sort_block_merge_configINS0_14default_configEaN2at4cuda3cub6detail10OpaqueTypeILi8EEEEEPaSC_PSA_SD_jNS1_19radix_merge_compareILb0ELb0EaNS0_19identity_decomposerEEEEEvT0_T1_T2_T3_T4_SL_jT5_PKSL_NS1_7vsmem_tE
	.globl	_ZN7rocprim17ROCPRIM_304000_NS6detail35device_block_merge_mergepath_kernelINS1_37wrapped_merge_sort_block_merge_configINS0_14default_configEaN2at4cuda3cub6detail10OpaqueTypeILi8EEEEEPaSC_PSA_SD_jNS1_19radix_merge_compareILb0ELb0EaNS0_19identity_decomposerEEEEEvT0_T1_T2_T3_T4_SL_jT5_PKSL_NS1_7vsmem_tE
	.p2align	8
	.type	_ZN7rocprim17ROCPRIM_304000_NS6detail35device_block_merge_mergepath_kernelINS1_37wrapped_merge_sort_block_merge_configINS0_14default_configEaN2at4cuda3cub6detail10OpaqueTypeILi8EEEEEPaSC_PSA_SD_jNS1_19radix_merge_compareILb0ELb0EaNS0_19identity_decomposerEEEEEvT0_T1_T2_T3_T4_SL_jT5_PKSL_NS1_7vsmem_tE,@function
_ZN7rocprim17ROCPRIM_304000_NS6detail35device_block_merge_mergepath_kernelINS1_37wrapped_merge_sort_block_merge_configINS0_14default_configEaN2at4cuda3cub6detail10OpaqueTypeILi8EEEEEPaSC_PSA_SD_jNS1_19radix_merge_compareILb0ELb0EaNS0_19identity_decomposerEEEEEvT0_T1_T2_T3_T4_SL_jT5_PKSL_NS1_7vsmem_tE: ; @_ZN7rocprim17ROCPRIM_304000_NS6detail35device_block_merge_mergepath_kernelINS1_37wrapped_merge_sort_block_merge_configINS0_14default_configEaN2at4cuda3cub6detail10OpaqueTypeILi8EEEEEPaSC_PSA_SD_jNS1_19radix_merge_compareILb0ELb0EaNS0_19identity_decomposerEEEEEvT0_T1_T2_T3_T4_SL_jT5_PKSL_NS1_7vsmem_tE
; %bb.0:
	s_load_dwordx2 s[10:11], s[4:5], 0x40
	s_load_dwordx4 s[20:23], s[4:5], 0x20
	s_add_u32 s2, s4, 64
	s_addc_u32 s3, s5, 0
	s_waitcnt lgkmcnt(0)
	s_mul_i32 s0, s11, s8
	s_add_i32 s0, s0, s7
	s_mul_i32 s0, s0, s10
	s_add_i32 s0, s0, s6
	s_cmp_ge_u32 s0, s22
	s_cbranch_scc1 .LBB42_109
; %bb.1:
	s_load_dwordx8 s[12:19], s[4:5], 0x0
	s_load_dwordx2 s[8:9], s[4:5], 0x30
	s_lshr_b32 s11, s20, 10
	s_cmp_lg_u32 s0, s11
	s_mov_b32 s1, 0
	s_cselect_b64 s[22:23], -1, 0
	s_lshl_b64 s[4:5], s[0:1], 2
	s_waitcnt lgkmcnt(0)
	s_add_u32 s4, s8, s4
	s_addc_u32 s5, s9, s5
	s_load_dwordx2 s[24:25], s[4:5], 0x0
	s_lshr_b32 s4, s21, 9
	s_and_b32 s4, s4, 0x7ffffe
	s_sub_i32 s4, 0, s4
	s_and_b32 s5, s0, s4
	s_lshl_b32 s7, s5, 10
	s_lshl_b32 s28, s0, 10
	;; [unrolled: 1-line block ×3, first 2 shown]
	s_sub_i32 s8, s28, s7
	s_add_i32 s5, s5, s21
	s_add_i32 s8, s5, s8
	s_waitcnt lgkmcnt(0)
	s_sub_i32 s9, s8, s24
	s_sub_i32 s8, s8, s25
	;; [unrolled: 1-line block ×3, first 2 shown]
	s_min_u32 s26, s20, s9
	s_addk_i32 s8, 0x400
	s_or_b32 s4, s0, s4
	s_min_u32 s7, s20, s5
	s_add_i32 s5, s5, s21
	s_cmp_eq_u32 s4, -1
	s_cselect_b32 s4, s5, s8
	s_cselect_b32 s5, s7, s25
	s_min_u32 s4, s4, s20
	s_sub_i32 s29, s5, s24
	s_sub_i32 s30, s4, s26
	s_add_u32 s5, s12, s24
	s_addc_u32 s7, s13, 0
	s_add_u32 s4, s12, s26
	v_mov_b32_e32 v1, 0
	global_load_dword v2, v1, s[2:3] offset:14
	s_addc_u32 s8, s13, 0
	s_cmp_lt_u32 s6, s10
	s_cselect_b32 s6, 12, 18
	s_add_u32 s2, s2, s6
	s_addc_u32 s3, s3, 0
	global_load_ushort v1, v1, s[2:3]
	s_mov_b32 s25, s1
	s_mov_b32 s27, s1
	s_cmp_eq_u32 s0, s11
	s_waitcnt vmcnt(1)
	v_lshrrev_b32_e32 v3, 16, v2
	v_and_b32_e32 v2, 0xffff, v2
	v_mul_lo_u32 v2, v2, v3
	s_waitcnt vmcnt(0)
	v_mul_lo_u32 v3, v2, v1
	v_add_u32_e32 v5, v3, v0
	v_add_u32_e32 v4, v5, v3
	s_cbranch_scc1 .LBB42_3
; %bb.2:
	v_mov_b32_e32 v1, s7
	v_add_co_u32_e32 v6, vcc, s5, v0
	v_addc_co_u32_e32 v1, vcc, 0, v1, vcc
	v_subrev_co_u32_e32 v2, vcc, s29, v0
	v_mov_b32_e32 v7, s8
	v_add_co_u32_e64 v8, s[0:1], s4, v2
	v_addc_co_u32_e64 v2, s[0:1], 0, v7, s[0:1]
	v_cndmask_b32_e32 v2, v2, v1, vcc
	v_cndmask_b32_e32 v1, v8, v6, vcc
	v_mov_b32_e32 v6, s7
	v_add_co_u32_e32 v8, vcc, s5, v5
	v_addc_co_u32_e32 v6, vcc, 0, v6, vcc
	v_subrev_co_u32_e32 v7, vcc, s29, v5
	v_mov_b32_e32 v9, s8
	v_add_co_u32_e64 v10, s[0:1], s4, v7
	v_addc_co_u32_e64 v7, s[0:1], 0, v9, s[0:1]
	v_cndmask_b32_e32 v7, v7, v6, vcc
	v_cndmask_b32_e32 v6, v10, v8, vcc
	;; [unrolled: 9-line block ×3, first 2 shown]
	v_add_u32_e32 v12, v4, v3
	v_mov_b32_e32 v10, s7
	v_add_co_u32_e32 v13, vcc, s5, v12
	v_addc_co_u32_e32 v10, vcc, 0, v10, vcc
	v_subrev_co_u32_e32 v11, vcc, s29, v12
	v_mov_b32_e32 v14, s8
	v_add_co_u32_e64 v15, s[0:1], s4, v11
	v_addc_co_u32_e64 v11, s[0:1], 0, v14, s[0:1]
	v_add_u32_e32 v14, v12, v3
	v_cndmask_b32_e32 v11, v11, v10, vcc
	v_cndmask_b32_e32 v10, v15, v13, vcc
	v_mov_b32_e32 v12, s7
	v_add_co_u32_e32 v15, vcc, s5, v14
	v_addc_co_u32_e32 v12, vcc, 0, v12, vcc
	v_subrev_co_u32_e32 v13, vcc, s29, v14
	v_mov_b32_e32 v16, s8
	v_add_co_u32_e64 v17, s[0:1], s4, v13
	v_addc_co_u32_e64 v13, s[0:1], 0, v16, s[0:1]
	v_add_u32_e32 v16, v14, v3
	v_cndmask_b32_e32 v13, v13, v12, vcc
	v_cndmask_b32_e32 v12, v17, v15, vcc
	;; [unrolled: 10-line block ×4, first 2 shown]
	v_mov_b32_e32 v19, s7
	v_add_co_u32_e32 v20, vcc, s5, v18
	v_addc_co_u32_e32 v19, vcc, 0, v19, vcc
	v_subrev_co_u32_e32 v18, vcc, s29, v18
	v_mov_b32_e32 v21, s8
	v_add_co_u32_e64 v18, s[0:1], s4, v18
	v_addc_co_u32_e64 v21, s[0:1], 0, v21, s[0:1]
	v_cndmask_b32_e32 v19, v21, v19, vcc
	v_cndmask_b32_e32 v18, v18, v20, vcc
	global_load_ubyte v20, v[1:2], off
	global_load_ubyte v21, v[6:7], off
	;; [unrolled: 1-line block ×8, first 2 shown]
	s_mov_b32 s0, 0xc0c0004
	s_add_i32 s21, s30, s29
	s_waitcnt vmcnt(6)
	v_perm_b32 v1, v20, v21, s0
	s_waitcnt vmcnt(4)
	v_perm_b32 v2, v22, v23, s0
	v_lshl_or_b32 v1, v2, 16, v1
	s_waitcnt vmcnt(2)
	v_perm_b32 v2, v24, v25, s0
	s_waitcnt vmcnt(0)
	v_perm_b32 v6, v26, v27, s0
	v_lshl_or_b32 v2, v6, 16, v2
	s_cbranch_execz .LBB42_4
	s_branch .LBB42_19
.LBB42_3:
                                        ; implicit-def: $vgpr1_vgpr2
                                        ; implicit-def: $sgpr21
.LBB42_4:
	s_add_i32 s21, s30, s29
	v_mov_b32_e32 v1, 0
	v_cmp_gt_u32_e32 vcc, s21, v0
	s_mov_b32 s6, 0
	v_mov_b32_e32 v2, v1
	s_and_saveexec_b64 s[2:3], vcc
	s_cbranch_execnz .LBB42_110
; %bb.5:
	s_or_b64 exec, exec, s[2:3]
	v_cmp_gt_u32_e32 vcc, s21, v5
	s_and_saveexec_b64 s[2:3], vcc
	s_cbranch_execnz .LBB42_111
.LBB42_6:
	s_or_b64 exec, exec, s[2:3]
	v_cmp_gt_u32_e32 vcc, s21, v4
	s_and_saveexec_b64 s[2:3], vcc
	s_cbranch_execz .LBB42_8
.LBB42_7:
	v_mov_b32_e32 v5, s7
	v_add_co_u32_e32 v7, vcc, s5, v4
	v_addc_co_u32_e32 v5, vcc, 0, v5, vcc
	v_subrev_co_u32_e32 v6, vcc, s29, v4
	v_mov_b32_e32 v8, s8
	v_add_co_u32_e64 v9, s[0:1], s4, v6
	v_addc_co_u32_e64 v6, s[0:1], 0, v8, s[0:1]
	v_cndmask_b32_e32 v6, v6, v5, vcc
	v_cndmask_b32_e32 v5, v9, v7, vcc
	global_load_ubyte v5, v[5:6], off
	s_mov_b32 s0, 0xc0c0304
	s_waitcnt vmcnt(0)
	v_perm_b32 v5, v5, v1, s0
	v_lshlrev_b32_e32 v5, 16, v5
	s_mov_b32 s0, 0xffff
	v_and_or_b32 v1, v1, s0, v5
.LBB42_8:
	s_or_b64 exec, exec, s[2:3]
	v_add_u32_e32 v4, v4, v3
	v_cmp_gt_u32_e32 vcc, s21, v4
	s_and_saveexec_b64 s[2:3], vcc
	s_cbranch_execz .LBB42_10
; %bb.9:
	v_mov_b32_e32 v5, s7
	v_add_co_u32_e32 v7, vcc, s5, v4
	v_addc_co_u32_e32 v5, vcc, 0, v5, vcc
	v_subrev_co_u32_e32 v6, vcc, s29, v4
	v_mov_b32_e32 v8, s8
	v_add_co_u32_e64 v9, s[0:1], s4, v6
	v_addc_co_u32_e64 v6, s[0:1], 0, v8, s[0:1]
	v_cndmask_b32_e32 v6, v6, v5, vcc
	v_cndmask_b32_e32 v5, v9, v7, vcc
	global_load_ubyte v5, v[5:6], off
	s_mov_b32 s0, 0xc0c0006
	s_waitcnt vmcnt(0)
	v_perm_b32 v5, v1, v5, s0
	v_lshlrev_b32_e32 v5, 16, v5
	s_mov_b32 s0, 0xffff
	v_and_or_b32 v1, v1, s0, v5
.LBB42_10:
	s_or_b64 exec, exec, s[2:3]
	v_add_u32_e32 v4, v4, v3
	v_cmp_gt_u32_e32 vcc, s21, v4
	s_and_saveexec_b64 s[2:3], vcc
	s_cbranch_execz .LBB42_12
; %bb.11:
	v_mov_b32_e32 v5, s7
	v_add_co_u32_e32 v7, vcc, s5, v4
	v_addc_co_u32_e32 v5, vcc, 0, v5, vcc
	v_subrev_co_u32_e32 v6, vcc, s29, v4
	v_mov_b32_e32 v8, s8
	v_add_co_u32_e64 v9, s[0:1], s4, v6
	v_addc_co_u32_e64 v6, s[0:1], 0, v8, s[0:1]
	v_cndmask_b32_e32 v6, v6, v5, vcc
	v_cndmask_b32_e32 v5, v9, v7, vcc
	global_load_ubyte v5, v[5:6], off
	s_mov_b32 s0, 0x3020104
	s_waitcnt vmcnt(0)
	v_perm_b32 v2, v5, v2, s0
.LBB42_12:
	s_or_b64 exec, exec, s[2:3]
	v_add_u32_e32 v4, v4, v3
	v_cmp_gt_u32_e32 vcc, s21, v4
	s_and_saveexec_b64 s[2:3], vcc
	s_cbranch_execz .LBB42_14
; %bb.13:
	v_mov_b32_e32 v5, s7
	v_add_co_u32_e32 v7, vcc, s5, v4
	v_addc_co_u32_e32 v5, vcc, 0, v5, vcc
	v_subrev_co_u32_e32 v6, vcc, s29, v4
	v_mov_b32_e32 v8, s8
	v_add_co_u32_e64 v9, s[0:1], s4, v6
	v_addc_co_u32_e64 v6, s[0:1], 0, v8, s[0:1]
	v_cndmask_b32_e32 v6, v6, v5, vcc
	v_cndmask_b32_e32 v5, v9, v7, vcc
	global_load_ubyte v5, v[5:6], off
	s_mov_b32 s0, 0x7060004
	s_waitcnt vmcnt(0)
	v_perm_b32 v2, v2, v5, s0
.LBB42_14:
	;; [unrolled: 20-line block ×4, first 2 shown]
	s_or_b64 exec, exec, s[2:3]
.LBB42_19:
	v_lshrrev_b32_e32 v3, 8, v1
	ds_write_b8 v0, v1
	ds_write_b8 v0, v3 offset:128
	ds_write_b8_d16_hi v0, v1 offset:256
	v_lshrrev_b32_e32 v3, 24, v1
	ds_write_b8 v0, v3 offset:384
	ds_write_b8 v0, v2 offset:512
	v_lshrrev_b32_e32 v3, 8, v2
	v_lshlrev_b32_e32 v7, 3, v0
	ds_write_b8 v0, v3 offset:640
	ds_write_b8_d16_hi v0, v2 offset:768
	v_lshrrev_b32_e32 v3, 24, v2
	v_min_u32_e32 v4, s21, v7
	ds_write_b8 v0, v3 offset:896
	v_sub_u32_e64 v3, v4, s30 clamp
	v_min_u32_e32 v5, s29, v4
	v_cmp_lt_u32_e32 vcc, v3, v5
	s_waitcnt lgkmcnt(0)
	s_barrier
	s_and_saveexec_b64 s[0:1], vcc
	s_cbranch_execz .LBB42_23
; %bb.20:
	v_add_u32_e32 v6, s29, v4
	s_mov_b64 s[2:3], 0
.LBB42_21:                              ; =>This Inner Loop Header: Depth=1
	v_add_u32_e32 v8, v5, v3
	v_lshrrev_b32_e32 v8, 1, v8
	v_xad_u32 v9, v8, -1, v6
	ds_read_i8 v10, v8
	ds_read_i8 v9, v9
	v_add_u32_e32 v11, 1, v8
	s_waitcnt lgkmcnt(0)
	v_cmp_gt_i16_e32 vcc, v10, v9
	v_cndmask_b32_e32 v5, v5, v8, vcc
	v_cndmask_b32_e32 v3, v11, v3, vcc
	v_cmp_ge_u32_e32 vcc, v3, v5
	s_or_b64 s[2:3], vcc, s[2:3]
	s_andn2_b64 exec, exec, s[2:3]
	s_cbranch_execnz .LBB42_21
; %bb.22:
	s_or_b64 exec, exec, s[2:3]
.LBB42_23:
	s_or_b64 exec, exec, s[0:1]
	v_sub_u32_e32 v4, v4, v3
	v_add_u32_e32 v4, s29, v4
	v_cmp_ge_u32_e32 vcc, s29, v3
	v_cmp_ge_u32_e64 s[0:1], s21, v4
	s_or_b64 s[0:1], vcc, s[0:1]
	v_mov_b32_e32 v8, 0
	v_mov_b32_e32 v9, 0
	;; [unrolled: 1-line block ×8, first 2 shown]
	s_and_saveexec_b64 s[12:13], s[0:1]
	s_cbranch_execz .LBB42_29
; %bb.24:
	v_cmp_gt_u32_e32 vcc, s29, v3
                                        ; implicit-def: $vgpr1
	s_and_saveexec_b64 s[0:1], vcc
; %bb.25:
	ds_read_u8 v1, v3
; %bb.26:
	s_or_b64 exec, exec, s[0:1]
	v_cmp_le_u32_e64 s[0:1], s21, v4
	v_cmp_gt_u32_e64 s[2:3], s21, v4
                                        ; implicit-def: $vgpr2
	s_and_saveexec_b64 s[4:5], s[2:3]
; %bb.27:
	ds_read_u8 v2, v4
; %bb.28:
	s_or_b64 exec, exec, s[4:5]
	s_waitcnt lgkmcnt(0)
	v_cmp_le_i16_sdwa s[2:3], sext(v1), sext(v2) src0_sel:BYTE_0 src1_sel:BYTE_0
	s_and_b64 s[2:3], vcc, s[2:3]
	s_or_b64 vcc, s[0:1], s[2:3]
	v_mov_b32_e32 v5, s21
	v_mov_b32_e32 v6, s29
	v_cndmask_b32_e32 v15, v4, v3, vcc
	v_cndmask_b32_e32 v8, v5, v6, vcc
	v_add_u32_e32 v9, 1, v15
	v_add_u32_e32 v8, -1, v8
	v_min_u32_e32 v8, v9, v8
	ds_read_u8 v8, v8
	v_cndmask_b32_e32 v3, v3, v9, vcc
	v_cndmask_b32_e32 v4, v9, v4, vcc
	v_cmp_gt_u32_e64 s[2:3], s29, v3
	v_cmp_le_u32_e64 s[0:1], s21, v4
	s_waitcnt lgkmcnt(0)
	v_cndmask_b32_e32 v16, v8, v2, vcc
	v_cndmask_b32_e32 v8, v1, v8, vcc
	v_cmp_le_i16_sdwa s[4:5], sext(v8), sext(v16) src0_sel:BYTE_0 src1_sel:BYTE_0
	s_and_b64 s[2:3], s[2:3], s[4:5]
	s_or_b64 s[0:1], s[0:1], s[2:3]
	v_cndmask_b32_e64 v14, v4, v3, s[0:1]
	v_cndmask_b32_e64 v9, v5, v6, s[0:1]
	v_add_u32_e32 v10, 1, v14
	v_add_u32_e32 v9, -1, v9
	v_min_u32_e32 v9, v10, v9
	ds_read_u8 v9, v9
	v_cndmask_b32_e64 v3, v3, v10, s[0:1]
	v_cndmask_b32_e64 v4, v10, v4, s[0:1]
	v_cmp_gt_u32_e64 s[4:5], s29, v3
	v_cmp_le_u32_e64 s[2:3], s21, v4
	s_waitcnt lgkmcnt(0)
	v_cndmask_b32_e64 v17, v9, v16, s[0:1]
	v_cndmask_b32_e64 v9, v8, v9, s[0:1]
	v_cmp_le_i16_sdwa s[6:7], sext(v9), sext(v17) src0_sel:BYTE_0 src1_sel:BYTE_0
	s_and_b64 s[4:5], s[4:5], s[6:7]
	s_or_b64 s[2:3], s[2:3], s[4:5]
	v_cndmask_b32_e64 v13, v4, v3, s[2:3]
	v_cndmask_b32_e64 v10, v5, v6, s[2:3]
	v_add_u32_e32 v11, 1, v13
	v_add_u32_e32 v10, -1, v10
	v_min_u32_e32 v10, v11, v10
	ds_read_u8 v10, v10
	v_cndmask_b32_e64 v3, v3, v11, s[2:3]
	v_cndmask_b32_e64 v4, v11, v4, s[2:3]
	v_cmp_gt_u32_e64 s[6:7], s29, v3
	v_cmp_le_u32_e64 s[4:5], s21, v4
	s_waitcnt lgkmcnt(0)
	v_cndmask_b32_e64 v18, v10, v17, s[2:3]
	v_cndmask_b32_e64 v19, v9, v10, s[2:3]
	;; [unrolled: 16-line block ×4, first 2 shown]
	v_cmp_le_i16_sdwa s[34:35], sext(v24), sext(v23) src0_sel:BYTE_0 src1_sel:BYTE_0
	s_and_b64 s[10:11], s[10:11], s[34:35]
	s_or_b64 s[8:9], s[8:9], s[10:11]
	v_cndmask_b32_e64 v10, v4, v3, s[8:9]
	v_cndmask_b32_e64 v22, v5, v6, s[8:9]
	v_add_u32_e32 v25, 1, v10
	v_add_u32_e32 v22, -1, v22
	v_min_u32_e32 v22, v25, v22
	ds_read_u8 v22, v22
	v_cndmask_b32_e32 v1, v2, v1, vcc
	v_cndmask_b32_e64 v16, v16, v8, s[0:1]
	v_cndmask_b32_e64 v3, v3, v25, s[8:9]
	;; [unrolled: 1-line block ×3, first 2 shown]
	s_waitcnt lgkmcnt(0)
	v_cndmask_b32_e64 v2, v22, v23, s[8:9]
	v_cndmask_b32_e64 v8, v24, v22, s[8:9]
	v_cndmask_b32_e64 v4, v25, v4, s[8:9]
	v_cmp_gt_u32_e64 s[0:1], s29, v3
	v_cmp_le_i16_sdwa s[2:3], sext(v8), sext(v2) src0_sel:BYTE_0 src1_sel:BYTE_0
	v_cmp_le_u32_e32 vcc, s21, v4
	s_and_b64 s[0:1], s[0:1], s[2:3]
	s_or_b64 vcc, vcc, s[0:1]
	v_cndmask_b32_e32 v9, v4, v3, vcc
	v_cndmask_b32_e32 v5, v5, v6, vcc
	v_add_u32_e32 v6, 1, v9
	v_add_u32_e32 v5, -1, v5
	v_min_u32_e32 v5, v6, v5
	ds_read_u8 v5, v5
	v_cndmask_b32_e64 v18, v18, v19, s[4:5]
	v_cndmask_b32_e64 v19, v20, v21, s[6:7]
	v_cndmask_b32_e32 v21, v2, v8, vcc
	v_cndmask_b32_e32 v3, v3, v6, vcc
	s_waitcnt lgkmcnt(0)
	v_cndmask_b32_e32 v2, v5, v2, vcc
	v_cndmask_b32_e32 v5, v8, v5, vcc
	;; [unrolled: 1-line block ×3, first 2 shown]
	v_cmp_gt_u32_e64 s[0:1], s29, v3
	v_cmp_le_i16_sdwa s[2:3], sext(v5), sext(v2) src0_sel:BYTE_0 src1_sel:BYTE_0
	v_cmp_le_u32_e32 vcc, s21, v4
	s_and_b64 s[0:1], s[0:1], s[2:3]
	s_or_b64 vcc, vcc, s[0:1]
	v_cndmask_b32_e64 v20, v23, v24, s[8:9]
	v_cndmask_b32_e32 v2, v2, v5, vcc
	v_cndmask_b32_e32 v8, v4, v3, vcc
	v_lshlrev_b16_e32 v2, 8, v2
	v_lshlrev_b16_e32 v3, 8, v20
	v_or_b32_sdwa v2, v21, v2 dst_sel:WORD_1 dst_unused:UNUSED_PAD src0_sel:BYTE_0 src1_sel:DWORD
	v_or_b32_sdwa v3, v19, v3 dst_sel:DWORD dst_unused:UNUSED_PAD src0_sel:BYTE_0 src1_sel:DWORD
	v_or_b32_sdwa v2, v3, v2 dst_sel:DWORD dst_unused:UNUSED_PAD src0_sel:WORD_0 src1_sel:DWORD
	v_lshlrev_b16_e32 v3, 8, v18
	v_lshlrev_b16_e32 v4, 8, v16
	v_or_b32_sdwa v3, v17, v3 dst_sel:WORD_1 dst_unused:UNUSED_PAD src0_sel:BYTE_0 src1_sel:DWORD
	v_or_b32_sdwa v1, v1, v4 dst_sel:DWORD dst_unused:UNUSED_PAD src0_sel:BYTE_0 src1_sel:DWORD
	v_or_b32_sdwa v1, v1, v3 dst_sel:DWORD dst_unused:UNUSED_PAD src0_sel:WORD_0 src1_sel:DWORD
.LBB42_29:
	s_or_b64 exec, exec, s[12:13]
	s_lshl_b64 s[0:1], s[24:25], 3
	s_add_u32 s8, s16, s0
	s_addc_u32 s9, s17, s1
	s_lshl_b64 s[0:1], s[26:27], 3
	s_add_u32 s6, s16, s0
	v_cndmask_b32_e64 v3, 0, 1, s[22:23]
	s_addc_u32 s7, s17, s1
	v_cmp_gt_u32_e64 s[4:5], s29, v0
	v_cmp_ne_u32_e64 s[0:1], 1, v3
	s_andn2_b64 vcc, exec, s[22:23]
	v_cmp_le_u32_e64 s[2:3], s29, v0
	s_barrier
	s_cbranch_vccnz .LBB42_31
; %bb.30:
	v_mov_b32_e32 v3, s9
	v_add_co_u32_e32 v5, vcc, s8, v7
	v_subrev_u32_e32 v4, s29, v0
	v_addc_co_u32_e32 v3, vcc, 0, v3, vcc
	v_lshlrev_b32_e32 v4, 3, v4
	v_mov_b32_e32 v6, s7
	v_add_co_u32_e32 v16, vcc, s6, v4
	v_addc_co_u32_e32 v4, vcc, 0, v6, vcc
	v_cndmask_b32_e64 v4, v4, v3, s[4:5]
	v_cndmask_b32_e64 v3, v16, v5, s[4:5]
	v_or_b32_e32 v5, 0x80, v0
	v_subrev_u32_e32 v6, s29, v5
	v_min_u32_e32 v6, v5, v6
	v_cmp_gt_u32_e32 vcc, s29, v5
	v_mov_b32_e32 v28, s6
	v_mov_b32_e32 v29, s8
	;; [unrolled: 1-line block ×4, first 2 shown]
	v_cndmask_b32_e32 v5, v28, v29, vcc
	v_lshlrev_b32_e32 v6, 3, v6
	v_cndmask_b32_e32 v16, v26, v27, vcc
	v_add_co_u32_e32 v5, vcc, v5, v6
	v_addc_co_u32_e32 v6, vcc, 0, v16, vcc
	v_or_b32_e32 v16, 0x100, v0
	v_subrev_u32_e32 v17, s29, v16
	v_min_u32_e32 v17, v16, v17
	v_cmp_gt_u32_e32 vcc, s29, v16
	v_cndmask_b32_e32 v16, v28, v29, vcc
	v_lshlrev_b32_e32 v17, 3, v17
	v_cndmask_b32_e32 v18, v26, v27, vcc
	v_add_co_u32_e32 v16, vcc, v16, v17
	v_addc_co_u32_e32 v17, vcc, 0, v18, vcc
	v_or_b32_e32 v18, 0x180, v0
	v_subrev_u32_e32 v19, s29, v18
	v_min_u32_e32 v19, v18, v19
	v_cmp_gt_u32_e32 vcc, s29, v18
	;; [unrolled: 9-line block ×5, first 2 shown]
	global_load_dwordx2 v[3:4], v[3:4], off
	v_cndmask_b32_e32 v24, v28, v29, vcc
	global_load_dwordx2 v[5:6], v[5:6], off
	v_lshlrev_b32_e32 v25, 3, v25
	global_load_dwordx2 v[16:17], v[16:17], off
	v_cndmask_b32_e32 v30, v26, v27, vcc
	global_load_dwordx2 v[18:19], v[18:19], off
	v_add_co_u32_e32 v24, vcc, v24, v25
	global_load_dwordx2 v[20:21], v[20:21], off
	v_addc_co_u32_e32 v25, vcc, 0, v30, vcc
	global_load_dwordx2 v[22:23], v[22:23], off
	s_nop 0
	global_load_dwordx2 v[24:25], v[24:25], off
	s_mov_b64 s[4:5], -1
	s_waitcnt vmcnt(5)
	ds_write2st64_b64 v7, v[3:4], v[5:6] offset1:2
	s_waitcnt vmcnt(3)
	ds_write2st64_b64 v7, v[16:17], v[18:19] offset0:4 offset1:6
	s_waitcnt vmcnt(1)
	ds_write2st64_b64 v7, v[20:21], v[22:23] offset0:8 offset1:10
	s_waitcnt vmcnt(0)
	ds_write_b64 v7, v[24:25] offset:6144
	v_or_b32_e32 v16, 0x380, v0
	v_subrev_u32_e32 v3, s29, v16
	v_cmp_gt_u32_e32 vcc, s29, v16
	v_min_u32_e32 v5, v16, v3
	v_cndmask_b32_e32 v4, v26, v27, vcc
	v_cndmask_b32_e32 v3, v28, v29, vcc
	s_cbranch_execz .LBB42_32
	s_branch .LBB42_65
.LBB42_31:
	s_mov_b64 s[4:5], 0
                                        ; implicit-def: $vgpr16
                                        ; implicit-def: $vgpr3_vgpr4
                                        ; implicit-def: $vgpr5
.LBB42_32:
	s_and_saveexec_b64 s[4:5], s[2:3]
	s_xor_b64 s[2:3], exec, s[4:5]
	s_cbranch_execz .LBB42_36
; %bb.33:
	v_subrev_u32_e32 v3, s29, v0
	v_cmp_gt_u32_e32 vcc, s30, v3
	s_and_saveexec_b64 s[4:5], vcc
	s_cbranch_execz .LBB42_35
; %bb.34:
	v_lshlrev_b32_e32 v3, 3, v3
	global_load_dwordx2 v[3:4], v3, s[6:7]
	s_waitcnt vmcnt(0)
	ds_write_b64 v7, v[3:4]
.LBB42_35:
	s_or_b64 exec, exec, s[4:5]
.LBB42_36:
	s_or_saveexec_b64 s[2:3], s[2:3]
	v_mad_u32_u24 v5, v0, 7, v0
	s_xor_b64 exec, exec, s[2:3]
	s_cbranch_execz .LBB42_38
; %bb.37:
	global_load_dwordx2 v[3:4], v7, s[8:9]
	s_waitcnt vmcnt(0)
	ds_write_b64 v5, v[3:4]
.LBB42_38:
	s_or_b64 exec, exec, s[2:3]
	v_or_b32_e32 v6, 0x80, v0
	v_mov_b32_e32 v3, s24
	v_cmp_le_u32_e32 vcc, s29, v6
	s_mov_b64 s[2:3], -1
	v_mov_b32_e32 v4, s25
	s_and_saveexec_b64 s[4:5], vcc
; %bb.39:
	v_subrev_u32_e32 v6, s29, v6
	v_cmp_gt_u32_e32 vcc, s30, v6
	v_mov_b32_e32 v3, s26
	v_mov_b32_e32 v4, s27
	s_orn2_b64 s[2:3], vcc, exec
; %bb.40:
	s_or_b64 exec, exec, s[4:5]
	s_and_saveexec_b64 s[4:5], s[2:3]
	s_cbranch_execz .LBB42_42
; %bb.41:
	v_lshlrev_b64 v[3:4], 3, v[3:4]
	v_mov_b32_e32 v16, s17
	v_add_co_u32_e32 v3, vcc, s16, v3
	v_addc_co_u32_e32 v4, vcc, v16, v4, vcc
	v_lshlrev_b32_e32 v6, 3, v6
	v_add_co_u32_e32 v3, vcc, v3, v6
	v_addc_co_u32_e32 v4, vcc, 0, v4, vcc
	global_load_dwordx2 v[3:4], v[3:4], off
	s_waitcnt vmcnt(0)
	ds_write_b64 v5, v[3:4] offset:1024
.LBB42_42:
	s_or_b64 exec, exec, s[4:5]
	v_or_b32_e32 v6, 0x100, v0
	v_mov_b32_e32 v3, s24
	v_cmp_le_u32_e32 vcc, s29, v6
	s_mov_b64 s[2:3], -1
	v_mov_b32_e32 v4, s25
	s_and_saveexec_b64 s[4:5], vcc
; %bb.43:
	v_subrev_u32_e32 v6, s29, v6
	v_cmp_gt_u32_e32 vcc, s30, v6
	v_mov_b32_e32 v3, s26
	v_mov_b32_e32 v4, s27
	s_orn2_b64 s[2:3], vcc, exec
; %bb.44:
	s_or_b64 exec, exec, s[4:5]
	s_and_saveexec_b64 s[4:5], s[2:3]
	s_cbranch_execz .LBB42_46
; %bb.45:
	v_lshlrev_b64 v[3:4], 3, v[3:4]
	v_mov_b32_e32 v16, s17
	v_add_co_u32_e32 v3, vcc, s16, v3
	v_addc_co_u32_e32 v4, vcc, v16, v4, vcc
	v_lshlrev_b32_e32 v6, 3, v6
	v_add_co_u32_e32 v3, vcc, v3, v6
	v_addc_co_u32_e32 v4, vcc, 0, v4, vcc
	global_load_dwordx2 v[3:4], v[3:4], off
	s_waitcnt vmcnt(0)
	ds_write_b64 v5, v[3:4] offset:2048
.LBB42_46:
	;; [unrolled: 29-line block ×6, first 2 shown]
	s_or_b64 exec, exec, s[4:5]
	v_or_b32_e32 v16, 0x380, v0
	v_mov_b32_e32 v3, s8
	v_cmp_le_u32_e32 vcc, s29, v16
	s_mov_b64 s[4:5], -1
	v_mov_b32_e32 v4, s9
	v_mov_b32_e32 v5, v16
	s_and_saveexec_b64 s[2:3], vcc
; %bb.63:
	v_subrev_u32_e32 v5, s29, v16
	v_cmp_gt_u32_e32 vcc, s30, v5
	v_mov_b32_e32 v3, s6
	v_mov_b32_e32 v4, s7
	s_orn2_b64 s[4:5], vcc, exec
; %bb.64:
	s_or_b64 exec, exec, s[2:3]
.LBB42_65:
	s_and_saveexec_b64 s[2:3], s[4:5]
	s_cbranch_execz .LBB42_67
; %bb.66:
	v_mov_b32_e32 v6, 0
	v_lshlrev_b64 v[5:6], 3, v[5:6]
	v_add_co_u32_e32 v3, vcc, v3, v5
	v_addc_co_u32_e32 v4, vcc, v4, v6, vcc
	global_load_dwordx2 v[3:4], v[3:4], off
	v_lshlrev_b32_e32 v5, 3, v16
	s_waitcnt vmcnt(0)
	ds_write_b64 v5, v[3:4]
.LBB42_67:
	s_or_b64 exec, exec, s[2:3]
	s_and_b64 vcc, exec, s[0:1]
	v_add_u32_e32 v3, s28, v7
	s_waitcnt lgkmcnt(0)
	s_barrier
	s_cbranch_vccnz .LBB42_69
; %bb.68:
	v_lshlrev_b32_e32 v16, 3, v15
	v_lshlrev_b32_e32 v18, 3, v14
	;; [unrolled: 1-line block ×7, first 2 shown]
	v_mov_b32_e32 v4, 0
	ds_read_b64 v[16:17], v16
	ds_read_b64 v[18:19], v18
	ds_read_b64 v[20:21], v20
	ds_read_b64 v[22:23], v22
	ds_read_b64 v[24:25], v24
	ds_read_b64 v[26:27], v26
	ds_read_b64 v[28:29], v28
	v_lshlrev_b64 v[5:6], 3, v[3:4]
	v_mov_b32_e32 v30, s19
	v_add_co_u32_e32 v5, vcc, s18, v5
	v_addc_co_u32_e32 v6, vcc, v30, v6, vcc
	s_mov_b64 s[0:1], -1
	s_waitcnt lgkmcnt(5)
	global_store_dwordx4 v[5:6], v[16:19], off
	s_waitcnt lgkmcnt(3)
	global_store_dwordx4 v[5:6], v[20:23], off offset:16
	s_waitcnt lgkmcnt(1)
	global_store_dwordx4 v[5:6], v[24:27], off offset:32
	s_waitcnt lgkmcnt(0)
	global_store_dwordx2 v[5:6], v[28:29], off offset:48
	s_cbranch_execz .LBB42_70
	s_branch .LBB42_87
.LBB42_69:
	s_mov_b64 s[0:1], 0
.LBB42_70:
	v_cmp_gt_u32_e32 vcc, s21, v7
	s_and_saveexec_b64 s[2:3], vcc
	s_cbranch_execz .LBB42_72
; %bb.71:
	v_lshlrev_b32_e32 v6, 3, v15
	v_mov_b32_e32 v4, 0
	ds_read_b64 v[15:16], v6
	v_lshlrev_b64 v[4:5], 3, v[3:4]
	v_mov_b32_e32 v17, s19
	v_add_co_u32_e32 v4, vcc, s18, v4
	v_addc_co_u32_e32 v5, vcc, v17, v5, vcc
	s_waitcnt lgkmcnt(0)
	global_store_dwordx2 v[4:5], v[15:16], off
.LBB42_72:
	s_or_b64 exec, exec, s[2:3]
	v_or_b32_e32 v4, 1, v7
	v_cmp_gt_u32_e32 vcc, s21, v4
	s_and_saveexec_b64 s[2:3], vcc
	s_cbranch_execz .LBB42_74
; %bb.73:
	v_lshlrev_b32_e32 v6, 3, v14
	v_mov_b32_e32 v4, 0
	ds_read_b64 v[14:15], v6
	v_lshlrev_b64 v[4:5], 3, v[3:4]
	v_mov_b32_e32 v16, s19
	v_add_co_u32_e32 v4, vcc, s18, v4
	v_addc_co_u32_e32 v5, vcc, v16, v5, vcc
	s_waitcnt lgkmcnt(0)
	global_store_dwordx2 v[4:5], v[14:15], off offset:8
.LBB42_74:
	s_or_b64 exec, exec, s[2:3]
	v_or_b32_e32 v4, 2, v7
	v_cmp_gt_u32_e32 vcc, s21, v4
	s_and_saveexec_b64 s[2:3], vcc
	s_cbranch_execz .LBB42_76
; %bb.75:
	v_lshlrev_b32_e32 v6, 3, v13
	v_mov_b32_e32 v4, 0
	ds_read_b64 v[13:14], v6
	v_lshlrev_b64 v[4:5], 3, v[3:4]
	v_mov_b32_e32 v15, s19
	v_add_co_u32_e32 v4, vcc, s18, v4
	v_addc_co_u32_e32 v5, vcc, v15, v5, vcc
	s_waitcnt lgkmcnt(0)
	global_store_dwordx2 v[4:5], v[13:14], off offset:16
.LBB42_76:
	;; [unrolled: 16-line block ×6, first 2 shown]
	s_or_b64 exec, exec, s[2:3]
	v_or_b32_e32 v4, 7, v7
	v_cmp_gt_u32_e32 vcc, s21, v4
	s_and_saveexec_b64 s[2:3], vcc
; %bb.85:
	v_mov_b32_e32 v4, 0
	s_or_b64 s[0:1], s[0:1], exec
; %bb.86:
	s_or_b64 exec, exec, s[2:3]
.LBB42_87:
	s_and_saveexec_b64 s[2:3], s[0:1]
	s_cbranch_execz .LBB42_89
; %bb.88:
	v_lshlrev_b32_e32 v5, 3, v8
	ds_read_b64 v[5:6], v5
	v_lshlrev_b64 v[3:4], 3, v[3:4]
	v_mov_b32_e32 v8, s19
	v_add_co_u32_e32 v3, vcc, s18, v3
	v_addc_co_u32_e32 v4, vcc, v8, v4, vcc
	s_waitcnt lgkmcnt(0)
	global_store_dwordx2 v[3:4], v[5:6], off offset:56
.LBB42_89:
	s_or_b64 exec, exec, s[2:3]
	v_lshrrev_b32_e32 v3, 2, v0
	s_add_u32 s0, s14, s28
	v_and_b32_e32 v3, 28, v3
	s_addc_u32 s1, s15, 0
	v_add_u32_e32 v3, v3, v7
	s_waitcnt vmcnt(0)
	s_barrier
	s_barrier
	ds_write2_b32 v3, v1, v2 offset1:1
	v_mov_b32_e32 v2, s1
	v_add_co_u32_e32 v1, vcc, s0, v0
	v_addc_co_u32_e32 v2, vcc, 0, v2, vcc
	s_and_b64 vcc, exec, s[22:23]
	v_add_u32_e32 v4, 4, v0
	v_add_u32_e32 v5, 8, v0
	;; [unrolled: 1-line block ×7, first 2 shown]
	s_waitcnt lgkmcnt(0)
	s_cbranch_vccz .LBB42_91
; %bb.90:
	s_barrier
	ds_read_u8 v11, v0
	ds_read_u8 v12, v4 offset:128
	ds_read_u8 v13, v5 offset:256
	;; [unrolled: 1-line block ×7, first 2 shown]
	s_waitcnt lgkmcnt(7)
	global_store_byte v[1:2], v11, off
	s_waitcnt lgkmcnt(6)
	global_store_byte v[1:2], v12, off offset:128
	s_waitcnt lgkmcnt(5)
	global_store_byte v[1:2], v13, off offset:256
	;; [unrolled: 2-line block ×6, first 2 shown]
	s_mov_b64 s[0:1], -1
	s_cbranch_execz .LBB42_92
	s_branch .LBB42_107
.LBB42_91:
	s_mov_b64 s[0:1], 0
                                        ; implicit-def: $vgpr3
.LBB42_92:
	s_waitcnt vmcnt(0) lgkmcnt(0)
	s_barrier
	ds_read_u8 v13, v4 offset:128
	ds_read_u8 v12, v5 offset:256
	;; [unrolled: 1-line block ×7, first 2 shown]
	s_sub_i32 s2, s20, s28
	v_or_b32_e32 v7, 0x80, v0
	v_cmp_gt_u32_e32 vcc, s2, v0
	s_and_saveexec_b64 s[0:1], vcc
	s_cbranch_execz .LBB42_94
; %bb.93:
	ds_read_u8 v8, v0
	s_waitcnt lgkmcnt(0)
	global_store_byte v[1:2], v8, off
.LBB42_94:
	s_or_b64 exec, exec, s[0:1]
	v_or_b32_e32 v8, 0x100, v0
	v_cmp_gt_u32_e32 vcc, s2, v7
	s_and_saveexec_b64 s[0:1], vcc
	s_cbranch_execz .LBB42_96
; %bb.95:
	s_waitcnt lgkmcnt(6)
	global_store_byte v[1:2], v13, off offset:128
.LBB42_96:
	s_or_b64 exec, exec, s[0:1]
	v_or_b32_e32 v7, 0x180, v0
	v_cmp_gt_u32_e32 vcc, s2, v8
	s_and_saveexec_b64 s[0:1], vcc
	s_cbranch_execz .LBB42_98
; %bb.97:
	s_waitcnt lgkmcnt(5)
	global_store_byte v[1:2], v12, off offset:256
.LBB42_98:
	;; [unrolled: 9-line block ×4, first 2 shown]
	s_or_b64 exec, exec, s[0:1]
	s_waitcnt lgkmcnt(3)
	v_or_b32_e32 v6, 0x300, v0
	v_cmp_gt_u32_e32 vcc, s2, v7
	s_and_saveexec_b64 s[0:1], vcc
	s_cbranch_execz .LBB42_104
; %bb.103:
	s_waitcnt lgkmcnt(2)
	global_store_byte v[1:2], v5, off offset:640
.LBB42_104:
	s_or_b64 exec, exec, s[0:1]
	v_or_b32_e32 v0, 0x380, v0
	v_cmp_gt_u32_e32 vcc, s2, v6
	s_and_saveexec_b64 s[0:1], vcc
	s_cbranch_execz .LBB42_106
; %bb.105:
	s_waitcnt lgkmcnt(1)
	global_store_byte v[1:2], v4, off offset:768
.LBB42_106:
	s_or_b64 exec, exec, s[0:1]
	v_cmp_gt_u32_e64 s[0:1], s2, v0
.LBB42_107:
	s_and_saveexec_b64 s[2:3], s[0:1]
	s_cbranch_execz .LBB42_109
; %bb.108:
	s_waitcnt lgkmcnt(0)
	global_store_byte v[1:2], v3, off offset:896
.LBB42_109:
	s_endpgm
.LBB42_110:
	v_mov_b32_e32 v1, s7
	v_add_co_u32_e32 v6, vcc, s5, v0
	v_addc_co_u32_e32 v1, vcc, 0, v1, vcc
	v_subrev_co_u32_e32 v2, vcc, s29, v0
	v_mov_b32_e32 v7, s8
	v_add_co_u32_e64 v8, s[0:1], s4, v2
	v_addc_co_u32_e64 v2, s[0:1], 0, v7, s[0:1]
	v_cndmask_b32_e32 v2, v2, v1, vcc
	v_cndmask_b32_e32 v1, v8, v6, vcc
	global_load_ubyte v1, v[1:2], off
	v_mov_b32_e32 v2, s6
	s_waitcnt vmcnt(0)
	v_and_b32_e32 v1, 0xffff, v1
	s_or_b64 exec, exec, s[2:3]
	v_cmp_gt_u32_e32 vcc, s21, v5
	s_and_saveexec_b64 s[2:3], vcc
	s_cbranch_execz .LBB42_6
.LBB42_111:
	v_mov_b32_e32 v6, s7
	v_add_co_u32_e32 v7, vcc, s5, v5
	v_addc_co_u32_e32 v6, vcc, 0, v6, vcc
	v_subrev_co_u32_e32 v5, vcc, s29, v5
	v_mov_b32_e32 v8, s8
	v_add_co_u32_e64 v5, s[0:1], s4, v5
	v_addc_co_u32_e64 v8, s[0:1], 0, v8, s[0:1]
	v_cndmask_b32_e32 v6, v8, v6, vcc
	v_cndmask_b32_e32 v5, v5, v7, vcc
	global_load_ubyte v5, v[5:6], off
	s_mov_b32 s0, 0x7060004
	s_waitcnt vmcnt(0)
	v_perm_b32 v1, v1, v5, s0
	s_or_b64 exec, exec, s[2:3]
	v_cmp_gt_u32_e32 vcc, s21, v4
	s_and_saveexec_b64 s[2:3], vcc
	s_cbranch_execnz .LBB42_7
	s_branch .LBB42_8
	.section	.rodata,"a",@progbits
	.p2align	6, 0x0
	.amdhsa_kernel _ZN7rocprim17ROCPRIM_304000_NS6detail35device_block_merge_mergepath_kernelINS1_37wrapped_merge_sort_block_merge_configINS0_14default_configEaN2at4cuda3cub6detail10OpaqueTypeILi8EEEEEPaSC_PSA_SD_jNS1_19radix_merge_compareILb0ELb0EaNS0_19identity_decomposerEEEEEvT0_T1_T2_T3_T4_SL_jT5_PKSL_NS1_7vsmem_tE
		.amdhsa_group_segment_fixed_size 8208
		.amdhsa_private_segment_fixed_size 0
		.amdhsa_kernarg_size 320
		.amdhsa_user_sgpr_count 6
		.amdhsa_user_sgpr_private_segment_buffer 1
		.amdhsa_user_sgpr_dispatch_ptr 0
		.amdhsa_user_sgpr_queue_ptr 0
		.amdhsa_user_sgpr_kernarg_segment_ptr 1
		.amdhsa_user_sgpr_dispatch_id 0
		.amdhsa_user_sgpr_flat_scratch_init 0
		.amdhsa_user_sgpr_private_segment_size 0
		.amdhsa_uses_dynamic_stack 0
		.amdhsa_system_sgpr_private_segment_wavefront_offset 0
		.amdhsa_system_sgpr_workgroup_id_x 1
		.amdhsa_system_sgpr_workgroup_id_y 1
		.amdhsa_system_sgpr_workgroup_id_z 1
		.amdhsa_system_sgpr_workgroup_info 0
		.amdhsa_system_vgpr_workitem_id 0
		.amdhsa_next_free_vgpr 49
		.amdhsa_next_free_sgpr 98
		.amdhsa_reserve_vcc 1
		.amdhsa_reserve_flat_scratch 0
		.amdhsa_float_round_mode_32 0
		.amdhsa_float_round_mode_16_64 0
		.amdhsa_float_denorm_mode_32 3
		.amdhsa_float_denorm_mode_16_64 3
		.amdhsa_dx10_clamp 1
		.amdhsa_ieee_mode 1
		.amdhsa_fp16_overflow 0
		.amdhsa_exception_fp_ieee_invalid_op 0
		.amdhsa_exception_fp_denorm_src 0
		.amdhsa_exception_fp_ieee_div_zero 0
		.amdhsa_exception_fp_ieee_overflow 0
		.amdhsa_exception_fp_ieee_underflow 0
		.amdhsa_exception_fp_ieee_inexact 0
		.amdhsa_exception_int_div_zero 0
	.end_amdhsa_kernel
	.section	.text._ZN7rocprim17ROCPRIM_304000_NS6detail35device_block_merge_mergepath_kernelINS1_37wrapped_merge_sort_block_merge_configINS0_14default_configEaN2at4cuda3cub6detail10OpaqueTypeILi8EEEEEPaSC_PSA_SD_jNS1_19radix_merge_compareILb0ELb0EaNS0_19identity_decomposerEEEEEvT0_T1_T2_T3_T4_SL_jT5_PKSL_NS1_7vsmem_tE,"axG",@progbits,_ZN7rocprim17ROCPRIM_304000_NS6detail35device_block_merge_mergepath_kernelINS1_37wrapped_merge_sort_block_merge_configINS0_14default_configEaN2at4cuda3cub6detail10OpaqueTypeILi8EEEEEPaSC_PSA_SD_jNS1_19radix_merge_compareILb0ELb0EaNS0_19identity_decomposerEEEEEvT0_T1_T2_T3_T4_SL_jT5_PKSL_NS1_7vsmem_tE,comdat
.Lfunc_end42:
	.size	_ZN7rocprim17ROCPRIM_304000_NS6detail35device_block_merge_mergepath_kernelINS1_37wrapped_merge_sort_block_merge_configINS0_14default_configEaN2at4cuda3cub6detail10OpaqueTypeILi8EEEEEPaSC_PSA_SD_jNS1_19radix_merge_compareILb0ELb0EaNS0_19identity_decomposerEEEEEvT0_T1_T2_T3_T4_SL_jT5_PKSL_NS1_7vsmem_tE, .Lfunc_end42-_ZN7rocprim17ROCPRIM_304000_NS6detail35device_block_merge_mergepath_kernelINS1_37wrapped_merge_sort_block_merge_configINS0_14default_configEaN2at4cuda3cub6detail10OpaqueTypeILi8EEEEEPaSC_PSA_SD_jNS1_19radix_merge_compareILb0ELb0EaNS0_19identity_decomposerEEEEEvT0_T1_T2_T3_T4_SL_jT5_PKSL_NS1_7vsmem_tE
                                        ; -- End function
	.set _ZN7rocprim17ROCPRIM_304000_NS6detail35device_block_merge_mergepath_kernelINS1_37wrapped_merge_sort_block_merge_configINS0_14default_configEaN2at4cuda3cub6detail10OpaqueTypeILi8EEEEEPaSC_PSA_SD_jNS1_19radix_merge_compareILb0ELb0EaNS0_19identity_decomposerEEEEEvT0_T1_T2_T3_T4_SL_jT5_PKSL_NS1_7vsmem_tE.num_vgpr, 31
	.set _ZN7rocprim17ROCPRIM_304000_NS6detail35device_block_merge_mergepath_kernelINS1_37wrapped_merge_sort_block_merge_configINS0_14default_configEaN2at4cuda3cub6detail10OpaqueTypeILi8EEEEEPaSC_PSA_SD_jNS1_19radix_merge_compareILb0ELb0EaNS0_19identity_decomposerEEEEEvT0_T1_T2_T3_T4_SL_jT5_PKSL_NS1_7vsmem_tE.num_agpr, 0
	.set _ZN7rocprim17ROCPRIM_304000_NS6detail35device_block_merge_mergepath_kernelINS1_37wrapped_merge_sort_block_merge_configINS0_14default_configEaN2at4cuda3cub6detail10OpaqueTypeILi8EEEEEPaSC_PSA_SD_jNS1_19radix_merge_compareILb0ELb0EaNS0_19identity_decomposerEEEEEvT0_T1_T2_T3_T4_SL_jT5_PKSL_NS1_7vsmem_tE.numbered_sgpr, 36
	.set _ZN7rocprim17ROCPRIM_304000_NS6detail35device_block_merge_mergepath_kernelINS1_37wrapped_merge_sort_block_merge_configINS0_14default_configEaN2at4cuda3cub6detail10OpaqueTypeILi8EEEEEPaSC_PSA_SD_jNS1_19radix_merge_compareILb0ELb0EaNS0_19identity_decomposerEEEEEvT0_T1_T2_T3_T4_SL_jT5_PKSL_NS1_7vsmem_tE.num_named_barrier, 0
	.set _ZN7rocprim17ROCPRIM_304000_NS6detail35device_block_merge_mergepath_kernelINS1_37wrapped_merge_sort_block_merge_configINS0_14default_configEaN2at4cuda3cub6detail10OpaqueTypeILi8EEEEEPaSC_PSA_SD_jNS1_19radix_merge_compareILb0ELb0EaNS0_19identity_decomposerEEEEEvT0_T1_T2_T3_T4_SL_jT5_PKSL_NS1_7vsmem_tE.private_seg_size, 0
	.set _ZN7rocprim17ROCPRIM_304000_NS6detail35device_block_merge_mergepath_kernelINS1_37wrapped_merge_sort_block_merge_configINS0_14default_configEaN2at4cuda3cub6detail10OpaqueTypeILi8EEEEEPaSC_PSA_SD_jNS1_19radix_merge_compareILb0ELb0EaNS0_19identity_decomposerEEEEEvT0_T1_T2_T3_T4_SL_jT5_PKSL_NS1_7vsmem_tE.uses_vcc, 1
	.set _ZN7rocprim17ROCPRIM_304000_NS6detail35device_block_merge_mergepath_kernelINS1_37wrapped_merge_sort_block_merge_configINS0_14default_configEaN2at4cuda3cub6detail10OpaqueTypeILi8EEEEEPaSC_PSA_SD_jNS1_19radix_merge_compareILb0ELb0EaNS0_19identity_decomposerEEEEEvT0_T1_T2_T3_T4_SL_jT5_PKSL_NS1_7vsmem_tE.uses_flat_scratch, 0
	.set _ZN7rocprim17ROCPRIM_304000_NS6detail35device_block_merge_mergepath_kernelINS1_37wrapped_merge_sort_block_merge_configINS0_14default_configEaN2at4cuda3cub6detail10OpaqueTypeILi8EEEEEPaSC_PSA_SD_jNS1_19radix_merge_compareILb0ELb0EaNS0_19identity_decomposerEEEEEvT0_T1_T2_T3_T4_SL_jT5_PKSL_NS1_7vsmem_tE.has_dyn_sized_stack, 0
	.set _ZN7rocprim17ROCPRIM_304000_NS6detail35device_block_merge_mergepath_kernelINS1_37wrapped_merge_sort_block_merge_configINS0_14default_configEaN2at4cuda3cub6detail10OpaqueTypeILi8EEEEEPaSC_PSA_SD_jNS1_19radix_merge_compareILb0ELb0EaNS0_19identity_decomposerEEEEEvT0_T1_T2_T3_T4_SL_jT5_PKSL_NS1_7vsmem_tE.has_recursion, 0
	.set _ZN7rocprim17ROCPRIM_304000_NS6detail35device_block_merge_mergepath_kernelINS1_37wrapped_merge_sort_block_merge_configINS0_14default_configEaN2at4cuda3cub6detail10OpaqueTypeILi8EEEEEPaSC_PSA_SD_jNS1_19radix_merge_compareILb0ELb0EaNS0_19identity_decomposerEEEEEvT0_T1_T2_T3_T4_SL_jT5_PKSL_NS1_7vsmem_tE.has_indirect_call, 0
	.section	.AMDGPU.csdata,"",@progbits
; Kernel info:
; codeLenInByte = 5600
; TotalNumSgprs: 40
; NumVgprs: 31
; ScratchSize: 0
; MemoryBound: 0
; FloatMode: 240
; IeeeMode: 1
; LDSByteSize: 8208 bytes/workgroup (compile time only)
; SGPRBlocks: 12
; VGPRBlocks: 12
; NumSGPRsForWavesPerEU: 102
; NumVGPRsForWavesPerEU: 49
; Occupancy: 4
; WaveLimiterHint : 1
; COMPUTE_PGM_RSRC2:SCRATCH_EN: 0
; COMPUTE_PGM_RSRC2:USER_SGPR: 6
; COMPUTE_PGM_RSRC2:TRAP_HANDLER: 0
; COMPUTE_PGM_RSRC2:TGID_X_EN: 1
; COMPUTE_PGM_RSRC2:TGID_Y_EN: 1
; COMPUTE_PGM_RSRC2:TGID_Z_EN: 1
; COMPUTE_PGM_RSRC2:TIDIG_COMP_CNT: 0
	.section	.text._ZN7rocprim17ROCPRIM_304000_NS6detail33device_block_merge_oddeven_kernelINS1_37wrapped_merge_sort_block_merge_configINS0_14default_configEaN2at4cuda3cub6detail10OpaqueTypeILi8EEEEEPaSC_PSA_SD_jNS1_19radix_merge_compareILb0ELb0EaNS0_19identity_decomposerEEEEEvT0_T1_T2_T3_T4_SL_T5_,"axG",@progbits,_ZN7rocprim17ROCPRIM_304000_NS6detail33device_block_merge_oddeven_kernelINS1_37wrapped_merge_sort_block_merge_configINS0_14default_configEaN2at4cuda3cub6detail10OpaqueTypeILi8EEEEEPaSC_PSA_SD_jNS1_19radix_merge_compareILb0ELb0EaNS0_19identity_decomposerEEEEEvT0_T1_T2_T3_T4_SL_T5_,comdat
	.protected	_ZN7rocprim17ROCPRIM_304000_NS6detail33device_block_merge_oddeven_kernelINS1_37wrapped_merge_sort_block_merge_configINS0_14default_configEaN2at4cuda3cub6detail10OpaqueTypeILi8EEEEEPaSC_PSA_SD_jNS1_19radix_merge_compareILb0ELb0EaNS0_19identity_decomposerEEEEEvT0_T1_T2_T3_T4_SL_T5_ ; -- Begin function _ZN7rocprim17ROCPRIM_304000_NS6detail33device_block_merge_oddeven_kernelINS1_37wrapped_merge_sort_block_merge_configINS0_14default_configEaN2at4cuda3cub6detail10OpaqueTypeILi8EEEEEPaSC_PSA_SD_jNS1_19radix_merge_compareILb0ELb0EaNS0_19identity_decomposerEEEEEvT0_T1_T2_T3_T4_SL_T5_
	.globl	_ZN7rocprim17ROCPRIM_304000_NS6detail33device_block_merge_oddeven_kernelINS1_37wrapped_merge_sort_block_merge_configINS0_14default_configEaN2at4cuda3cub6detail10OpaqueTypeILi8EEEEEPaSC_PSA_SD_jNS1_19radix_merge_compareILb0ELb0EaNS0_19identity_decomposerEEEEEvT0_T1_T2_T3_T4_SL_T5_
	.p2align	8
	.type	_ZN7rocprim17ROCPRIM_304000_NS6detail33device_block_merge_oddeven_kernelINS1_37wrapped_merge_sort_block_merge_configINS0_14default_configEaN2at4cuda3cub6detail10OpaqueTypeILi8EEEEEPaSC_PSA_SD_jNS1_19radix_merge_compareILb0ELb0EaNS0_19identity_decomposerEEEEEvT0_T1_T2_T3_T4_SL_T5_,@function
_ZN7rocprim17ROCPRIM_304000_NS6detail33device_block_merge_oddeven_kernelINS1_37wrapped_merge_sort_block_merge_configINS0_14default_configEaN2at4cuda3cub6detail10OpaqueTypeILi8EEEEEPaSC_PSA_SD_jNS1_19radix_merge_compareILb0ELb0EaNS0_19identity_decomposerEEEEEvT0_T1_T2_T3_T4_SL_T5_: ; @_ZN7rocprim17ROCPRIM_304000_NS6detail33device_block_merge_oddeven_kernelINS1_37wrapped_merge_sort_block_merge_configINS0_14default_configEaN2at4cuda3cub6detail10OpaqueTypeILi8EEEEEPaSC_PSA_SD_jNS1_19radix_merge_compareILb0ELb0EaNS0_19identity_decomposerEEEEEvT0_T1_T2_T3_T4_SL_T5_
; %bb.0:
	s_load_dwordx2 s[18:19], s[4:5], 0x20
	s_waitcnt lgkmcnt(0)
	s_lshr_b32 s0, s18, 8
	s_cmp_eq_u32 s6, s0
	s_cselect_b64 s[16:17], -1, 0
	s_cmp_lg_u32 s6, s0
	s_cselect_b64 s[0:1], -1, 0
	s_lshl_b32 s20, s6, 8
	s_sub_i32 s2, s18, s20
	v_cmp_gt_u32_e64 s[2:3], s2, v0
	s_or_b64 s[0:1], s[0:1], s[2:3]
	s_and_saveexec_b64 s[8:9], s[0:1]
	s_cbranch_execz .LBB43_24
; %bb.1:
	s_load_dwordx8 s[8:15], s[4:5], 0x0
	s_mov_b32 s21, 0
	v_lshlrev_b32_e32 v3, 3, v0
	s_waitcnt lgkmcnt(0)
	s_add_u32 s0, s8, s20
	s_addc_u32 s1, s9, 0
	s_lshl_b64 s[4:5], s[20:21], 3
	s_add_u32 s4, s12, s4
	s_addc_u32 s5, s13, s5
	global_load_dwordx2 v[1:2], v3, s[4:5]
	global_load_sbyte v5, v0, s[0:1]
	s_lshr_b32 s0, s19, 8
	s_sub_i32 s1, 0, s0
	s_and_b32 s1, s6, s1
	s_and_b32 s0, s1, s0
	s_lshl_b32 s13, s1, 8
	s_sub_i32 s6, 0, s19
	s_cmp_eq_u32 s0, 0
	s_cselect_b64 s[0:1], -1, 0
	s_and_b64 s[4:5], s[0:1], exec
	s_cselect_b32 s6, s19, s6
	s_add_i32 s6, s6, s13
	s_mov_b64 s[4:5], -1
	s_cmp_gt_u32 s18, s6
	v_add_u32_e32 v3, s20, v0
	s_cbranch_scc1 .LBB43_9
; %bb.2:
	s_and_b64 vcc, exec, s[16:17]
	s_cbranch_vccz .LBB43_6
; %bb.3:
	v_cmp_gt_u32_e32 vcc, s18, v3
	s_and_saveexec_b64 s[4:5], vcc
	s_cbranch_execz .LBB43_5
; %bb.4:
	v_mov_b32_e32 v4, 0
	v_lshlrev_b64 v[6:7], 3, v[3:4]
	v_mov_b32_e32 v0, s15
	v_add_co_u32_e32 v6, vcc, s14, v6
	v_addc_co_u32_e32 v7, vcc, v0, v7, vcc
	s_waitcnt vmcnt(0)
	global_store_byte v3, v5, s[10:11]
	global_store_dwordx2 v[6:7], v[1:2], off
.LBB43_5:
	s_or_b64 exec, exec, s[4:5]
	s_mov_b64 s[4:5], 0
.LBB43_6:
	s_andn2_b64 vcc, exec, s[4:5]
	s_cbranch_vccnz .LBB43_8
; %bb.7:
	v_mov_b32_e32 v4, 0
	v_lshlrev_b64 v[6:7], 3, v[3:4]
	v_mov_b32_e32 v0, s15
	v_add_co_u32_e32 v6, vcc, s14, v6
	v_addc_co_u32_e32 v7, vcc, v0, v7, vcc
	s_waitcnt vmcnt(0)
	global_store_byte v3, v5, s[10:11]
	global_store_dwordx2 v[6:7], v[1:2], off
.LBB43_8:
	s_mov_b64 s[4:5], 0
.LBB43_9:
	s_andn2_b64 vcc, exec, s[4:5]
	s_cbranch_vccnz .LBB43_24
; %bb.10:
	s_min_u32 s7, s6, s18
	s_add_i32 s4, s7, s19
	s_min_u32 s12, s4, s18
	s_min_u32 s4, s13, s7
	s_add_i32 s13, s13, s7
	v_subrev_u32_e32 v0, s13, v3
	v_add_u32_e32 v0, s4, v0
	s_andn2_b64 vcc, exec, s[16:17]
	s_mov_b64 s[4:5], -1
	s_cbranch_vccnz .LBB43_18
; %bb.11:
	s_and_saveexec_b64 s[4:5], s[2:3]
	s_cbranch_execz .LBB43_17
; %bb.12:
	s_cmp_ge_u32 s6, s12
	v_mov_b32_e32 v3, s7
	s_cbranch_scc1 .LBB43_16
; %bb.13:
	s_mov_b64 s[2:3], 0
	v_mov_b32_e32 v4, s12
	v_mov_b32_e32 v3, s7
.LBB43_14:                              ; =>This Inner Loop Header: Depth=1
	v_add_u32_e32 v6, v3, v4
	v_lshrrev_b32_e32 v6, 1, v6
	global_load_sbyte v7, v6, s[8:9]
	v_add_u32_e32 v8, 1, v6
	s_waitcnt vmcnt(0)
	v_cmp_gt_i16_e32 vcc, v5, v7
	v_cndmask_b32_e64 v9, 0, 1, vcc
	v_cmp_le_i16_e32 vcc, v7, v5
	v_cndmask_b32_e64 v7, 0, 1, vcc
	v_cndmask_b32_e64 v7, v7, v9, s[0:1]
	v_and_b32_e32 v7, 1, v7
	v_cmp_eq_u32_e32 vcc, 1, v7
	v_cndmask_b32_e32 v4, v6, v4, vcc
	v_cndmask_b32_e32 v3, v3, v8, vcc
	v_cmp_ge_u32_e32 vcc, v3, v4
	s_or_b64 s[2:3], vcc, s[2:3]
	s_andn2_b64 exec, exec, s[2:3]
	s_cbranch_execnz .LBB43_14
; %bb.15:
	s_or_b64 exec, exec, s[2:3]
.LBB43_16:
	v_add_u32_e32 v3, v3, v0
	v_mov_b32_e32 v4, 0
	s_waitcnt vmcnt(0)
	global_store_byte v3, v5, s[10:11]
	v_lshlrev_b64 v[3:4], 3, v[3:4]
	v_mov_b32_e32 v6, s15
	v_add_co_u32_e32 v3, vcc, s14, v3
	v_addc_co_u32_e32 v4, vcc, v6, v4, vcc
	global_store_dwordx2 v[3:4], v[1:2], off
.LBB43_17:
	s_or_b64 exec, exec, s[4:5]
	s_mov_b64 s[4:5], 0
.LBB43_18:
	s_andn2_b64 vcc, exec, s[4:5]
	s_cbranch_vccnz .LBB43_24
; %bb.19:
	s_cmp_ge_u32 s6, s12
	v_mov_b32_e32 v3, s7
	s_cbranch_scc1 .LBB43_23
; %bb.20:
	s_mov_b64 s[2:3], 0
	v_mov_b32_e32 v4, s12
	v_mov_b32_e32 v3, s7
.LBB43_21:                              ; =>This Inner Loop Header: Depth=1
	v_add_u32_e32 v6, v3, v4
	v_lshrrev_b32_e32 v6, 1, v6
	global_load_sbyte v7, v6, s[8:9]
	v_add_u32_e32 v8, 1, v6
	s_waitcnt vmcnt(0)
	v_cmp_gt_i16_e32 vcc, v5, v7
	v_cndmask_b32_e64 v9, 0, 1, vcc
	v_cmp_le_i16_e32 vcc, v7, v5
	v_cndmask_b32_e64 v7, 0, 1, vcc
	v_cndmask_b32_e64 v7, v7, v9, s[0:1]
	v_and_b32_e32 v7, 1, v7
	v_cmp_eq_u32_e32 vcc, 1, v7
	v_cndmask_b32_e32 v4, v6, v4, vcc
	v_cndmask_b32_e32 v3, v3, v8, vcc
	v_cmp_ge_u32_e32 vcc, v3, v4
	s_or_b64 s[2:3], vcc, s[2:3]
	s_andn2_b64 exec, exec, s[2:3]
	s_cbranch_execnz .LBB43_21
; %bb.22:
	s_or_b64 exec, exec, s[2:3]
.LBB43_23:
	v_add_u32_e32 v3, v3, v0
	v_mov_b32_e32 v4, 0
	s_waitcnt vmcnt(0)
	global_store_byte v3, v5, s[10:11]
	v_lshlrev_b64 v[3:4], 3, v[3:4]
	v_mov_b32_e32 v0, s15
	v_add_co_u32_e32 v3, vcc, s14, v3
	v_addc_co_u32_e32 v4, vcc, v0, v4, vcc
	global_store_dwordx2 v[3:4], v[1:2], off
.LBB43_24:
	s_endpgm
	.section	.rodata,"a",@progbits
	.p2align	6, 0x0
	.amdhsa_kernel _ZN7rocprim17ROCPRIM_304000_NS6detail33device_block_merge_oddeven_kernelINS1_37wrapped_merge_sort_block_merge_configINS0_14default_configEaN2at4cuda3cub6detail10OpaqueTypeILi8EEEEEPaSC_PSA_SD_jNS1_19radix_merge_compareILb0ELb0EaNS0_19identity_decomposerEEEEEvT0_T1_T2_T3_T4_SL_T5_
		.amdhsa_group_segment_fixed_size 0
		.amdhsa_private_segment_fixed_size 0
		.amdhsa_kernarg_size 44
		.amdhsa_user_sgpr_count 6
		.amdhsa_user_sgpr_private_segment_buffer 1
		.amdhsa_user_sgpr_dispatch_ptr 0
		.amdhsa_user_sgpr_queue_ptr 0
		.amdhsa_user_sgpr_kernarg_segment_ptr 1
		.amdhsa_user_sgpr_dispatch_id 0
		.amdhsa_user_sgpr_flat_scratch_init 0
		.amdhsa_user_sgpr_private_segment_size 0
		.amdhsa_uses_dynamic_stack 0
		.amdhsa_system_sgpr_private_segment_wavefront_offset 0
		.amdhsa_system_sgpr_workgroup_id_x 1
		.amdhsa_system_sgpr_workgroup_id_y 0
		.amdhsa_system_sgpr_workgroup_id_z 0
		.amdhsa_system_sgpr_workgroup_info 0
		.amdhsa_system_vgpr_workitem_id 0
		.amdhsa_next_free_vgpr 10
		.amdhsa_next_free_sgpr 22
		.amdhsa_reserve_vcc 1
		.amdhsa_reserve_flat_scratch 0
		.amdhsa_float_round_mode_32 0
		.amdhsa_float_round_mode_16_64 0
		.amdhsa_float_denorm_mode_32 3
		.amdhsa_float_denorm_mode_16_64 3
		.amdhsa_dx10_clamp 1
		.amdhsa_ieee_mode 1
		.amdhsa_fp16_overflow 0
		.amdhsa_exception_fp_ieee_invalid_op 0
		.amdhsa_exception_fp_denorm_src 0
		.amdhsa_exception_fp_ieee_div_zero 0
		.amdhsa_exception_fp_ieee_overflow 0
		.amdhsa_exception_fp_ieee_underflow 0
		.amdhsa_exception_fp_ieee_inexact 0
		.amdhsa_exception_int_div_zero 0
	.end_amdhsa_kernel
	.section	.text._ZN7rocprim17ROCPRIM_304000_NS6detail33device_block_merge_oddeven_kernelINS1_37wrapped_merge_sort_block_merge_configINS0_14default_configEaN2at4cuda3cub6detail10OpaqueTypeILi8EEEEEPaSC_PSA_SD_jNS1_19radix_merge_compareILb0ELb0EaNS0_19identity_decomposerEEEEEvT0_T1_T2_T3_T4_SL_T5_,"axG",@progbits,_ZN7rocprim17ROCPRIM_304000_NS6detail33device_block_merge_oddeven_kernelINS1_37wrapped_merge_sort_block_merge_configINS0_14default_configEaN2at4cuda3cub6detail10OpaqueTypeILi8EEEEEPaSC_PSA_SD_jNS1_19radix_merge_compareILb0ELb0EaNS0_19identity_decomposerEEEEEvT0_T1_T2_T3_T4_SL_T5_,comdat
.Lfunc_end43:
	.size	_ZN7rocprim17ROCPRIM_304000_NS6detail33device_block_merge_oddeven_kernelINS1_37wrapped_merge_sort_block_merge_configINS0_14default_configEaN2at4cuda3cub6detail10OpaqueTypeILi8EEEEEPaSC_PSA_SD_jNS1_19radix_merge_compareILb0ELb0EaNS0_19identity_decomposerEEEEEvT0_T1_T2_T3_T4_SL_T5_, .Lfunc_end43-_ZN7rocprim17ROCPRIM_304000_NS6detail33device_block_merge_oddeven_kernelINS1_37wrapped_merge_sort_block_merge_configINS0_14default_configEaN2at4cuda3cub6detail10OpaqueTypeILi8EEEEEPaSC_PSA_SD_jNS1_19radix_merge_compareILb0ELb0EaNS0_19identity_decomposerEEEEEvT0_T1_T2_T3_T4_SL_T5_
                                        ; -- End function
	.set _ZN7rocprim17ROCPRIM_304000_NS6detail33device_block_merge_oddeven_kernelINS1_37wrapped_merge_sort_block_merge_configINS0_14default_configEaN2at4cuda3cub6detail10OpaqueTypeILi8EEEEEPaSC_PSA_SD_jNS1_19radix_merge_compareILb0ELb0EaNS0_19identity_decomposerEEEEEvT0_T1_T2_T3_T4_SL_T5_.num_vgpr, 10
	.set _ZN7rocprim17ROCPRIM_304000_NS6detail33device_block_merge_oddeven_kernelINS1_37wrapped_merge_sort_block_merge_configINS0_14default_configEaN2at4cuda3cub6detail10OpaqueTypeILi8EEEEEPaSC_PSA_SD_jNS1_19radix_merge_compareILb0ELb0EaNS0_19identity_decomposerEEEEEvT0_T1_T2_T3_T4_SL_T5_.num_agpr, 0
	.set _ZN7rocprim17ROCPRIM_304000_NS6detail33device_block_merge_oddeven_kernelINS1_37wrapped_merge_sort_block_merge_configINS0_14default_configEaN2at4cuda3cub6detail10OpaqueTypeILi8EEEEEPaSC_PSA_SD_jNS1_19radix_merge_compareILb0ELb0EaNS0_19identity_decomposerEEEEEvT0_T1_T2_T3_T4_SL_T5_.numbered_sgpr, 22
	.set _ZN7rocprim17ROCPRIM_304000_NS6detail33device_block_merge_oddeven_kernelINS1_37wrapped_merge_sort_block_merge_configINS0_14default_configEaN2at4cuda3cub6detail10OpaqueTypeILi8EEEEEPaSC_PSA_SD_jNS1_19radix_merge_compareILb0ELb0EaNS0_19identity_decomposerEEEEEvT0_T1_T2_T3_T4_SL_T5_.num_named_barrier, 0
	.set _ZN7rocprim17ROCPRIM_304000_NS6detail33device_block_merge_oddeven_kernelINS1_37wrapped_merge_sort_block_merge_configINS0_14default_configEaN2at4cuda3cub6detail10OpaqueTypeILi8EEEEEPaSC_PSA_SD_jNS1_19radix_merge_compareILb0ELb0EaNS0_19identity_decomposerEEEEEvT0_T1_T2_T3_T4_SL_T5_.private_seg_size, 0
	.set _ZN7rocprim17ROCPRIM_304000_NS6detail33device_block_merge_oddeven_kernelINS1_37wrapped_merge_sort_block_merge_configINS0_14default_configEaN2at4cuda3cub6detail10OpaqueTypeILi8EEEEEPaSC_PSA_SD_jNS1_19radix_merge_compareILb0ELb0EaNS0_19identity_decomposerEEEEEvT0_T1_T2_T3_T4_SL_T5_.uses_vcc, 1
	.set _ZN7rocprim17ROCPRIM_304000_NS6detail33device_block_merge_oddeven_kernelINS1_37wrapped_merge_sort_block_merge_configINS0_14default_configEaN2at4cuda3cub6detail10OpaqueTypeILi8EEEEEPaSC_PSA_SD_jNS1_19radix_merge_compareILb0ELb0EaNS0_19identity_decomposerEEEEEvT0_T1_T2_T3_T4_SL_T5_.uses_flat_scratch, 0
	.set _ZN7rocprim17ROCPRIM_304000_NS6detail33device_block_merge_oddeven_kernelINS1_37wrapped_merge_sort_block_merge_configINS0_14default_configEaN2at4cuda3cub6detail10OpaqueTypeILi8EEEEEPaSC_PSA_SD_jNS1_19radix_merge_compareILb0ELb0EaNS0_19identity_decomposerEEEEEvT0_T1_T2_T3_T4_SL_T5_.has_dyn_sized_stack, 0
	.set _ZN7rocprim17ROCPRIM_304000_NS6detail33device_block_merge_oddeven_kernelINS1_37wrapped_merge_sort_block_merge_configINS0_14default_configEaN2at4cuda3cub6detail10OpaqueTypeILi8EEEEEPaSC_PSA_SD_jNS1_19radix_merge_compareILb0ELb0EaNS0_19identity_decomposerEEEEEvT0_T1_T2_T3_T4_SL_T5_.has_recursion, 0
	.set _ZN7rocprim17ROCPRIM_304000_NS6detail33device_block_merge_oddeven_kernelINS1_37wrapped_merge_sort_block_merge_configINS0_14default_configEaN2at4cuda3cub6detail10OpaqueTypeILi8EEEEEPaSC_PSA_SD_jNS1_19radix_merge_compareILb0ELb0EaNS0_19identity_decomposerEEEEEvT0_T1_T2_T3_T4_SL_T5_.has_indirect_call, 0
	.section	.AMDGPU.csdata,"",@progbits
; Kernel info:
; codeLenInByte = 708
; TotalNumSgprs: 26
; NumVgprs: 10
; ScratchSize: 0
; MemoryBound: 0
; FloatMode: 240
; IeeeMode: 1
; LDSByteSize: 0 bytes/workgroup (compile time only)
; SGPRBlocks: 3
; VGPRBlocks: 2
; NumSGPRsForWavesPerEU: 26
; NumVGPRsForWavesPerEU: 10
; Occupancy: 10
; WaveLimiterHint : 0
; COMPUTE_PGM_RSRC2:SCRATCH_EN: 0
; COMPUTE_PGM_RSRC2:USER_SGPR: 6
; COMPUTE_PGM_RSRC2:TRAP_HANDLER: 0
; COMPUTE_PGM_RSRC2:TGID_X_EN: 1
; COMPUTE_PGM_RSRC2:TGID_Y_EN: 0
; COMPUTE_PGM_RSRC2:TGID_Z_EN: 0
; COMPUTE_PGM_RSRC2:TIDIG_COMP_CNT: 0
	.section	.text._ZN7rocprim17ROCPRIM_304000_NS6detail45device_block_merge_mergepath_partition_kernelINS1_37wrapped_merge_sort_block_merge_configINS0_14default_configEaN2at4cuda3cub6detail10OpaqueTypeILi8EEEEEPajNS1_19radix_merge_compareILb0ELb1EaNS0_19identity_decomposerEEEEEvT0_T1_jPSH_T2_SH_,"axG",@progbits,_ZN7rocprim17ROCPRIM_304000_NS6detail45device_block_merge_mergepath_partition_kernelINS1_37wrapped_merge_sort_block_merge_configINS0_14default_configEaN2at4cuda3cub6detail10OpaqueTypeILi8EEEEEPajNS1_19radix_merge_compareILb0ELb1EaNS0_19identity_decomposerEEEEEvT0_T1_jPSH_T2_SH_,comdat
	.protected	_ZN7rocprim17ROCPRIM_304000_NS6detail45device_block_merge_mergepath_partition_kernelINS1_37wrapped_merge_sort_block_merge_configINS0_14default_configEaN2at4cuda3cub6detail10OpaqueTypeILi8EEEEEPajNS1_19radix_merge_compareILb0ELb1EaNS0_19identity_decomposerEEEEEvT0_T1_jPSH_T2_SH_ ; -- Begin function _ZN7rocprim17ROCPRIM_304000_NS6detail45device_block_merge_mergepath_partition_kernelINS1_37wrapped_merge_sort_block_merge_configINS0_14default_configEaN2at4cuda3cub6detail10OpaqueTypeILi8EEEEEPajNS1_19radix_merge_compareILb0ELb1EaNS0_19identity_decomposerEEEEEvT0_T1_jPSH_T2_SH_
	.globl	_ZN7rocprim17ROCPRIM_304000_NS6detail45device_block_merge_mergepath_partition_kernelINS1_37wrapped_merge_sort_block_merge_configINS0_14default_configEaN2at4cuda3cub6detail10OpaqueTypeILi8EEEEEPajNS1_19radix_merge_compareILb0ELb1EaNS0_19identity_decomposerEEEEEvT0_T1_jPSH_T2_SH_
	.p2align	8
	.type	_ZN7rocprim17ROCPRIM_304000_NS6detail45device_block_merge_mergepath_partition_kernelINS1_37wrapped_merge_sort_block_merge_configINS0_14default_configEaN2at4cuda3cub6detail10OpaqueTypeILi8EEEEEPajNS1_19radix_merge_compareILb0ELb1EaNS0_19identity_decomposerEEEEEvT0_T1_jPSH_T2_SH_,@function
_ZN7rocprim17ROCPRIM_304000_NS6detail45device_block_merge_mergepath_partition_kernelINS1_37wrapped_merge_sort_block_merge_configINS0_14default_configEaN2at4cuda3cub6detail10OpaqueTypeILi8EEEEEPajNS1_19radix_merge_compareILb0ELb1EaNS0_19identity_decomposerEEEEEvT0_T1_jPSH_T2_SH_: ; @_ZN7rocprim17ROCPRIM_304000_NS6detail45device_block_merge_mergepath_partition_kernelINS1_37wrapped_merge_sort_block_merge_configINS0_14default_configEaN2at4cuda3cub6detail10OpaqueTypeILi8EEEEEPajNS1_19radix_merge_compareILb0ELb1EaNS0_19identity_decomposerEEEEEvT0_T1_jPSH_T2_SH_
; %bb.0:
	s_load_dwordx2 s[2:3], s[4:5], 0x8
	v_lshl_or_b32 v0, s6, 7, v0
	s_waitcnt lgkmcnt(0)
	v_cmp_gt_u32_e32 vcc, s3, v0
	s_and_saveexec_b64 s[0:1], vcc
	s_cbranch_execz .LBB44_6
; %bb.1:
	s_load_dwordx2 s[0:1], s[4:5], 0x18
	s_waitcnt lgkmcnt(0)
	s_lshr_b32 s3, s1, 9
	s_and_b32 s3, s3, 0x7ffffe
	s_add_i32 s6, s3, -1
	s_sub_i32 s3, 0, s3
	v_and_b32_e32 v1, s3, v0
	v_lshlrev_b32_e32 v3, 10, v1
	v_min_u32_e32 v1, s2, v3
	v_add_u32_e32 v3, s1, v3
	v_min_u32_e32 v7, s2, v3
	v_add_u32_e32 v3, s1, v7
	v_and_b32_e32 v2, s6, v0
	v_min_u32_e32 v4, s2, v3
	v_lshlrev_b32_e32 v2, 10, v2
	v_sub_u32_e32 v3, v4, v1
	v_min_u32_e32 v3, v3, v2
	v_sub_u32_e32 v5, v7, v1
	v_sub_u32_e32 v2, v4, v7
	v_sub_u32_e64 v2, v3, v2 clamp
	v_min_u32_e32 v4, v3, v5
	v_cmp_lt_u32_e32 vcc, v2, v4
	s_and_saveexec_b64 s[2:3], vcc
	s_cbranch_execz .LBB44_5
; %bb.2:
	s_load_dwordx2 s[6:7], s[4:5], 0x0
	s_waitcnt lgkmcnt(0)
	v_mov_b32_e32 v8, s7
	v_add_co_u32_e32 v5, vcc, s6, v1
	v_addc_co_u32_e32 v6, vcc, 0, v8, vcc
	v_add_co_u32_e32 v7, vcc, s6, v7
	v_addc_co_u32_e32 v8, vcc, 0, v8, vcc
	s_mov_b64 s[6:7], 0
.LBB44_3:                               ; =>This Inner Loop Header: Depth=1
	v_add_u32_e32 v9, v4, v2
	v_lshrrev_b32_e32 v13, 1, v9
	v_add_co_u32_e32 v9, vcc, v5, v13
	v_xad_u32 v11, v13, -1, v3
	v_addc_co_u32_e32 v10, vcc, 0, v6, vcc
	v_add_co_u32_e32 v11, vcc, v7, v11
	v_addc_co_u32_e32 v12, vcc, 0, v8, vcc
	global_load_ubyte v14, v[9:10], off
	global_load_ubyte v15, v[11:12], off
	v_add_u32_e32 v9, 1, v13
	s_waitcnt vmcnt(1)
	v_and_b32_e32 v10, s0, v14
	s_waitcnt vmcnt(0)
	v_and_b32_e32 v11, s0, v15
	v_cmp_gt_i16_sdwa vcc, sext(v10), sext(v11) src0_sel:BYTE_0 src1_sel:BYTE_0
	v_cndmask_b32_e32 v4, v4, v13, vcc
	v_cndmask_b32_e32 v2, v9, v2, vcc
	v_cmp_ge_u32_e32 vcc, v2, v4
	s_or_b64 s[6:7], vcc, s[6:7]
	s_andn2_b64 exec, exec, s[6:7]
	s_cbranch_execnz .LBB44_3
; %bb.4:
	s_or_b64 exec, exec, s[6:7]
.LBB44_5:
	s_or_b64 exec, exec, s[2:3]
	s_load_dwordx2 s[0:1], s[4:5], 0x10
	v_add_u32_e32 v2, v2, v1
	v_mov_b32_e32 v1, 0
	v_lshlrev_b64 v[0:1], 2, v[0:1]
	s_waitcnt lgkmcnt(0)
	v_mov_b32_e32 v3, s1
	v_add_co_u32_e32 v0, vcc, s0, v0
	v_addc_co_u32_e32 v1, vcc, v3, v1, vcc
	global_store_dword v[0:1], v2, off
.LBB44_6:
	s_endpgm
	.section	.rodata,"a",@progbits
	.p2align	6, 0x0
	.amdhsa_kernel _ZN7rocprim17ROCPRIM_304000_NS6detail45device_block_merge_mergepath_partition_kernelINS1_37wrapped_merge_sort_block_merge_configINS0_14default_configEaN2at4cuda3cub6detail10OpaqueTypeILi8EEEEEPajNS1_19radix_merge_compareILb0ELb1EaNS0_19identity_decomposerEEEEEvT0_T1_jPSH_T2_SH_
		.amdhsa_group_segment_fixed_size 0
		.amdhsa_private_segment_fixed_size 0
		.amdhsa_kernarg_size 32
		.amdhsa_user_sgpr_count 6
		.amdhsa_user_sgpr_private_segment_buffer 1
		.amdhsa_user_sgpr_dispatch_ptr 0
		.amdhsa_user_sgpr_queue_ptr 0
		.amdhsa_user_sgpr_kernarg_segment_ptr 1
		.amdhsa_user_sgpr_dispatch_id 0
		.amdhsa_user_sgpr_flat_scratch_init 0
		.amdhsa_user_sgpr_private_segment_size 0
		.amdhsa_uses_dynamic_stack 0
		.amdhsa_system_sgpr_private_segment_wavefront_offset 0
		.amdhsa_system_sgpr_workgroup_id_x 1
		.amdhsa_system_sgpr_workgroup_id_y 0
		.amdhsa_system_sgpr_workgroup_id_z 0
		.amdhsa_system_sgpr_workgroup_info 0
		.amdhsa_system_vgpr_workitem_id 0
		.amdhsa_next_free_vgpr 16
		.amdhsa_next_free_sgpr 8
		.amdhsa_reserve_vcc 1
		.amdhsa_reserve_flat_scratch 0
		.amdhsa_float_round_mode_32 0
		.amdhsa_float_round_mode_16_64 0
		.amdhsa_float_denorm_mode_32 3
		.amdhsa_float_denorm_mode_16_64 3
		.amdhsa_dx10_clamp 1
		.amdhsa_ieee_mode 1
		.amdhsa_fp16_overflow 0
		.amdhsa_exception_fp_ieee_invalid_op 0
		.amdhsa_exception_fp_denorm_src 0
		.amdhsa_exception_fp_ieee_div_zero 0
		.amdhsa_exception_fp_ieee_overflow 0
		.amdhsa_exception_fp_ieee_underflow 0
		.amdhsa_exception_fp_ieee_inexact 0
		.amdhsa_exception_int_div_zero 0
	.end_amdhsa_kernel
	.section	.text._ZN7rocprim17ROCPRIM_304000_NS6detail45device_block_merge_mergepath_partition_kernelINS1_37wrapped_merge_sort_block_merge_configINS0_14default_configEaN2at4cuda3cub6detail10OpaqueTypeILi8EEEEEPajNS1_19radix_merge_compareILb0ELb1EaNS0_19identity_decomposerEEEEEvT0_T1_jPSH_T2_SH_,"axG",@progbits,_ZN7rocprim17ROCPRIM_304000_NS6detail45device_block_merge_mergepath_partition_kernelINS1_37wrapped_merge_sort_block_merge_configINS0_14default_configEaN2at4cuda3cub6detail10OpaqueTypeILi8EEEEEPajNS1_19radix_merge_compareILb0ELb1EaNS0_19identity_decomposerEEEEEvT0_T1_jPSH_T2_SH_,comdat
.Lfunc_end44:
	.size	_ZN7rocprim17ROCPRIM_304000_NS6detail45device_block_merge_mergepath_partition_kernelINS1_37wrapped_merge_sort_block_merge_configINS0_14default_configEaN2at4cuda3cub6detail10OpaqueTypeILi8EEEEEPajNS1_19radix_merge_compareILb0ELb1EaNS0_19identity_decomposerEEEEEvT0_T1_jPSH_T2_SH_, .Lfunc_end44-_ZN7rocprim17ROCPRIM_304000_NS6detail45device_block_merge_mergepath_partition_kernelINS1_37wrapped_merge_sort_block_merge_configINS0_14default_configEaN2at4cuda3cub6detail10OpaqueTypeILi8EEEEEPajNS1_19radix_merge_compareILb0ELb1EaNS0_19identity_decomposerEEEEEvT0_T1_jPSH_T2_SH_
                                        ; -- End function
	.set _ZN7rocprim17ROCPRIM_304000_NS6detail45device_block_merge_mergepath_partition_kernelINS1_37wrapped_merge_sort_block_merge_configINS0_14default_configEaN2at4cuda3cub6detail10OpaqueTypeILi8EEEEEPajNS1_19radix_merge_compareILb0ELb1EaNS0_19identity_decomposerEEEEEvT0_T1_jPSH_T2_SH_.num_vgpr, 16
	.set _ZN7rocprim17ROCPRIM_304000_NS6detail45device_block_merge_mergepath_partition_kernelINS1_37wrapped_merge_sort_block_merge_configINS0_14default_configEaN2at4cuda3cub6detail10OpaqueTypeILi8EEEEEPajNS1_19radix_merge_compareILb0ELb1EaNS0_19identity_decomposerEEEEEvT0_T1_jPSH_T2_SH_.num_agpr, 0
	.set _ZN7rocprim17ROCPRIM_304000_NS6detail45device_block_merge_mergepath_partition_kernelINS1_37wrapped_merge_sort_block_merge_configINS0_14default_configEaN2at4cuda3cub6detail10OpaqueTypeILi8EEEEEPajNS1_19radix_merge_compareILb0ELb1EaNS0_19identity_decomposerEEEEEvT0_T1_jPSH_T2_SH_.numbered_sgpr, 8
	.set _ZN7rocprim17ROCPRIM_304000_NS6detail45device_block_merge_mergepath_partition_kernelINS1_37wrapped_merge_sort_block_merge_configINS0_14default_configEaN2at4cuda3cub6detail10OpaqueTypeILi8EEEEEPajNS1_19radix_merge_compareILb0ELb1EaNS0_19identity_decomposerEEEEEvT0_T1_jPSH_T2_SH_.num_named_barrier, 0
	.set _ZN7rocprim17ROCPRIM_304000_NS6detail45device_block_merge_mergepath_partition_kernelINS1_37wrapped_merge_sort_block_merge_configINS0_14default_configEaN2at4cuda3cub6detail10OpaqueTypeILi8EEEEEPajNS1_19radix_merge_compareILb0ELb1EaNS0_19identity_decomposerEEEEEvT0_T1_jPSH_T2_SH_.private_seg_size, 0
	.set _ZN7rocprim17ROCPRIM_304000_NS6detail45device_block_merge_mergepath_partition_kernelINS1_37wrapped_merge_sort_block_merge_configINS0_14default_configEaN2at4cuda3cub6detail10OpaqueTypeILi8EEEEEPajNS1_19radix_merge_compareILb0ELb1EaNS0_19identity_decomposerEEEEEvT0_T1_jPSH_T2_SH_.uses_vcc, 1
	.set _ZN7rocprim17ROCPRIM_304000_NS6detail45device_block_merge_mergepath_partition_kernelINS1_37wrapped_merge_sort_block_merge_configINS0_14default_configEaN2at4cuda3cub6detail10OpaqueTypeILi8EEEEEPajNS1_19radix_merge_compareILb0ELb1EaNS0_19identity_decomposerEEEEEvT0_T1_jPSH_T2_SH_.uses_flat_scratch, 0
	.set _ZN7rocprim17ROCPRIM_304000_NS6detail45device_block_merge_mergepath_partition_kernelINS1_37wrapped_merge_sort_block_merge_configINS0_14default_configEaN2at4cuda3cub6detail10OpaqueTypeILi8EEEEEPajNS1_19radix_merge_compareILb0ELb1EaNS0_19identity_decomposerEEEEEvT0_T1_jPSH_T2_SH_.has_dyn_sized_stack, 0
	.set _ZN7rocprim17ROCPRIM_304000_NS6detail45device_block_merge_mergepath_partition_kernelINS1_37wrapped_merge_sort_block_merge_configINS0_14default_configEaN2at4cuda3cub6detail10OpaqueTypeILi8EEEEEPajNS1_19radix_merge_compareILb0ELb1EaNS0_19identity_decomposerEEEEEvT0_T1_jPSH_T2_SH_.has_recursion, 0
	.set _ZN7rocprim17ROCPRIM_304000_NS6detail45device_block_merge_mergepath_partition_kernelINS1_37wrapped_merge_sort_block_merge_configINS0_14default_configEaN2at4cuda3cub6detail10OpaqueTypeILi8EEEEEPajNS1_19radix_merge_compareILb0ELb1EaNS0_19identity_decomposerEEEEEvT0_T1_jPSH_T2_SH_.has_indirect_call, 0
	.section	.AMDGPU.csdata,"",@progbits
; Kernel info:
; codeLenInByte = 336
; TotalNumSgprs: 12
; NumVgprs: 16
; ScratchSize: 0
; MemoryBound: 0
; FloatMode: 240
; IeeeMode: 1
; LDSByteSize: 0 bytes/workgroup (compile time only)
; SGPRBlocks: 1
; VGPRBlocks: 3
; NumSGPRsForWavesPerEU: 12
; NumVGPRsForWavesPerEU: 16
; Occupancy: 10
; WaveLimiterHint : 0
; COMPUTE_PGM_RSRC2:SCRATCH_EN: 0
; COMPUTE_PGM_RSRC2:USER_SGPR: 6
; COMPUTE_PGM_RSRC2:TRAP_HANDLER: 0
; COMPUTE_PGM_RSRC2:TGID_X_EN: 1
; COMPUTE_PGM_RSRC2:TGID_Y_EN: 0
; COMPUTE_PGM_RSRC2:TGID_Z_EN: 0
; COMPUTE_PGM_RSRC2:TIDIG_COMP_CNT: 0
	.section	.text._ZN7rocprim17ROCPRIM_304000_NS6detail35device_block_merge_mergepath_kernelINS1_37wrapped_merge_sort_block_merge_configINS0_14default_configEaN2at4cuda3cub6detail10OpaqueTypeILi8EEEEEPaSC_PSA_SD_jNS1_19radix_merge_compareILb0ELb1EaNS0_19identity_decomposerEEEEEvT0_T1_T2_T3_T4_SL_jT5_PKSL_NS1_7vsmem_tE,"axG",@progbits,_ZN7rocprim17ROCPRIM_304000_NS6detail35device_block_merge_mergepath_kernelINS1_37wrapped_merge_sort_block_merge_configINS0_14default_configEaN2at4cuda3cub6detail10OpaqueTypeILi8EEEEEPaSC_PSA_SD_jNS1_19radix_merge_compareILb0ELb1EaNS0_19identity_decomposerEEEEEvT0_T1_T2_T3_T4_SL_jT5_PKSL_NS1_7vsmem_tE,comdat
	.protected	_ZN7rocprim17ROCPRIM_304000_NS6detail35device_block_merge_mergepath_kernelINS1_37wrapped_merge_sort_block_merge_configINS0_14default_configEaN2at4cuda3cub6detail10OpaqueTypeILi8EEEEEPaSC_PSA_SD_jNS1_19radix_merge_compareILb0ELb1EaNS0_19identity_decomposerEEEEEvT0_T1_T2_T3_T4_SL_jT5_PKSL_NS1_7vsmem_tE ; -- Begin function _ZN7rocprim17ROCPRIM_304000_NS6detail35device_block_merge_mergepath_kernelINS1_37wrapped_merge_sort_block_merge_configINS0_14default_configEaN2at4cuda3cub6detail10OpaqueTypeILi8EEEEEPaSC_PSA_SD_jNS1_19radix_merge_compareILb0ELb1EaNS0_19identity_decomposerEEEEEvT0_T1_T2_T3_T4_SL_jT5_PKSL_NS1_7vsmem_tE
	.globl	_ZN7rocprim17ROCPRIM_304000_NS6detail35device_block_merge_mergepath_kernelINS1_37wrapped_merge_sort_block_merge_configINS0_14default_configEaN2at4cuda3cub6detail10OpaqueTypeILi8EEEEEPaSC_PSA_SD_jNS1_19radix_merge_compareILb0ELb1EaNS0_19identity_decomposerEEEEEvT0_T1_T2_T3_T4_SL_jT5_PKSL_NS1_7vsmem_tE
	.p2align	8
	.type	_ZN7rocprim17ROCPRIM_304000_NS6detail35device_block_merge_mergepath_kernelINS1_37wrapped_merge_sort_block_merge_configINS0_14default_configEaN2at4cuda3cub6detail10OpaqueTypeILi8EEEEEPaSC_PSA_SD_jNS1_19radix_merge_compareILb0ELb1EaNS0_19identity_decomposerEEEEEvT0_T1_T2_T3_T4_SL_jT5_PKSL_NS1_7vsmem_tE,@function
_ZN7rocprim17ROCPRIM_304000_NS6detail35device_block_merge_mergepath_kernelINS1_37wrapped_merge_sort_block_merge_configINS0_14default_configEaN2at4cuda3cub6detail10OpaqueTypeILi8EEEEEPaSC_PSA_SD_jNS1_19radix_merge_compareILb0ELb1EaNS0_19identity_decomposerEEEEEvT0_T1_T2_T3_T4_SL_jT5_PKSL_NS1_7vsmem_tE: ; @_ZN7rocprim17ROCPRIM_304000_NS6detail35device_block_merge_mergepath_kernelINS1_37wrapped_merge_sort_block_merge_configINS0_14default_configEaN2at4cuda3cub6detail10OpaqueTypeILi8EEEEEPaSC_PSA_SD_jNS1_19radix_merge_compareILb0ELb1EaNS0_19identity_decomposerEEEEEvT0_T1_T2_T3_T4_SL_jT5_PKSL_NS1_7vsmem_tE
; %bb.0:
	s_load_dwordx2 s[10:11], s[4:5], 0x40
	s_load_dwordx4 s[20:23], s[4:5], 0x20
	s_add_u32 s2, s4, 64
	s_addc_u32 s3, s5, 0
	s_waitcnt lgkmcnt(0)
	s_mul_i32 s0, s11, s8
	s_add_i32 s0, s0, s7
	s_mul_i32 s0, s0, s10
	s_add_i32 s0, s0, s6
	s_cmp_ge_u32 s0, s22
	s_cbranch_scc1 .LBB45_109
; %bb.1:
	s_load_dwordx8 s[12:19], s[4:5], 0x0
	s_load_dwordx2 s[8:9], s[4:5], 0x30
	s_lshr_b32 s11, s20, 10
	s_cmp_lg_u32 s0, s11
	s_mov_b32 s1, 0
	s_cselect_b64 s[24:25], -1, 0
	s_lshl_b64 s[4:5], s[0:1], 2
	s_waitcnt lgkmcnt(0)
	s_add_u32 s4, s8, s4
	s_addc_u32 s5, s9, s5
	s_load_dwordx2 s[26:27], s[4:5], 0x0
	s_lshr_b32 s4, s21, 9
	s_and_b32 s4, s4, 0x7ffffe
	s_sub_i32 s4, 0, s4
	s_and_b32 s5, s0, s4
	s_lshl_b32 s7, s5, 10
	s_lshl_b32 s22, s0, 10
	;; [unrolled: 1-line block ×3, first 2 shown]
	s_sub_i32 s8, s22, s7
	s_add_i32 s5, s5, s21
	s_add_i32 s8, s5, s8
	s_waitcnt lgkmcnt(0)
	s_sub_i32 s9, s8, s26
	s_sub_i32 s8, s8, s27
	;; [unrolled: 1-line block ×3, first 2 shown]
	s_min_u32 s28, s20, s9
	s_addk_i32 s8, 0x400
	s_or_b32 s4, s0, s4
	s_min_u32 s7, s20, s5
	s_add_i32 s5, s5, s21
	s_cmp_eq_u32 s4, -1
	s_cselect_b32 s4, s5, s8
	s_cselect_b32 s5, s7, s27
	s_min_u32 s4, s4, s20
	s_sub_i32 s30, s5, s26
	s_sub_i32 s31, s4, s28
	s_add_u32 s5, s12, s26
	s_addc_u32 s7, s13, 0
	s_add_u32 s4, s12, s28
	v_mov_b32_e32 v1, 0
	global_load_dword v2, v1, s[2:3] offset:14
	s_addc_u32 s8, s13, 0
	s_cmp_lt_u32 s6, s10
	s_cselect_b32 s6, 12, 18
	s_add_u32 s2, s2, s6
	s_addc_u32 s3, s3, 0
	global_load_ushort v1, v1, s[2:3]
	s_mov_b32 s27, s1
	s_mov_b32 s29, s1
	s_cmp_eq_u32 s0, s11
	s_waitcnt vmcnt(1)
	v_lshrrev_b32_e32 v3, 16, v2
	v_and_b32_e32 v2, 0xffff, v2
	v_mul_lo_u32 v2, v2, v3
	s_waitcnt vmcnt(0)
	v_mul_lo_u32 v3, v2, v1
	v_add_u32_e32 v5, v3, v0
	v_add_u32_e32 v4, v5, v3
	s_cbranch_scc1 .LBB45_3
; %bb.2:
	v_mov_b32_e32 v1, s7
	v_add_co_u32_e32 v6, vcc, s5, v0
	v_addc_co_u32_e32 v1, vcc, 0, v1, vcc
	v_subrev_co_u32_e32 v2, vcc, s30, v0
	v_mov_b32_e32 v7, s8
	v_add_co_u32_e64 v8, s[0:1], s4, v2
	v_addc_co_u32_e64 v2, s[0:1], 0, v7, s[0:1]
	v_cndmask_b32_e32 v2, v2, v1, vcc
	v_cndmask_b32_e32 v1, v8, v6, vcc
	v_mov_b32_e32 v6, s7
	v_add_co_u32_e32 v8, vcc, s5, v5
	v_addc_co_u32_e32 v6, vcc, 0, v6, vcc
	v_subrev_co_u32_e32 v7, vcc, s30, v5
	v_mov_b32_e32 v9, s8
	v_add_co_u32_e64 v10, s[0:1], s4, v7
	v_addc_co_u32_e64 v7, s[0:1], 0, v9, s[0:1]
	v_cndmask_b32_e32 v7, v7, v6, vcc
	v_cndmask_b32_e32 v6, v10, v8, vcc
	;; [unrolled: 9-line block ×3, first 2 shown]
	v_add_u32_e32 v12, v4, v3
	v_mov_b32_e32 v10, s7
	v_add_co_u32_e32 v13, vcc, s5, v12
	v_addc_co_u32_e32 v10, vcc, 0, v10, vcc
	v_subrev_co_u32_e32 v11, vcc, s30, v12
	v_mov_b32_e32 v14, s8
	v_add_co_u32_e64 v15, s[0:1], s4, v11
	v_addc_co_u32_e64 v11, s[0:1], 0, v14, s[0:1]
	v_add_u32_e32 v14, v12, v3
	v_cndmask_b32_e32 v11, v11, v10, vcc
	v_cndmask_b32_e32 v10, v15, v13, vcc
	v_mov_b32_e32 v12, s7
	v_add_co_u32_e32 v15, vcc, s5, v14
	v_addc_co_u32_e32 v12, vcc, 0, v12, vcc
	v_subrev_co_u32_e32 v13, vcc, s30, v14
	v_mov_b32_e32 v16, s8
	v_add_co_u32_e64 v17, s[0:1], s4, v13
	v_addc_co_u32_e64 v13, s[0:1], 0, v16, s[0:1]
	v_add_u32_e32 v16, v14, v3
	v_cndmask_b32_e32 v13, v13, v12, vcc
	v_cndmask_b32_e32 v12, v17, v15, vcc
	;; [unrolled: 10-line block ×4, first 2 shown]
	v_mov_b32_e32 v19, s7
	v_add_co_u32_e32 v20, vcc, s5, v18
	v_addc_co_u32_e32 v19, vcc, 0, v19, vcc
	v_subrev_co_u32_e32 v18, vcc, s30, v18
	v_mov_b32_e32 v21, s8
	v_add_co_u32_e64 v18, s[0:1], s4, v18
	v_addc_co_u32_e64 v21, s[0:1], 0, v21, s[0:1]
	v_cndmask_b32_e32 v19, v21, v19, vcc
	v_cndmask_b32_e32 v18, v18, v20, vcc
	global_load_ubyte v20, v[1:2], off
	global_load_ubyte v21, v[6:7], off
	;; [unrolled: 1-line block ×8, first 2 shown]
	s_mov_b32 s0, 0xc0c0004
	s_add_i32 s21, s31, s30
	s_waitcnt vmcnt(6)
	v_perm_b32 v1, v20, v21, s0
	s_waitcnt vmcnt(4)
	v_perm_b32 v2, v22, v23, s0
	v_lshl_or_b32 v1, v2, 16, v1
	s_waitcnt vmcnt(2)
	v_perm_b32 v2, v24, v25, s0
	s_waitcnt vmcnt(0)
	v_perm_b32 v6, v26, v27, s0
	v_lshl_or_b32 v2, v6, 16, v2
	s_cbranch_execz .LBB45_4
	s_branch .LBB45_19
.LBB45_3:
                                        ; implicit-def: $vgpr1_vgpr2
                                        ; implicit-def: $sgpr21
.LBB45_4:
	s_add_i32 s21, s31, s30
	v_mov_b32_e32 v1, 0
	v_cmp_gt_u32_e32 vcc, s21, v0
	s_mov_b32 s6, 0
	v_mov_b32_e32 v2, v1
	s_and_saveexec_b64 s[2:3], vcc
	s_cbranch_execnz .LBB45_110
; %bb.5:
	s_or_b64 exec, exec, s[2:3]
	v_cmp_gt_u32_e32 vcc, s21, v5
	s_and_saveexec_b64 s[2:3], vcc
	s_cbranch_execnz .LBB45_111
.LBB45_6:
	s_or_b64 exec, exec, s[2:3]
	v_cmp_gt_u32_e32 vcc, s21, v4
	s_and_saveexec_b64 s[2:3], vcc
	s_cbranch_execz .LBB45_8
.LBB45_7:
	v_mov_b32_e32 v5, s7
	v_add_co_u32_e32 v7, vcc, s5, v4
	v_addc_co_u32_e32 v5, vcc, 0, v5, vcc
	v_subrev_co_u32_e32 v6, vcc, s30, v4
	v_mov_b32_e32 v8, s8
	v_add_co_u32_e64 v9, s[0:1], s4, v6
	v_addc_co_u32_e64 v6, s[0:1], 0, v8, s[0:1]
	v_cndmask_b32_e32 v6, v6, v5, vcc
	v_cndmask_b32_e32 v5, v9, v7, vcc
	global_load_ubyte v5, v[5:6], off
	s_mov_b32 s0, 0xc0c0304
	s_waitcnt vmcnt(0)
	v_perm_b32 v5, v5, v1, s0
	v_lshlrev_b32_e32 v5, 16, v5
	s_mov_b32 s0, 0xffff
	v_and_or_b32 v1, v1, s0, v5
.LBB45_8:
	s_or_b64 exec, exec, s[2:3]
	v_add_u32_e32 v4, v4, v3
	v_cmp_gt_u32_e32 vcc, s21, v4
	s_and_saveexec_b64 s[2:3], vcc
	s_cbranch_execz .LBB45_10
; %bb.9:
	v_mov_b32_e32 v5, s7
	v_add_co_u32_e32 v7, vcc, s5, v4
	v_addc_co_u32_e32 v5, vcc, 0, v5, vcc
	v_subrev_co_u32_e32 v6, vcc, s30, v4
	v_mov_b32_e32 v8, s8
	v_add_co_u32_e64 v9, s[0:1], s4, v6
	v_addc_co_u32_e64 v6, s[0:1], 0, v8, s[0:1]
	v_cndmask_b32_e32 v6, v6, v5, vcc
	v_cndmask_b32_e32 v5, v9, v7, vcc
	global_load_ubyte v5, v[5:6], off
	s_mov_b32 s0, 0xc0c0006
	s_waitcnt vmcnt(0)
	v_perm_b32 v5, v1, v5, s0
	v_lshlrev_b32_e32 v5, 16, v5
	s_mov_b32 s0, 0xffff
	v_and_or_b32 v1, v1, s0, v5
.LBB45_10:
	s_or_b64 exec, exec, s[2:3]
	v_add_u32_e32 v4, v4, v3
	v_cmp_gt_u32_e32 vcc, s21, v4
	s_and_saveexec_b64 s[2:3], vcc
	s_cbranch_execz .LBB45_12
; %bb.11:
	v_mov_b32_e32 v5, s7
	v_add_co_u32_e32 v7, vcc, s5, v4
	v_addc_co_u32_e32 v5, vcc, 0, v5, vcc
	v_subrev_co_u32_e32 v6, vcc, s30, v4
	v_mov_b32_e32 v8, s8
	v_add_co_u32_e64 v9, s[0:1], s4, v6
	v_addc_co_u32_e64 v6, s[0:1], 0, v8, s[0:1]
	v_cndmask_b32_e32 v6, v6, v5, vcc
	v_cndmask_b32_e32 v5, v9, v7, vcc
	global_load_ubyte v5, v[5:6], off
	s_mov_b32 s0, 0x3020104
	s_waitcnt vmcnt(0)
	v_perm_b32 v2, v5, v2, s0
.LBB45_12:
	s_or_b64 exec, exec, s[2:3]
	v_add_u32_e32 v4, v4, v3
	v_cmp_gt_u32_e32 vcc, s21, v4
	s_and_saveexec_b64 s[2:3], vcc
	s_cbranch_execz .LBB45_14
; %bb.13:
	v_mov_b32_e32 v5, s7
	v_add_co_u32_e32 v7, vcc, s5, v4
	v_addc_co_u32_e32 v5, vcc, 0, v5, vcc
	v_subrev_co_u32_e32 v6, vcc, s30, v4
	v_mov_b32_e32 v8, s8
	v_add_co_u32_e64 v9, s[0:1], s4, v6
	v_addc_co_u32_e64 v6, s[0:1], 0, v8, s[0:1]
	v_cndmask_b32_e32 v6, v6, v5, vcc
	v_cndmask_b32_e32 v5, v9, v7, vcc
	global_load_ubyte v5, v[5:6], off
	s_mov_b32 s0, 0x7060004
	s_waitcnt vmcnt(0)
	v_perm_b32 v2, v2, v5, s0
.LBB45_14:
	;; [unrolled: 20-line block ×4, first 2 shown]
	s_or_b64 exec, exec, s[2:3]
.LBB45_19:
	v_lshrrev_b32_e32 v3, 8, v1
	ds_write_b8 v0, v1
	ds_write_b8 v0, v3 offset:128
	ds_write_b8_d16_hi v0, v1 offset:256
	v_lshrrev_b32_e32 v3, 24, v1
	ds_write_b8 v0, v3 offset:384
	ds_write_b8 v0, v2 offset:512
	v_lshrrev_b32_e32 v3, 8, v2
	v_lshlrev_b32_e32 v7, 3, v0
	ds_write_b8 v0, v3 offset:640
	ds_write_b8_d16_hi v0, v2 offset:768
	v_lshrrev_b32_e32 v3, 24, v2
	v_min_u32_e32 v4, s21, v7
	ds_write_b8 v0, v3 offset:896
	v_sub_u32_e64 v3, v4, s31 clamp
	v_min_u32_e32 v5, s30, v4
	v_cmp_lt_u32_e32 vcc, v3, v5
	s_waitcnt lgkmcnt(0)
	s_barrier
	s_and_saveexec_b64 s[0:1], vcc
	s_cbranch_execz .LBB45_23
; %bb.20:
	v_add_u32_e32 v6, s30, v4
	s_mov_b64 s[2:3], 0
.LBB45_21:                              ; =>This Inner Loop Header: Depth=1
	v_add_u32_e32 v8, v5, v3
	v_lshrrev_b32_e32 v8, 1, v8
	v_xad_u32 v9, v8, -1, v6
	ds_read_u8 v10, v8
	ds_read_u8 v9, v9
	v_add_u32_e32 v11, 1, v8
	s_waitcnt lgkmcnt(1)
	v_and_b32_e32 v10, s23, v10
	s_waitcnt lgkmcnt(0)
	v_and_b32_e32 v9, s23, v9
	v_cmp_gt_i16_sdwa vcc, sext(v10), sext(v9) src0_sel:BYTE_0 src1_sel:BYTE_0
	v_cndmask_b32_e32 v5, v5, v8, vcc
	v_cndmask_b32_e32 v3, v11, v3, vcc
	v_cmp_ge_u32_e32 vcc, v3, v5
	s_or_b64 s[2:3], vcc, s[2:3]
	s_andn2_b64 exec, exec, s[2:3]
	s_cbranch_execnz .LBB45_21
; %bb.22:
	s_or_b64 exec, exec, s[2:3]
.LBB45_23:
	s_or_b64 exec, exec, s[0:1]
	v_sub_u32_e32 v4, v4, v3
	v_add_u32_e32 v4, s30, v4
	v_cmp_ge_u32_e32 vcc, s30, v3
	v_cmp_ge_u32_e64 s[0:1], s21, v4
	s_or_b64 s[0:1], vcc, s[0:1]
	v_mov_b32_e32 v8, 0
	v_mov_b32_e32 v9, 0
	;; [unrolled: 1-line block ×8, first 2 shown]
	s_and_saveexec_b64 s[12:13], s[0:1]
	s_cbranch_execz .LBB45_29
; %bb.24:
	v_cmp_gt_u32_e32 vcc, s30, v3
                                        ; implicit-def: $vgpr1
	s_and_saveexec_b64 s[0:1], vcc
; %bb.25:
	ds_read_u8 v1, v3
; %bb.26:
	s_or_b64 exec, exec, s[0:1]
	v_cmp_le_u32_e64 s[0:1], s21, v4
	v_cmp_gt_u32_e64 s[2:3], s21, v4
                                        ; implicit-def: $vgpr2
	s_and_saveexec_b64 s[4:5], s[2:3]
; %bb.27:
	ds_read_u8 v2, v4
; %bb.28:
	s_or_b64 exec, exec, s[4:5]
	s_waitcnt lgkmcnt(0)
	v_and_b32_e32 v5, s23, v2
	v_and_b32_e32 v6, s23, v1
	v_cmp_le_i16_sdwa s[2:3], sext(v6), sext(v5) src0_sel:BYTE_0 src1_sel:BYTE_0
	s_and_b64 s[2:3], vcc, s[2:3]
	s_or_b64 vcc, s[0:1], s[2:3]
	v_mov_b32_e32 v5, s21
	v_mov_b32_e32 v6, s30
	v_cndmask_b32_e32 v15, v4, v3, vcc
	v_cndmask_b32_e32 v8, v5, v6, vcc
	v_add_u32_e32 v9, 1, v15
	v_add_u32_e32 v8, -1, v8
	v_min_u32_e32 v8, v9, v8
	ds_read_u8 v8, v8
	v_cndmask_b32_e32 v4, v9, v4, vcc
	v_cndmask_b32_e32 v3, v3, v9, vcc
	v_cmp_gt_u32_e64 s[2:3], s30, v3
	v_cmp_le_u32_e64 s[0:1], s21, v4
	s_waitcnt lgkmcnt(0)
	v_cndmask_b32_e32 v16, v8, v2, vcc
	v_cndmask_b32_e32 v8, v1, v8, vcc
	v_and_b32_e32 v9, s23, v16
	v_and_b32_e32 v10, s23, v8
	v_cmp_le_i16_sdwa s[4:5], sext(v10), sext(v9) src0_sel:BYTE_0 src1_sel:BYTE_0
	s_and_b64 s[2:3], s[2:3], s[4:5]
	s_or_b64 s[0:1], s[0:1], s[2:3]
	v_cndmask_b32_e64 v14, v4, v3, s[0:1]
	v_cndmask_b32_e64 v9, v5, v6, s[0:1]
	v_add_u32_e32 v10, 1, v14
	v_add_u32_e32 v9, -1, v9
	v_min_u32_e32 v9, v10, v9
	ds_read_u8 v9, v9
	v_cndmask_b32_e64 v4, v10, v4, s[0:1]
	v_cndmask_b32_e64 v3, v3, v10, s[0:1]
	v_cmp_gt_u32_e64 s[4:5], s30, v3
	v_cmp_le_u32_e64 s[2:3], s21, v4
	s_waitcnt lgkmcnt(0)
	v_cndmask_b32_e64 v17, v9, v16, s[0:1]
	v_cndmask_b32_e64 v9, v8, v9, s[0:1]
	v_and_b32_e32 v10, s23, v17
	v_and_b32_e32 v11, s23, v9
	v_cmp_le_i16_sdwa s[6:7], sext(v11), sext(v10) src0_sel:BYTE_0 src1_sel:BYTE_0
	s_and_b64 s[4:5], s[4:5], s[6:7]
	s_or_b64 s[2:3], s[2:3], s[4:5]
	v_cndmask_b32_e64 v13, v4, v3, s[2:3]
	v_cndmask_b32_e64 v10, v5, v6, s[2:3]
	v_add_u32_e32 v11, 1, v13
	v_add_u32_e32 v10, -1, v10
	v_min_u32_e32 v10, v11, v10
	ds_read_u8 v10, v10
	v_cndmask_b32_e64 v4, v11, v4, s[2:3]
	v_cndmask_b32_e64 v3, v3, v11, s[2:3]
	v_cmp_gt_u32_e64 s[6:7], s30, v3
	v_cmp_le_u32_e64 s[4:5], s21, v4
	s_waitcnt lgkmcnt(0)
	v_cndmask_b32_e64 v18, v10, v17, s[2:3]
	v_cndmask_b32_e64 v19, v9, v10, s[2:3]
	;; [unrolled: 18-line block ×4, first 2 shown]
	v_and_b32_e32 v10, s23, v23
	v_and_b32_e32 v22, s23, v24
	v_cmp_le_i16_sdwa s[34:35], sext(v22), sext(v10) src0_sel:BYTE_0 src1_sel:BYTE_0
	s_and_b64 s[10:11], s[10:11], s[34:35]
	s_or_b64 s[8:9], s[8:9], s[10:11]
	v_cndmask_b32_e64 v10, v4, v3, s[8:9]
	v_cndmask_b32_e64 v22, v5, v6, s[8:9]
	v_add_u32_e32 v25, 1, v10
	v_add_u32_e32 v22, -1, v22
	v_min_u32_e32 v22, v25, v22
	ds_read_u8 v22, v22
	v_cndmask_b32_e32 v1, v2, v1, vcc
	v_cndmask_b32_e64 v16, v16, v8, s[0:1]
	v_cndmask_b32_e64 v17, v17, v9, s[2:3]
	;; [unrolled: 1-line block ×3, first 2 shown]
	s_waitcnt lgkmcnt(0)
	v_cndmask_b32_e64 v2, v22, v23, s[8:9]
	v_cndmask_b32_e64 v8, v24, v22, s[8:9]
	v_and_b32_e32 v9, s23, v2
	v_and_b32_e32 v22, s23, v8
	v_cndmask_b32_e64 v4, v25, v4, s[8:9]
	v_cmp_gt_u32_e64 s[0:1], s30, v3
	v_cmp_le_i16_sdwa s[2:3], sext(v22), sext(v9) src0_sel:BYTE_0 src1_sel:BYTE_0
	v_cmp_le_u32_e32 vcc, s21, v4
	s_and_b64 s[0:1], s[0:1], s[2:3]
	s_or_b64 vcc, vcc, s[0:1]
	v_cndmask_b32_e32 v9, v4, v3, vcc
	v_cndmask_b32_e32 v5, v5, v6, vcc
	v_add_u32_e32 v6, 1, v9
	v_add_u32_e32 v5, -1, v5
	v_min_u32_e32 v5, v6, v5
	ds_read_u8 v5, v5
	v_cndmask_b32_e64 v18, v18, v19, s[4:5]
	v_cndmask_b32_e64 v19, v20, v21, s[6:7]
	v_cndmask_b32_e32 v21, v2, v8, vcc
	v_cndmask_b32_e32 v4, v6, v4, vcc
	s_waitcnt lgkmcnt(0)
	v_cndmask_b32_e32 v2, v5, v2, vcc
	v_cndmask_b32_e32 v5, v8, v5, vcc
	;; [unrolled: 1-line block ×3, first 2 shown]
	v_and_b32_e32 v6, s23, v2
	v_and_b32_e32 v8, s23, v5
	v_cmp_gt_u32_e64 s[0:1], s30, v3
	v_cmp_le_i16_sdwa s[2:3], sext(v8), sext(v6) src0_sel:BYTE_0 src1_sel:BYTE_0
	v_cmp_le_u32_e32 vcc, s21, v4
	s_and_b64 s[0:1], s[0:1], s[2:3]
	s_or_b64 vcc, vcc, s[0:1]
	v_cndmask_b32_e64 v20, v23, v24, s[8:9]
	v_cndmask_b32_e32 v2, v2, v5, vcc
	v_cndmask_b32_e32 v8, v4, v3, vcc
	v_lshlrev_b16_e32 v2, 8, v2
	v_lshlrev_b16_e32 v3, 8, v20
	v_or_b32_sdwa v2, v21, v2 dst_sel:WORD_1 dst_unused:UNUSED_PAD src0_sel:BYTE_0 src1_sel:DWORD
	v_or_b32_sdwa v3, v19, v3 dst_sel:DWORD dst_unused:UNUSED_PAD src0_sel:BYTE_0 src1_sel:DWORD
	v_or_b32_sdwa v2, v3, v2 dst_sel:DWORD dst_unused:UNUSED_PAD src0_sel:WORD_0 src1_sel:DWORD
	v_lshlrev_b16_e32 v3, 8, v18
	v_lshlrev_b16_e32 v4, 8, v16
	v_or_b32_sdwa v3, v17, v3 dst_sel:WORD_1 dst_unused:UNUSED_PAD src0_sel:BYTE_0 src1_sel:DWORD
	v_or_b32_sdwa v1, v1, v4 dst_sel:DWORD dst_unused:UNUSED_PAD src0_sel:BYTE_0 src1_sel:DWORD
	v_or_b32_sdwa v1, v1, v3 dst_sel:DWORD dst_unused:UNUSED_PAD src0_sel:WORD_0 src1_sel:DWORD
.LBB45_29:
	s_or_b64 exec, exec, s[12:13]
	s_lshl_b64 s[0:1], s[26:27], 3
	s_add_u32 s8, s16, s0
	s_addc_u32 s9, s17, s1
	s_lshl_b64 s[0:1], s[28:29], 3
	s_add_u32 s6, s16, s0
	v_cndmask_b32_e64 v3, 0, 1, s[24:25]
	s_addc_u32 s7, s17, s1
	v_cmp_gt_u32_e64 s[4:5], s30, v0
	v_cmp_ne_u32_e64 s[0:1], 1, v3
	s_andn2_b64 vcc, exec, s[24:25]
	v_cmp_le_u32_e64 s[2:3], s30, v0
	s_barrier
	s_cbranch_vccnz .LBB45_31
; %bb.30:
	v_mov_b32_e32 v3, s9
	v_add_co_u32_e32 v5, vcc, s8, v7
	v_subrev_u32_e32 v4, s30, v0
	v_addc_co_u32_e32 v3, vcc, 0, v3, vcc
	v_lshlrev_b32_e32 v4, 3, v4
	v_mov_b32_e32 v6, s7
	v_add_co_u32_e32 v16, vcc, s6, v4
	v_addc_co_u32_e32 v4, vcc, 0, v6, vcc
	v_cndmask_b32_e64 v4, v4, v3, s[4:5]
	v_cndmask_b32_e64 v3, v16, v5, s[4:5]
	v_or_b32_e32 v5, 0x80, v0
	v_subrev_u32_e32 v6, s30, v5
	v_min_u32_e32 v6, v5, v6
	v_cmp_gt_u32_e32 vcc, s30, v5
	v_mov_b32_e32 v28, s6
	v_mov_b32_e32 v29, s8
	;; [unrolled: 1-line block ×4, first 2 shown]
	v_cndmask_b32_e32 v5, v28, v29, vcc
	v_lshlrev_b32_e32 v6, 3, v6
	v_cndmask_b32_e32 v16, v26, v27, vcc
	v_add_co_u32_e32 v5, vcc, v5, v6
	v_addc_co_u32_e32 v6, vcc, 0, v16, vcc
	v_or_b32_e32 v16, 0x100, v0
	v_subrev_u32_e32 v17, s30, v16
	v_min_u32_e32 v17, v16, v17
	v_cmp_gt_u32_e32 vcc, s30, v16
	v_cndmask_b32_e32 v16, v28, v29, vcc
	v_lshlrev_b32_e32 v17, 3, v17
	v_cndmask_b32_e32 v18, v26, v27, vcc
	v_add_co_u32_e32 v16, vcc, v16, v17
	v_addc_co_u32_e32 v17, vcc, 0, v18, vcc
	v_or_b32_e32 v18, 0x180, v0
	v_subrev_u32_e32 v19, s30, v18
	v_min_u32_e32 v19, v18, v19
	v_cmp_gt_u32_e32 vcc, s30, v18
	;; [unrolled: 9-line block ×5, first 2 shown]
	global_load_dwordx2 v[3:4], v[3:4], off
	v_cndmask_b32_e32 v24, v28, v29, vcc
	global_load_dwordx2 v[5:6], v[5:6], off
	v_lshlrev_b32_e32 v25, 3, v25
	global_load_dwordx2 v[16:17], v[16:17], off
	v_cndmask_b32_e32 v30, v26, v27, vcc
	global_load_dwordx2 v[18:19], v[18:19], off
	v_add_co_u32_e32 v24, vcc, v24, v25
	global_load_dwordx2 v[20:21], v[20:21], off
	v_addc_co_u32_e32 v25, vcc, 0, v30, vcc
	global_load_dwordx2 v[22:23], v[22:23], off
	s_nop 0
	global_load_dwordx2 v[24:25], v[24:25], off
	s_mov_b64 s[4:5], -1
	s_waitcnt vmcnt(5)
	ds_write2st64_b64 v7, v[3:4], v[5:6] offset1:2
	s_waitcnt vmcnt(3)
	ds_write2st64_b64 v7, v[16:17], v[18:19] offset0:4 offset1:6
	s_waitcnt vmcnt(1)
	ds_write2st64_b64 v7, v[20:21], v[22:23] offset0:8 offset1:10
	s_waitcnt vmcnt(0)
	ds_write_b64 v7, v[24:25] offset:6144
	v_or_b32_e32 v16, 0x380, v0
	v_subrev_u32_e32 v3, s30, v16
	v_cmp_gt_u32_e32 vcc, s30, v16
	v_min_u32_e32 v5, v16, v3
	v_cndmask_b32_e32 v4, v26, v27, vcc
	v_cndmask_b32_e32 v3, v28, v29, vcc
	s_cbranch_execz .LBB45_32
	s_branch .LBB45_65
.LBB45_31:
	s_mov_b64 s[4:5], 0
                                        ; implicit-def: $vgpr16
                                        ; implicit-def: $vgpr3_vgpr4
                                        ; implicit-def: $vgpr5
.LBB45_32:
	s_and_saveexec_b64 s[4:5], s[2:3]
	s_xor_b64 s[2:3], exec, s[4:5]
	s_cbranch_execz .LBB45_36
; %bb.33:
	v_subrev_u32_e32 v3, s30, v0
	v_cmp_gt_u32_e32 vcc, s31, v3
	s_and_saveexec_b64 s[4:5], vcc
	s_cbranch_execz .LBB45_35
; %bb.34:
	v_lshlrev_b32_e32 v3, 3, v3
	global_load_dwordx2 v[3:4], v3, s[6:7]
	s_waitcnt vmcnt(0)
	ds_write_b64 v7, v[3:4]
.LBB45_35:
	s_or_b64 exec, exec, s[4:5]
.LBB45_36:
	s_or_saveexec_b64 s[2:3], s[2:3]
	v_mad_u32_u24 v5, v0, 7, v0
	s_xor_b64 exec, exec, s[2:3]
	s_cbranch_execz .LBB45_38
; %bb.37:
	global_load_dwordx2 v[3:4], v7, s[8:9]
	s_waitcnt vmcnt(0)
	ds_write_b64 v5, v[3:4]
.LBB45_38:
	s_or_b64 exec, exec, s[2:3]
	v_or_b32_e32 v6, 0x80, v0
	v_mov_b32_e32 v3, s26
	v_cmp_le_u32_e32 vcc, s30, v6
	s_mov_b64 s[2:3], -1
	v_mov_b32_e32 v4, s27
	s_and_saveexec_b64 s[4:5], vcc
; %bb.39:
	v_subrev_u32_e32 v6, s30, v6
	v_cmp_gt_u32_e32 vcc, s31, v6
	v_mov_b32_e32 v3, s28
	v_mov_b32_e32 v4, s29
	s_orn2_b64 s[2:3], vcc, exec
; %bb.40:
	s_or_b64 exec, exec, s[4:5]
	s_and_saveexec_b64 s[4:5], s[2:3]
	s_cbranch_execz .LBB45_42
; %bb.41:
	v_lshlrev_b64 v[3:4], 3, v[3:4]
	v_mov_b32_e32 v16, s17
	v_add_co_u32_e32 v3, vcc, s16, v3
	v_addc_co_u32_e32 v4, vcc, v16, v4, vcc
	v_lshlrev_b32_e32 v6, 3, v6
	v_add_co_u32_e32 v3, vcc, v3, v6
	v_addc_co_u32_e32 v4, vcc, 0, v4, vcc
	global_load_dwordx2 v[3:4], v[3:4], off
	s_waitcnt vmcnt(0)
	ds_write_b64 v5, v[3:4] offset:1024
.LBB45_42:
	s_or_b64 exec, exec, s[4:5]
	v_or_b32_e32 v6, 0x100, v0
	v_mov_b32_e32 v3, s26
	v_cmp_le_u32_e32 vcc, s30, v6
	s_mov_b64 s[2:3], -1
	v_mov_b32_e32 v4, s27
	s_and_saveexec_b64 s[4:5], vcc
; %bb.43:
	v_subrev_u32_e32 v6, s30, v6
	v_cmp_gt_u32_e32 vcc, s31, v6
	v_mov_b32_e32 v3, s28
	v_mov_b32_e32 v4, s29
	s_orn2_b64 s[2:3], vcc, exec
; %bb.44:
	s_or_b64 exec, exec, s[4:5]
	s_and_saveexec_b64 s[4:5], s[2:3]
	s_cbranch_execz .LBB45_46
; %bb.45:
	v_lshlrev_b64 v[3:4], 3, v[3:4]
	v_mov_b32_e32 v16, s17
	v_add_co_u32_e32 v3, vcc, s16, v3
	v_addc_co_u32_e32 v4, vcc, v16, v4, vcc
	v_lshlrev_b32_e32 v6, 3, v6
	v_add_co_u32_e32 v3, vcc, v3, v6
	v_addc_co_u32_e32 v4, vcc, 0, v4, vcc
	global_load_dwordx2 v[3:4], v[3:4], off
	s_waitcnt vmcnt(0)
	ds_write_b64 v5, v[3:4] offset:2048
.LBB45_46:
	;; [unrolled: 29-line block ×6, first 2 shown]
	s_or_b64 exec, exec, s[4:5]
	v_or_b32_e32 v16, 0x380, v0
	v_mov_b32_e32 v3, s8
	v_cmp_le_u32_e32 vcc, s30, v16
	s_mov_b64 s[4:5], -1
	v_mov_b32_e32 v4, s9
	v_mov_b32_e32 v5, v16
	s_and_saveexec_b64 s[2:3], vcc
; %bb.63:
	v_subrev_u32_e32 v5, s30, v16
	v_cmp_gt_u32_e32 vcc, s31, v5
	v_mov_b32_e32 v3, s6
	v_mov_b32_e32 v4, s7
	s_orn2_b64 s[4:5], vcc, exec
; %bb.64:
	s_or_b64 exec, exec, s[2:3]
.LBB45_65:
	s_and_saveexec_b64 s[2:3], s[4:5]
	s_cbranch_execz .LBB45_67
; %bb.66:
	v_mov_b32_e32 v6, 0
	v_lshlrev_b64 v[5:6], 3, v[5:6]
	v_add_co_u32_e32 v3, vcc, v3, v5
	v_addc_co_u32_e32 v4, vcc, v4, v6, vcc
	global_load_dwordx2 v[3:4], v[3:4], off
	v_lshlrev_b32_e32 v5, 3, v16
	s_waitcnt vmcnt(0)
	ds_write_b64 v5, v[3:4]
.LBB45_67:
	s_or_b64 exec, exec, s[2:3]
	s_and_b64 vcc, exec, s[0:1]
	v_add_u32_e32 v3, s22, v7
	s_waitcnt lgkmcnt(0)
	s_barrier
	s_cbranch_vccnz .LBB45_69
; %bb.68:
	v_lshlrev_b32_e32 v16, 3, v15
	v_lshlrev_b32_e32 v18, 3, v14
	v_lshlrev_b32_e32 v20, 3, v13
	v_lshlrev_b32_e32 v22, 3, v12
	v_lshlrev_b32_e32 v24, 3, v11
	v_lshlrev_b32_e32 v26, 3, v10
	v_lshlrev_b32_e32 v28, 3, v9
	v_mov_b32_e32 v4, 0
	ds_read_b64 v[16:17], v16
	ds_read_b64 v[18:19], v18
	;; [unrolled: 1-line block ×7, first 2 shown]
	v_lshlrev_b64 v[5:6], 3, v[3:4]
	v_mov_b32_e32 v30, s19
	v_add_co_u32_e32 v5, vcc, s18, v5
	v_addc_co_u32_e32 v6, vcc, v30, v6, vcc
	s_mov_b64 s[0:1], -1
	s_waitcnt lgkmcnt(5)
	global_store_dwordx4 v[5:6], v[16:19], off
	s_waitcnt lgkmcnt(3)
	global_store_dwordx4 v[5:6], v[20:23], off offset:16
	s_waitcnt lgkmcnt(1)
	global_store_dwordx4 v[5:6], v[24:27], off offset:32
	s_waitcnt lgkmcnt(0)
	global_store_dwordx2 v[5:6], v[28:29], off offset:48
	s_cbranch_execz .LBB45_70
	s_branch .LBB45_87
.LBB45_69:
	s_mov_b64 s[0:1], 0
.LBB45_70:
	v_cmp_gt_u32_e32 vcc, s21, v7
	s_and_saveexec_b64 s[2:3], vcc
	s_cbranch_execz .LBB45_72
; %bb.71:
	v_lshlrev_b32_e32 v6, 3, v15
	v_mov_b32_e32 v4, 0
	ds_read_b64 v[15:16], v6
	v_lshlrev_b64 v[4:5], 3, v[3:4]
	v_mov_b32_e32 v17, s19
	v_add_co_u32_e32 v4, vcc, s18, v4
	v_addc_co_u32_e32 v5, vcc, v17, v5, vcc
	s_waitcnt lgkmcnt(0)
	global_store_dwordx2 v[4:5], v[15:16], off
.LBB45_72:
	s_or_b64 exec, exec, s[2:3]
	v_or_b32_e32 v4, 1, v7
	v_cmp_gt_u32_e32 vcc, s21, v4
	s_and_saveexec_b64 s[2:3], vcc
	s_cbranch_execz .LBB45_74
; %bb.73:
	v_lshlrev_b32_e32 v6, 3, v14
	v_mov_b32_e32 v4, 0
	ds_read_b64 v[14:15], v6
	v_lshlrev_b64 v[4:5], 3, v[3:4]
	v_mov_b32_e32 v16, s19
	v_add_co_u32_e32 v4, vcc, s18, v4
	v_addc_co_u32_e32 v5, vcc, v16, v5, vcc
	s_waitcnt lgkmcnt(0)
	global_store_dwordx2 v[4:5], v[14:15], off offset:8
.LBB45_74:
	s_or_b64 exec, exec, s[2:3]
	v_or_b32_e32 v4, 2, v7
	v_cmp_gt_u32_e32 vcc, s21, v4
	s_and_saveexec_b64 s[2:3], vcc
	s_cbranch_execz .LBB45_76
; %bb.75:
	v_lshlrev_b32_e32 v6, 3, v13
	v_mov_b32_e32 v4, 0
	ds_read_b64 v[13:14], v6
	v_lshlrev_b64 v[4:5], 3, v[3:4]
	v_mov_b32_e32 v15, s19
	v_add_co_u32_e32 v4, vcc, s18, v4
	v_addc_co_u32_e32 v5, vcc, v15, v5, vcc
	s_waitcnt lgkmcnt(0)
	global_store_dwordx2 v[4:5], v[13:14], off offset:16
.LBB45_76:
	;; [unrolled: 16-line block ×6, first 2 shown]
	s_or_b64 exec, exec, s[2:3]
	v_or_b32_e32 v4, 7, v7
	v_cmp_gt_u32_e32 vcc, s21, v4
	s_and_saveexec_b64 s[2:3], vcc
; %bb.85:
	v_mov_b32_e32 v4, 0
	s_or_b64 s[0:1], s[0:1], exec
; %bb.86:
	s_or_b64 exec, exec, s[2:3]
.LBB45_87:
	s_and_saveexec_b64 s[2:3], s[0:1]
	s_cbranch_execz .LBB45_89
; %bb.88:
	v_lshlrev_b32_e32 v5, 3, v8
	ds_read_b64 v[5:6], v5
	v_lshlrev_b64 v[3:4], 3, v[3:4]
	v_mov_b32_e32 v8, s19
	v_add_co_u32_e32 v3, vcc, s18, v3
	v_addc_co_u32_e32 v4, vcc, v8, v4, vcc
	s_waitcnt lgkmcnt(0)
	global_store_dwordx2 v[3:4], v[5:6], off offset:56
.LBB45_89:
	s_or_b64 exec, exec, s[2:3]
	v_lshrrev_b32_e32 v3, 2, v0
	s_add_u32 s0, s14, s22
	v_and_b32_e32 v3, 28, v3
	s_addc_u32 s1, s15, 0
	v_add_u32_e32 v3, v3, v7
	s_waitcnt vmcnt(0)
	s_barrier
	s_barrier
	ds_write2_b32 v3, v1, v2 offset1:1
	v_mov_b32_e32 v2, s1
	v_add_co_u32_e32 v1, vcc, s0, v0
	v_addc_co_u32_e32 v2, vcc, 0, v2, vcc
	s_and_b64 vcc, exec, s[24:25]
	v_add_u32_e32 v4, 4, v0
	v_add_u32_e32 v5, 8, v0
	v_add_u32_e32 v6, 12, v0
	v_add_u32_e32 v7, 16, v0
	v_add_u32_e32 v8, 20, v0
	v_add_u32_e32 v9, 24, v0
	v_add_u32_e32 v10, 28, v0
	s_waitcnt lgkmcnt(0)
	s_cbranch_vccz .LBB45_91
; %bb.90:
	s_barrier
	ds_read_u8 v11, v0
	ds_read_u8 v12, v4 offset:128
	ds_read_u8 v13, v5 offset:256
	;; [unrolled: 1-line block ×7, first 2 shown]
	s_waitcnt lgkmcnt(7)
	global_store_byte v[1:2], v11, off
	s_waitcnt lgkmcnt(6)
	global_store_byte v[1:2], v12, off offset:128
	s_waitcnt lgkmcnt(5)
	global_store_byte v[1:2], v13, off offset:256
	;; [unrolled: 2-line block ×6, first 2 shown]
	s_mov_b64 s[0:1], -1
	s_cbranch_execz .LBB45_92
	s_branch .LBB45_107
.LBB45_91:
	s_mov_b64 s[0:1], 0
                                        ; implicit-def: $vgpr3
.LBB45_92:
	s_waitcnt vmcnt(0) lgkmcnt(0)
	s_barrier
	ds_read_u8 v13, v4 offset:128
	ds_read_u8 v12, v5 offset:256
	;; [unrolled: 1-line block ×7, first 2 shown]
	s_sub_i32 s2, s20, s22
	v_or_b32_e32 v7, 0x80, v0
	v_cmp_gt_u32_e32 vcc, s2, v0
	s_and_saveexec_b64 s[0:1], vcc
	s_cbranch_execz .LBB45_94
; %bb.93:
	ds_read_u8 v8, v0
	s_waitcnt lgkmcnt(0)
	global_store_byte v[1:2], v8, off
.LBB45_94:
	s_or_b64 exec, exec, s[0:1]
	v_or_b32_e32 v8, 0x100, v0
	v_cmp_gt_u32_e32 vcc, s2, v7
	s_and_saveexec_b64 s[0:1], vcc
	s_cbranch_execz .LBB45_96
; %bb.95:
	s_waitcnt lgkmcnt(6)
	global_store_byte v[1:2], v13, off offset:128
.LBB45_96:
	s_or_b64 exec, exec, s[0:1]
	v_or_b32_e32 v7, 0x180, v0
	v_cmp_gt_u32_e32 vcc, s2, v8
	s_and_saveexec_b64 s[0:1], vcc
	s_cbranch_execz .LBB45_98
; %bb.97:
	s_waitcnt lgkmcnt(5)
	global_store_byte v[1:2], v12, off offset:256
.LBB45_98:
	;; [unrolled: 9-line block ×4, first 2 shown]
	s_or_b64 exec, exec, s[0:1]
	s_waitcnt lgkmcnt(3)
	v_or_b32_e32 v6, 0x300, v0
	v_cmp_gt_u32_e32 vcc, s2, v7
	s_and_saveexec_b64 s[0:1], vcc
	s_cbranch_execz .LBB45_104
; %bb.103:
	s_waitcnt lgkmcnt(2)
	global_store_byte v[1:2], v5, off offset:640
.LBB45_104:
	s_or_b64 exec, exec, s[0:1]
	v_or_b32_e32 v0, 0x380, v0
	v_cmp_gt_u32_e32 vcc, s2, v6
	s_and_saveexec_b64 s[0:1], vcc
	s_cbranch_execz .LBB45_106
; %bb.105:
	s_waitcnt lgkmcnt(1)
	global_store_byte v[1:2], v4, off offset:768
.LBB45_106:
	s_or_b64 exec, exec, s[0:1]
	v_cmp_gt_u32_e64 s[0:1], s2, v0
.LBB45_107:
	s_and_saveexec_b64 s[2:3], s[0:1]
	s_cbranch_execz .LBB45_109
; %bb.108:
	s_waitcnt lgkmcnt(0)
	global_store_byte v[1:2], v3, off offset:896
.LBB45_109:
	s_endpgm
.LBB45_110:
	v_mov_b32_e32 v1, s7
	v_add_co_u32_e32 v6, vcc, s5, v0
	v_addc_co_u32_e32 v1, vcc, 0, v1, vcc
	v_subrev_co_u32_e32 v2, vcc, s30, v0
	v_mov_b32_e32 v7, s8
	v_add_co_u32_e64 v8, s[0:1], s4, v2
	v_addc_co_u32_e64 v2, s[0:1], 0, v7, s[0:1]
	v_cndmask_b32_e32 v2, v2, v1, vcc
	v_cndmask_b32_e32 v1, v8, v6, vcc
	global_load_ubyte v1, v[1:2], off
	v_mov_b32_e32 v2, s6
	s_waitcnt vmcnt(0)
	v_and_b32_e32 v1, 0xffff, v1
	s_or_b64 exec, exec, s[2:3]
	v_cmp_gt_u32_e32 vcc, s21, v5
	s_and_saveexec_b64 s[2:3], vcc
	s_cbranch_execz .LBB45_6
.LBB45_111:
	v_mov_b32_e32 v6, s7
	v_add_co_u32_e32 v7, vcc, s5, v5
	v_addc_co_u32_e32 v6, vcc, 0, v6, vcc
	v_subrev_co_u32_e32 v5, vcc, s30, v5
	v_mov_b32_e32 v8, s8
	v_add_co_u32_e64 v5, s[0:1], s4, v5
	v_addc_co_u32_e64 v8, s[0:1], 0, v8, s[0:1]
	v_cndmask_b32_e32 v6, v8, v6, vcc
	v_cndmask_b32_e32 v5, v5, v7, vcc
	global_load_ubyte v5, v[5:6], off
	s_mov_b32 s0, 0x7060004
	s_waitcnt vmcnt(0)
	v_perm_b32 v1, v1, v5, s0
	s_or_b64 exec, exec, s[2:3]
	v_cmp_gt_u32_e32 vcc, s21, v4
	s_and_saveexec_b64 s[2:3], vcc
	s_cbranch_execnz .LBB45_7
	s_branch .LBB45_8
	.section	.rodata,"a",@progbits
	.p2align	6, 0x0
	.amdhsa_kernel _ZN7rocprim17ROCPRIM_304000_NS6detail35device_block_merge_mergepath_kernelINS1_37wrapped_merge_sort_block_merge_configINS0_14default_configEaN2at4cuda3cub6detail10OpaqueTypeILi8EEEEEPaSC_PSA_SD_jNS1_19radix_merge_compareILb0ELb1EaNS0_19identity_decomposerEEEEEvT0_T1_T2_T3_T4_SL_jT5_PKSL_NS1_7vsmem_tE
		.amdhsa_group_segment_fixed_size 8208
		.amdhsa_private_segment_fixed_size 0
		.amdhsa_kernarg_size 320
		.amdhsa_user_sgpr_count 6
		.amdhsa_user_sgpr_private_segment_buffer 1
		.amdhsa_user_sgpr_dispatch_ptr 0
		.amdhsa_user_sgpr_queue_ptr 0
		.amdhsa_user_sgpr_kernarg_segment_ptr 1
		.amdhsa_user_sgpr_dispatch_id 0
		.amdhsa_user_sgpr_flat_scratch_init 0
		.amdhsa_user_sgpr_private_segment_size 0
		.amdhsa_uses_dynamic_stack 0
		.amdhsa_system_sgpr_private_segment_wavefront_offset 0
		.amdhsa_system_sgpr_workgroup_id_x 1
		.amdhsa_system_sgpr_workgroup_id_y 1
		.amdhsa_system_sgpr_workgroup_id_z 1
		.amdhsa_system_sgpr_workgroup_info 0
		.amdhsa_system_vgpr_workitem_id 0
		.amdhsa_next_free_vgpr 49
		.amdhsa_next_free_sgpr 98
		.amdhsa_reserve_vcc 1
		.amdhsa_reserve_flat_scratch 0
		.amdhsa_float_round_mode_32 0
		.amdhsa_float_round_mode_16_64 0
		.amdhsa_float_denorm_mode_32 3
		.amdhsa_float_denorm_mode_16_64 3
		.amdhsa_dx10_clamp 1
		.amdhsa_ieee_mode 1
		.amdhsa_fp16_overflow 0
		.amdhsa_exception_fp_ieee_invalid_op 0
		.amdhsa_exception_fp_denorm_src 0
		.amdhsa_exception_fp_ieee_div_zero 0
		.amdhsa_exception_fp_ieee_overflow 0
		.amdhsa_exception_fp_ieee_underflow 0
		.amdhsa_exception_fp_ieee_inexact 0
		.amdhsa_exception_int_div_zero 0
	.end_amdhsa_kernel
	.section	.text._ZN7rocprim17ROCPRIM_304000_NS6detail35device_block_merge_mergepath_kernelINS1_37wrapped_merge_sort_block_merge_configINS0_14default_configEaN2at4cuda3cub6detail10OpaqueTypeILi8EEEEEPaSC_PSA_SD_jNS1_19radix_merge_compareILb0ELb1EaNS0_19identity_decomposerEEEEEvT0_T1_T2_T3_T4_SL_jT5_PKSL_NS1_7vsmem_tE,"axG",@progbits,_ZN7rocprim17ROCPRIM_304000_NS6detail35device_block_merge_mergepath_kernelINS1_37wrapped_merge_sort_block_merge_configINS0_14default_configEaN2at4cuda3cub6detail10OpaqueTypeILi8EEEEEPaSC_PSA_SD_jNS1_19radix_merge_compareILb0ELb1EaNS0_19identity_decomposerEEEEEvT0_T1_T2_T3_T4_SL_jT5_PKSL_NS1_7vsmem_tE,comdat
.Lfunc_end45:
	.size	_ZN7rocprim17ROCPRIM_304000_NS6detail35device_block_merge_mergepath_kernelINS1_37wrapped_merge_sort_block_merge_configINS0_14default_configEaN2at4cuda3cub6detail10OpaqueTypeILi8EEEEEPaSC_PSA_SD_jNS1_19radix_merge_compareILb0ELb1EaNS0_19identity_decomposerEEEEEvT0_T1_T2_T3_T4_SL_jT5_PKSL_NS1_7vsmem_tE, .Lfunc_end45-_ZN7rocprim17ROCPRIM_304000_NS6detail35device_block_merge_mergepath_kernelINS1_37wrapped_merge_sort_block_merge_configINS0_14default_configEaN2at4cuda3cub6detail10OpaqueTypeILi8EEEEEPaSC_PSA_SD_jNS1_19radix_merge_compareILb0ELb1EaNS0_19identity_decomposerEEEEEvT0_T1_T2_T3_T4_SL_jT5_PKSL_NS1_7vsmem_tE
                                        ; -- End function
	.set _ZN7rocprim17ROCPRIM_304000_NS6detail35device_block_merge_mergepath_kernelINS1_37wrapped_merge_sort_block_merge_configINS0_14default_configEaN2at4cuda3cub6detail10OpaqueTypeILi8EEEEEPaSC_PSA_SD_jNS1_19radix_merge_compareILb0ELb1EaNS0_19identity_decomposerEEEEEvT0_T1_T2_T3_T4_SL_jT5_PKSL_NS1_7vsmem_tE.num_vgpr, 31
	.set _ZN7rocprim17ROCPRIM_304000_NS6detail35device_block_merge_mergepath_kernelINS1_37wrapped_merge_sort_block_merge_configINS0_14default_configEaN2at4cuda3cub6detail10OpaqueTypeILi8EEEEEPaSC_PSA_SD_jNS1_19radix_merge_compareILb0ELb1EaNS0_19identity_decomposerEEEEEvT0_T1_T2_T3_T4_SL_jT5_PKSL_NS1_7vsmem_tE.num_agpr, 0
	.set _ZN7rocprim17ROCPRIM_304000_NS6detail35device_block_merge_mergepath_kernelINS1_37wrapped_merge_sort_block_merge_configINS0_14default_configEaN2at4cuda3cub6detail10OpaqueTypeILi8EEEEEPaSC_PSA_SD_jNS1_19radix_merge_compareILb0ELb1EaNS0_19identity_decomposerEEEEEvT0_T1_T2_T3_T4_SL_jT5_PKSL_NS1_7vsmem_tE.numbered_sgpr, 36
	.set _ZN7rocprim17ROCPRIM_304000_NS6detail35device_block_merge_mergepath_kernelINS1_37wrapped_merge_sort_block_merge_configINS0_14default_configEaN2at4cuda3cub6detail10OpaqueTypeILi8EEEEEPaSC_PSA_SD_jNS1_19radix_merge_compareILb0ELb1EaNS0_19identity_decomposerEEEEEvT0_T1_T2_T3_T4_SL_jT5_PKSL_NS1_7vsmem_tE.num_named_barrier, 0
	.set _ZN7rocprim17ROCPRIM_304000_NS6detail35device_block_merge_mergepath_kernelINS1_37wrapped_merge_sort_block_merge_configINS0_14default_configEaN2at4cuda3cub6detail10OpaqueTypeILi8EEEEEPaSC_PSA_SD_jNS1_19radix_merge_compareILb0ELb1EaNS0_19identity_decomposerEEEEEvT0_T1_T2_T3_T4_SL_jT5_PKSL_NS1_7vsmem_tE.private_seg_size, 0
	.set _ZN7rocprim17ROCPRIM_304000_NS6detail35device_block_merge_mergepath_kernelINS1_37wrapped_merge_sort_block_merge_configINS0_14default_configEaN2at4cuda3cub6detail10OpaqueTypeILi8EEEEEPaSC_PSA_SD_jNS1_19radix_merge_compareILb0ELb1EaNS0_19identity_decomposerEEEEEvT0_T1_T2_T3_T4_SL_jT5_PKSL_NS1_7vsmem_tE.uses_vcc, 1
	.set _ZN7rocprim17ROCPRIM_304000_NS6detail35device_block_merge_mergepath_kernelINS1_37wrapped_merge_sort_block_merge_configINS0_14default_configEaN2at4cuda3cub6detail10OpaqueTypeILi8EEEEEPaSC_PSA_SD_jNS1_19radix_merge_compareILb0ELb1EaNS0_19identity_decomposerEEEEEvT0_T1_T2_T3_T4_SL_jT5_PKSL_NS1_7vsmem_tE.uses_flat_scratch, 0
	.set _ZN7rocprim17ROCPRIM_304000_NS6detail35device_block_merge_mergepath_kernelINS1_37wrapped_merge_sort_block_merge_configINS0_14default_configEaN2at4cuda3cub6detail10OpaqueTypeILi8EEEEEPaSC_PSA_SD_jNS1_19radix_merge_compareILb0ELb1EaNS0_19identity_decomposerEEEEEvT0_T1_T2_T3_T4_SL_jT5_PKSL_NS1_7vsmem_tE.has_dyn_sized_stack, 0
	.set _ZN7rocprim17ROCPRIM_304000_NS6detail35device_block_merge_mergepath_kernelINS1_37wrapped_merge_sort_block_merge_configINS0_14default_configEaN2at4cuda3cub6detail10OpaqueTypeILi8EEEEEPaSC_PSA_SD_jNS1_19radix_merge_compareILb0ELb1EaNS0_19identity_decomposerEEEEEvT0_T1_T2_T3_T4_SL_jT5_PKSL_NS1_7vsmem_tE.has_recursion, 0
	.set _ZN7rocprim17ROCPRIM_304000_NS6detail35device_block_merge_mergepath_kernelINS1_37wrapped_merge_sort_block_merge_configINS0_14default_configEaN2at4cuda3cub6detail10OpaqueTypeILi8EEEEEPaSC_PSA_SD_jNS1_19radix_merge_compareILb0ELb1EaNS0_19identity_decomposerEEEEEvT0_T1_T2_T3_T4_SL_jT5_PKSL_NS1_7vsmem_tE.has_indirect_call, 0
	.section	.AMDGPU.csdata,"",@progbits
; Kernel info:
; codeLenInByte = 5680
; TotalNumSgprs: 40
; NumVgprs: 31
; ScratchSize: 0
; MemoryBound: 0
; FloatMode: 240
; IeeeMode: 1
; LDSByteSize: 8208 bytes/workgroup (compile time only)
; SGPRBlocks: 12
; VGPRBlocks: 12
; NumSGPRsForWavesPerEU: 102
; NumVGPRsForWavesPerEU: 49
; Occupancy: 4
; WaveLimiterHint : 1
; COMPUTE_PGM_RSRC2:SCRATCH_EN: 0
; COMPUTE_PGM_RSRC2:USER_SGPR: 6
; COMPUTE_PGM_RSRC2:TRAP_HANDLER: 0
; COMPUTE_PGM_RSRC2:TGID_X_EN: 1
; COMPUTE_PGM_RSRC2:TGID_Y_EN: 1
; COMPUTE_PGM_RSRC2:TGID_Z_EN: 1
; COMPUTE_PGM_RSRC2:TIDIG_COMP_CNT: 0
	.section	.text._ZN7rocprim17ROCPRIM_304000_NS6detail33device_block_merge_oddeven_kernelINS1_37wrapped_merge_sort_block_merge_configINS0_14default_configEaN2at4cuda3cub6detail10OpaqueTypeILi8EEEEEPaSC_PSA_SD_jNS1_19radix_merge_compareILb0ELb1EaNS0_19identity_decomposerEEEEEvT0_T1_T2_T3_T4_SL_T5_,"axG",@progbits,_ZN7rocprim17ROCPRIM_304000_NS6detail33device_block_merge_oddeven_kernelINS1_37wrapped_merge_sort_block_merge_configINS0_14default_configEaN2at4cuda3cub6detail10OpaqueTypeILi8EEEEEPaSC_PSA_SD_jNS1_19radix_merge_compareILb0ELb1EaNS0_19identity_decomposerEEEEEvT0_T1_T2_T3_T4_SL_T5_,comdat
	.protected	_ZN7rocprim17ROCPRIM_304000_NS6detail33device_block_merge_oddeven_kernelINS1_37wrapped_merge_sort_block_merge_configINS0_14default_configEaN2at4cuda3cub6detail10OpaqueTypeILi8EEEEEPaSC_PSA_SD_jNS1_19radix_merge_compareILb0ELb1EaNS0_19identity_decomposerEEEEEvT0_T1_T2_T3_T4_SL_T5_ ; -- Begin function _ZN7rocprim17ROCPRIM_304000_NS6detail33device_block_merge_oddeven_kernelINS1_37wrapped_merge_sort_block_merge_configINS0_14default_configEaN2at4cuda3cub6detail10OpaqueTypeILi8EEEEEPaSC_PSA_SD_jNS1_19radix_merge_compareILb0ELb1EaNS0_19identity_decomposerEEEEEvT0_T1_T2_T3_T4_SL_T5_
	.globl	_ZN7rocprim17ROCPRIM_304000_NS6detail33device_block_merge_oddeven_kernelINS1_37wrapped_merge_sort_block_merge_configINS0_14default_configEaN2at4cuda3cub6detail10OpaqueTypeILi8EEEEEPaSC_PSA_SD_jNS1_19radix_merge_compareILb0ELb1EaNS0_19identity_decomposerEEEEEvT0_T1_T2_T3_T4_SL_T5_
	.p2align	8
	.type	_ZN7rocprim17ROCPRIM_304000_NS6detail33device_block_merge_oddeven_kernelINS1_37wrapped_merge_sort_block_merge_configINS0_14default_configEaN2at4cuda3cub6detail10OpaqueTypeILi8EEEEEPaSC_PSA_SD_jNS1_19radix_merge_compareILb0ELb1EaNS0_19identity_decomposerEEEEEvT0_T1_T2_T3_T4_SL_T5_,@function
_ZN7rocprim17ROCPRIM_304000_NS6detail33device_block_merge_oddeven_kernelINS1_37wrapped_merge_sort_block_merge_configINS0_14default_configEaN2at4cuda3cub6detail10OpaqueTypeILi8EEEEEPaSC_PSA_SD_jNS1_19radix_merge_compareILb0ELb1EaNS0_19identity_decomposerEEEEEvT0_T1_T2_T3_T4_SL_T5_: ; @_ZN7rocprim17ROCPRIM_304000_NS6detail33device_block_merge_oddeven_kernelINS1_37wrapped_merge_sort_block_merge_configINS0_14default_configEaN2at4cuda3cub6detail10OpaqueTypeILi8EEEEEPaSC_PSA_SD_jNS1_19radix_merge_compareILb0ELb1EaNS0_19identity_decomposerEEEEEvT0_T1_T2_T3_T4_SL_T5_
; %bb.0:
	s_load_dwordx4 s[16:19], s[4:5], 0x20
	s_waitcnt lgkmcnt(0)
	s_lshr_b32 s0, s16, 8
	s_cmp_eq_u32 s6, s0
	s_cselect_b64 s[20:21], -1, 0
	s_cmp_lg_u32 s6, s0
	s_cselect_b64 s[0:1], -1, 0
	s_lshl_b32 s22, s6, 8
	s_sub_i32 s2, s16, s22
	v_cmp_gt_u32_e64 s[2:3], s2, v0
	s_or_b64 s[0:1], s[0:1], s[2:3]
	s_and_saveexec_b64 s[8:9], s[0:1]
	s_cbranch_execz .LBB46_24
; %bb.1:
	s_load_dwordx8 s[8:15], s[4:5], 0x0
	s_mov_b32 s23, 0
	v_lshlrev_b32_e32 v3, 3, v0
	s_waitcnt lgkmcnt(0)
	s_add_u32 s0, s8, s22
	s_addc_u32 s1, s9, 0
	s_lshl_b64 s[4:5], s[22:23], 3
	s_add_u32 s4, s12, s4
	s_addc_u32 s5, s13, s5
	global_load_dwordx2 v[1:2], v3, s[4:5]
	global_load_ubyte v5, v0, s[0:1]
	s_lshr_b32 s0, s17, 8
	s_sub_i32 s1, 0, s0
	s_and_b32 s1, s6, s1
	s_and_b32 s0, s1, s0
	s_lshl_b32 s13, s1, 8
	s_sub_i32 s6, 0, s17
	s_cmp_eq_u32 s0, 0
	s_cselect_b64 s[0:1], -1, 0
	s_and_b64 s[4:5], s[0:1], exec
	s_cselect_b32 s6, s17, s6
	s_add_i32 s6, s6, s13
	s_mov_b64 s[4:5], -1
	s_cmp_gt_u32 s16, s6
	v_add_u32_e32 v3, s22, v0
	s_cbranch_scc1 .LBB46_9
; %bb.2:
	s_and_b64 vcc, exec, s[20:21]
	s_cbranch_vccz .LBB46_6
; %bb.3:
	v_cmp_gt_u32_e32 vcc, s16, v3
	s_and_saveexec_b64 s[4:5], vcc
	s_cbranch_execz .LBB46_5
; %bb.4:
	v_mov_b32_e32 v4, 0
	v_lshlrev_b64 v[6:7], 3, v[3:4]
	v_mov_b32_e32 v0, s15
	v_add_co_u32_e32 v6, vcc, s14, v6
	v_addc_co_u32_e32 v7, vcc, v0, v7, vcc
	s_waitcnt vmcnt(0)
	global_store_byte v3, v5, s[10:11]
	global_store_dwordx2 v[6:7], v[1:2], off
.LBB46_5:
	s_or_b64 exec, exec, s[4:5]
	s_mov_b64 s[4:5], 0
.LBB46_6:
	s_andn2_b64 vcc, exec, s[4:5]
	s_cbranch_vccnz .LBB46_8
; %bb.7:
	v_mov_b32_e32 v4, 0
	v_lshlrev_b64 v[6:7], 3, v[3:4]
	v_mov_b32_e32 v0, s15
	v_add_co_u32_e32 v6, vcc, s14, v6
	v_addc_co_u32_e32 v7, vcc, v0, v7, vcc
	s_waitcnt vmcnt(0)
	global_store_byte v3, v5, s[10:11]
	global_store_dwordx2 v[6:7], v[1:2], off
.LBB46_8:
	s_mov_b64 s[4:5], 0
.LBB46_9:
	s_andn2_b64 vcc, exec, s[4:5]
	s_cbranch_vccnz .LBB46_24
; %bb.10:
	s_min_u32 s7, s6, s16
	s_add_i32 s4, s7, s17
	s_min_u32 s12, s4, s16
	s_min_u32 s4, s13, s7
	s_add_i32 s13, s13, s7
	v_subrev_u32_e32 v0, s13, v3
	v_add_u32_e32 v0, s4, v0
	s_waitcnt vmcnt(0)
	v_and_b32_e32 v3, s18, v5
	s_mov_b64 s[4:5], -1
	s_and_b64 vcc, exec, s[20:21]
	s_cbranch_vccz .LBB46_18
; %bb.11:
	s_and_saveexec_b64 s[4:5], s[2:3]
	s_cbranch_execz .LBB46_17
; %bb.12:
	s_cmp_ge_u32 s6, s12
	v_mov_b32_e32 v4, s7
	s_cbranch_scc1 .LBB46_16
; %bb.13:
	s_mov_b64 s[2:3], 0
	v_mov_b32_e32 v6, s12
	v_mov_b32_e32 v4, s7
.LBB46_14:                              ; =>This Inner Loop Header: Depth=1
	v_add_u32_e32 v7, v4, v6
	v_lshrrev_b32_e32 v7, 1, v7
	global_load_ubyte v8, v7, s[8:9]
	v_add_u32_e32 v9, 1, v7
	s_waitcnt vmcnt(0)
	v_and_b32_e32 v8, s18, v8
	v_cmp_gt_i16_sdwa s[16:17], sext(v3), sext(v8) src0_sel:BYTE_0 src1_sel:BYTE_0
	v_cndmask_b32_e64 v10, 0, 1, s[16:17]
	v_cmp_le_i16_sdwa s[16:17], sext(v8), sext(v3) src0_sel:BYTE_0 src1_sel:BYTE_0
	v_cndmask_b32_e64 v8, 0, 1, s[16:17]
	v_cndmask_b32_e64 v8, v8, v10, s[0:1]
	v_and_b32_e32 v8, 1, v8
	v_cmp_eq_u32_e32 vcc, 1, v8
	v_cndmask_b32_e32 v6, v7, v6, vcc
	v_cndmask_b32_e32 v4, v4, v9, vcc
	v_cmp_ge_u32_e32 vcc, v4, v6
	s_or_b64 s[2:3], vcc, s[2:3]
	s_andn2_b64 exec, exec, s[2:3]
	s_cbranch_execnz .LBB46_14
; %bb.15:
	s_or_b64 exec, exec, s[2:3]
.LBB46_16:
	v_add_u32_e32 v6, v4, v0
	v_mov_b32_e32 v7, 0
	global_store_byte v6, v5, s[10:11]
	v_lshlrev_b64 v[6:7], 3, v[6:7]
	v_mov_b32_e32 v4, s15
	v_add_co_u32_e32 v6, vcc, s14, v6
	v_addc_co_u32_e32 v7, vcc, v4, v7, vcc
	global_store_dwordx2 v[6:7], v[1:2], off
.LBB46_17:
	s_or_b64 exec, exec, s[4:5]
	s_mov_b64 s[4:5], 0
.LBB46_18:
	s_andn2_b64 vcc, exec, s[4:5]
	s_cbranch_vccnz .LBB46_24
; %bb.19:
	s_cmp_ge_u32 s6, s12
	v_mov_b32_e32 v4, s7
	s_cbranch_scc1 .LBB46_23
; %bb.20:
	s_mov_b64 s[2:3], 0
	v_mov_b32_e32 v6, s12
	v_mov_b32_e32 v4, s7
.LBB46_21:                              ; =>This Inner Loop Header: Depth=1
	v_add_u32_e32 v7, v4, v6
	v_lshrrev_b32_e32 v7, 1, v7
	global_load_ubyte v8, v7, s[8:9]
	v_add_u32_e32 v9, 1, v7
	s_waitcnt vmcnt(0)
	v_and_b32_e32 v8, s18, v8
	v_cmp_gt_i16_sdwa s[4:5], sext(v3), sext(v8) src0_sel:BYTE_0 src1_sel:BYTE_0
	v_cndmask_b32_e64 v10, 0, 1, s[4:5]
	v_cmp_le_i16_sdwa s[4:5], sext(v8), sext(v3) src0_sel:BYTE_0 src1_sel:BYTE_0
	v_cndmask_b32_e64 v8, 0, 1, s[4:5]
	v_cndmask_b32_e64 v8, v8, v10, s[0:1]
	v_and_b32_e32 v8, 1, v8
	v_cmp_eq_u32_e32 vcc, 1, v8
	v_cndmask_b32_e32 v6, v7, v6, vcc
	v_cndmask_b32_e32 v4, v4, v9, vcc
	v_cmp_ge_u32_e32 vcc, v4, v6
	s_or_b64 s[2:3], vcc, s[2:3]
	s_andn2_b64 exec, exec, s[2:3]
	s_cbranch_execnz .LBB46_21
; %bb.22:
	s_or_b64 exec, exec, s[2:3]
.LBB46_23:
	v_add_u32_e32 v3, v4, v0
	v_mov_b32_e32 v4, 0
	global_store_byte v3, v5, s[10:11]
	v_lshlrev_b64 v[3:4], 3, v[3:4]
	v_mov_b32_e32 v0, s15
	v_add_co_u32_e32 v3, vcc, s14, v3
	v_addc_co_u32_e32 v4, vcc, v0, v4, vcc
	global_store_dwordx2 v[3:4], v[1:2], off
.LBB46_24:
	s_endpgm
	.section	.rodata,"a",@progbits
	.p2align	6, 0x0
	.amdhsa_kernel _ZN7rocprim17ROCPRIM_304000_NS6detail33device_block_merge_oddeven_kernelINS1_37wrapped_merge_sort_block_merge_configINS0_14default_configEaN2at4cuda3cub6detail10OpaqueTypeILi8EEEEEPaSC_PSA_SD_jNS1_19radix_merge_compareILb0ELb1EaNS0_19identity_decomposerEEEEEvT0_T1_T2_T3_T4_SL_T5_
		.amdhsa_group_segment_fixed_size 0
		.amdhsa_private_segment_fixed_size 0
		.amdhsa_kernarg_size 44
		.amdhsa_user_sgpr_count 6
		.amdhsa_user_sgpr_private_segment_buffer 1
		.amdhsa_user_sgpr_dispatch_ptr 0
		.amdhsa_user_sgpr_queue_ptr 0
		.amdhsa_user_sgpr_kernarg_segment_ptr 1
		.amdhsa_user_sgpr_dispatch_id 0
		.amdhsa_user_sgpr_flat_scratch_init 0
		.amdhsa_user_sgpr_private_segment_size 0
		.amdhsa_uses_dynamic_stack 0
		.amdhsa_system_sgpr_private_segment_wavefront_offset 0
		.amdhsa_system_sgpr_workgroup_id_x 1
		.amdhsa_system_sgpr_workgroup_id_y 0
		.amdhsa_system_sgpr_workgroup_id_z 0
		.amdhsa_system_sgpr_workgroup_info 0
		.amdhsa_system_vgpr_workitem_id 0
		.amdhsa_next_free_vgpr 11
		.amdhsa_next_free_sgpr 24
		.amdhsa_reserve_vcc 1
		.amdhsa_reserve_flat_scratch 0
		.amdhsa_float_round_mode_32 0
		.amdhsa_float_round_mode_16_64 0
		.amdhsa_float_denorm_mode_32 3
		.amdhsa_float_denorm_mode_16_64 3
		.amdhsa_dx10_clamp 1
		.amdhsa_ieee_mode 1
		.amdhsa_fp16_overflow 0
		.amdhsa_exception_fp_ieee_invalid_op 0
		.amdhsa_exception_fp_denorm_src 0
		.amdhsa_exception_fp_ieee_div_zero 0
		.amdhsa_exception_fp_ieee_overflow 0
		.amdhsa_exception_fp_ieee_underflow 0
		.amdhsa_exception_fp_ieee_inexact 0
		.amdhsa_exception_int_div_zero 0
	.end_amdhsa_kernel
	.section	.text._ZN7rocprim17ROCPRIM_304000_NS6detail33device_block_merge_oddeven_kernelINS1_37wrapped_merge_sort_block_merge_configINS0_14default_configEaN2at4cuda3cub6detail10OpaqueTypeILi8EEEEEPaSC_PSA_SD_jNS1_19radix_merge_compareILb0ELb1EaNS0_19identity_decomposerEEEEEvT0_T1_T2_T3_T4_SL_T5_,"axG",@progbits,_ZN7rocprim17ROCPRIM_304000_NS6detail33device_block_merge_oddeven_kernelINS1_37wrapped_merge_sort_block_merge_configINS0_14default_configEaN2at4cuda3cub6detail10OpaqueTypeILi8EEEEEPaSC_PSA_SD_jNS1_19radix_merge_compareILb0ELb1EaNS0_19identity_decomposerEEEEEvT0_T1_T2_T3_T4_SL_T5_,comdat
.Lfunc_end46:
	.size	_ZN7rocprim17ROCPRIM_304000_NS6detail33device_block_merge_oddeven_kernelINS1_37wrapped_merge_sort_block_merge_configINS0_14default_configEaN2at4cuda3cub6detail10OpaqueTypeILi8EEEEEPaSC_PSA_SD_jNS1_19radix_merge_compareILb0ELb1EaNS0_19identity_decomposerEEEEEvT0_T1_T2_T3_T4_SL_T5_, .Lfunc_end46-_ZN7rocprim17ROCPRIM_304000_NS6detail33device_block_merge_oddeven_kernelINS1_37wrapped_merge_sort_block_merge_configINS0_14default_configEaN2at4cuda3cub6detail10OpaqueTypeILi8EEEEEPaSC_PSA_SD_jNS1_19radix_merge_compareILb0ELb1EaNS0_19identity_decomposerEEEEEvT0_T1_T2_T3_T4_SL_T5_
                                        ; -- End function
	.set _ZN7rocprim17ROCPRIM_304000_NS6detail33device_block_merge_oddeven_kernelINS1_37wrapped_merge_sort_block_merge_configINS0_14default_configEaN2at4cuda3cub6detail10OpaqueTypeILi8EEEEEPaSC_PSA_SD_jNS1_19radix_merge_compareILb0ELb1EaNS0_19identity_decomposerEEEEEvT0_T1_T2_T3_T4_SL_T5_.num_vgpr, 11
	.set _ZN7rocprim17ROCPRIM_304000_NS6detail33device_block_merge_oddeven_kernelINS1_37wrapped_merge_sort_block_merge_configINS0_14default_configEaN2at4cuda3cub6detail10OpaqueTypeILi8EEEEEPaSC_PSA_SD_jNS1_19radix_merge_compareILb0ELb1EaNS0_19identity_decomposerEEEEEvT0_T1_T2_T3_T4_SL_T5_.num_agpr, 0
	.set _ZN7rocprim17ROCPRIM_304000_NS6detail33device_block_merge_oddeven_kernelINS1_37wrapped_merge_sort_block_merge_configINS0_14default_configEaN2at4cuda3cub6detail10OpaqueTypeILi8EEEEEPaSC_PSA_SD_jNS1_19radix_merge_compareILb0ELb1EaNS0_19identity_decomposerEEEEEvT0_T1_T2_T3_T4_SL_T5_.numbered_sgpr, 24
	.set _ZN7rocprim17ROCPRIM_304000_NS6detail33device_block_merge_oddeven_kernelINS1_37wrapped_merge_sort_block_merge_configINS0_14default_configEaN2at4cuda3cub6detail10OpaqueTypeILi8EEEEEPaSC_PSA_SD_jNS1_19radix_merge_compareILb0ELb1EaNS0_19identity_decomposerEEEEEvT0_T1_T2_T3_T4_SL_T5_.num_named_barrier, 0
	.set _ZN7rocprim17ROCPRIM_304000_NS6detail33device_block_merge_oddeven_kernelINS1_37wrapped_merge_sort_block_merge_configINS0_14default_configEaN2at4cuda3cub6detail10OpaqueTypeILi8EEEEEPaSC_PSA_SD_jNS1_19radix_merge_compareILb0ELb1EaNS0_19identity_decomposerEEEEEvT0_T1_T2_T3_T4_SL_T5_.private_seg_size, 0
	.set _ZN7rocprim17ROCPRIM_304000_NS6detail33device_block_merge_oddeven_kernelINS1_37wrapped_merge_sort_block_merge_configINS0_14default_configEaN2at4cuda3cub6detail10OpaqueTypeILi8EEEEEPaSC_PSA_SD_jNS1_19radix_merge_compareILb0ELb1EaNS0_19identity_decomposerEEEEEvT0_T1_T2_T3_T4_SL_T5_.uses_vcc, 1
	.set _ZN7rocprim17ROCPRIM_304000_NS6detail33device_block_merge_oddeven_kernelINS1_37wrapped_merge_sort_block_merge_configINS0_14default_configEaN2at4cuda3cub6detail10OpaqueTypeILi8EEEEEPaSC_PSA_SD_jNS1_19radix_merge_compareILb0ELb1EaNS0_19identity_decomposerEEEEEvT0_T1_T2_T3_T4_SL_T5_.uses_flat_scratch, 0
	.set _ZN7rocprim17ROCPRIM_304000_NS6detail33device_block_merge_oddeven_kernelINS1_37wrapped_merge_sort_block_merge_configINS0_14default_configEaN2at4cuda3cub6detail10OpaqueTypeILi8EEEEEPaSC_PSA_SD_jNS1_19radix_merge_compareILb0ELb1EaNS0_19identity_decomposerEEEEEvT0_T1_T2_T3_T4_SL_T5_.has_dyn_sized_stack, 0
	.set _ZN7rocprim17ROCPRIM_304000_NS6detail33device_block_merge_oddeven_kernelINS1_37wrapped_merge_sort_block_merge_configINS0_14default_configEaN2at4cuda3cub6detail10OpaqueTypeILi8EEEEEPaSC_PSA_SD_jNS1_19radix_merge_compareILb0ELb1EaNS0_19identity_decomposerEEEEEvT0_T1_T2_T3_T4_SL_T5_.has_recursion, 0
	.set _ZN7rocprim17ROCPRIM_304000_NS6detail33device_block_merge_oddeven_kernelINS1_37wrapped_merge_sort_block_merge_configINS0_14default_configEaN2at4cuda3cub6detail10OpaqueTypeILi8EEEEEPaSC_PSA_SD_jNS1_19radix_merge_compareILb0ELb1EaNS0_19identity_decomposerEEEEEvT0_T1_T2_T3_T4_SL_T5_.has_indirect_call, 0
	.section	.AMDGPU.csdata,"",@progbits
; Kernel info:
; codeLenInByte = 732
; TotalNumSgprs: 28
; NumVgprs: 11
; ScratchSize: 0
; MemoryBound: 0
; FloatMode: 240
; IeeeMode: 1
; LDSByteSize: 0 bytes/workgroup (compile time only)
; SGPRBlocks: 3
; VGPRBlocks: 2
; NumSGPRsForWavesPerEU: 28
; NumVGPRsForWavesPerEU: 11
; Occupancy: 10
; WaveLimiterHint : 0
; COMPUTE_PGM_RSRC2:SCRATCH_EN: 0
; COMPUTE_PGM_RSRC2:USER_SGPR: 6
; COMPUTE_PGM_RSRC2:TRAP_HANDLER: 0
; COMPUTE_PGM_RSRC2:TGID_X_EN: 1
; COMPUTE_PGM_RSRC2:TGID_Y_EN: 0
; COMPUTE_PGM_RSRC2:TGID_Z_EN: 0
; COMPUTE_PGM_RSRC2:TIDIG_COMP_CNT: 0
	.section	.text._ZN7rocprim17ROCPRIM_304000_NS6detail26onesweep_histograms_kernelINS1_34wrapped_radix_sort_onesweep_configINS0_14default_configEaN2at4cuda3cub6detail10OpaqueTypeILi8EEEEELb0EPKamNS0_19identity_decomposerEEEvT1_PT2_SG_SG_T3_jj,"axG",@progbits,_ZN7rocprim17ROCPRIM_304000_NS6detail26onesweep_histograms_kernelINS1_34wrapped_radix_sort_onesweep_configINS0_14default_configEaN2at4cuda3cub6detail10OpaqueTypeILi8EEEEELb0EPKamNS0_19identity_decomposerEEEvT1_PT2_SG_SG_T3_jj,comdat
	.protected	_ZN7rocprim17ROCPRIM_304000_NS6detail26onesweep_histograms_kernelINS1_34wrapped_radix_sort_onesweep_configINS0_14default_configEaN2at4cuda3cub6detail10OpaqueTypeILi8EEEEELb0EPKamNS0_19identity_decomposerEEEvT1_PT2_SG_SG_T3_jj ; -- Begin function _ZN7rocprim17ROCPRIM_304000_NS6detail26onesweep_histograms_kernelINS1_34wrapped_radix_sort_onesweep_configINS0_14default_configEaN2at4cuda3cub6detail10OpaqueTypeILi8EEEEELb0EPKamNS0_19identity_decomposerEEEvT1_PT2_SG_SG_T3_jj
	.globl	_ZN7rocprim17ROCPRIM_304000_NS6detail26onesweep_histograms_kernelINS1_34wrapped_radix_sort_onesweep_configINS0_14default_configEaN2at4cuda3cub6detail10OpaqueTypeILi8EEEEELb0EPKamNS0_19identity_decomposerEEEvT1_PT2_SG_SG_T3_jj
	.p2align	8
	.type	_ZN7rocprim17ROCPRIM_304000_NS6detail26onesweep_histograms_kernelINS1_34wrapped_radix_sort_onesweep_configINS0_14default_configEaN2at4cuda3cub6detail10OpaqueTypeILi8EEEEELb0EPKamNS0_19identity_decomposerEEEvT1_PT2_SG_SG_T3_jj,@function
_ZN7rocprim17ROCPRIM_304000_NS6detail26onesweep_histograms_kernelINS1_34wrapped_radix_sort_onesweep_configINS0_14default_configEaN2at4cuda3cub6detail10OpaqueTypeILi8EEEEELb0EPKamNS0_19identity_decomposerEEEvT1_PT2_SG_SG_T3_jj: ; @_ZN7rocprim17ROCPRIM_304000_NS6detail26onesweep_histograms_kernelINS1_34wrapped_radix_sort_onesweep_configINS0_14default_configEaN2at4cuda3cub6detail10OpaqueTypeILi8EEEEELb0EPKamNS0_19identity_decomposerEEEvT1_PT2_SG_SG_T3_jj
; %bb.0:
	s_load_dwordx8 s[12:19], s[4:5], 0x0
	s_load_dwordx2 s[20:21], s[4:5], 0x24
	v_mov_b32_e32 v1, s6
	v_mov_b32_e32 v2, 0
	s_mul_hi_u32 s0, s6, 0xc00
	s_mulk_i32 s6, 0xc00
	s_waitcnt lgkmcnt(0)
	v_cmp_le_u64_e32 vcc, s[18:19], v[1:2]
	s_add_u32 s12, s12, s6
	s_addc_u32 s13, s13, s0
	s_mov_b64 s[0:1], -1
	s_cbranch_vccz .LBB47_46
; %bb.1:
	s_mul_i32 s0, s18, 0xfffff400
	s_add_i32 s16, s0, s16
	v_mov_b32_e32 v1, s13
	v_add_co_u32_e32 v3, vcc, s12, v0
	v_addc_co_u32_e32 v4, vcc, 0, v1, vcc
	v_cmp_gt_u32_e64 s[6:7], s16, v0
	v_mov_b32_e32 v8, 0
	v_mov_b32_e32 v6, 0
	;; [unrolled: 1-line block ×4, first 2 shown]
	s_and_saveexec_b64 s[0:1], s[6:7]
	s_cbranch_execz .LBB47_3
; %bb.2:
	global_load_ubyte v8, v[3:4], off
	v_mov_b32_e32 v6, 0
	v_mov_b32_e32 v5, 0
	;; [unrolled: 1-line block ×3, first 2 shown]
.LBB47_3:
	s_or_b64 exec, exec, s[0:1]
	v_or_b32_e32 v7, 0x200, v0
	v_cmp_gt_u32_e64 s[0:1], s16, v7
	v_mov_b32_e32 v7, v2
	s_and_saveexec_b64 s[2:3], s[0:1]
	s_cbranch_execz .LBB47_5
; %bb.4:
	global_load_ubyte v7, v[3:4], off offset:512
.LBB47_5:
	s_or_b64 exec, exec, s[2:3]
	v_or_b32_e32 v9, 0x400, v0
	v_cmp_gt_u32_e64 s[2:3], s16, v9
	s_and_saveexec_b64 s[4:5], s[2:3]
	s_cbranch_execz .LBB47_7
; %bb.6:
	global_load_ubyte v2, v[3:4], off offset:1024
.LBB47_7:
	s_or_b64 exec, exec, s[4:5]
	v_or_b32_e32 v9, 0x600, v0
	v_cmp_gt_u32_e64 s[4:5], s16, v9
	;; [unrolled: 8-line block ×4, first 2 shown]
	s_and_saveexec_b64 s[16:17], s[10:11]
	s_cbranch_execz .LBB47_13
; %bb.12:
	global_load_ubyte v1, v[3:4], off offset:2560
.LBB47_13:
	s_or_b64 exec, exec, s[16:17]
	v_or_b32_e32 v3, 0xfffffe00, v0
	v_lshlrev_b32_e32 v4, 2, v0
	s_mov_b64 s[16:17], 0
	v_mov_b32_e32 v9, 0
.LBB47_14:                              ; =>This Inner Loop Header: Depth=1
	v_add_co_u32_e32 v3, vcc, 0x200, v3
	s_xor_b64 s[18:19], vcc, -1
	s_and_b64 s[18:19], exec, s[18:19]
	ds_write_b32 v4, v9
	s_or_b64 s[16:17], s[18:19], s[16:17]
	v_add_u32_e32 v4, 0x800, v4
	s_andn2_b64 exec, exec, s[16:17]
	s_cbranch_execnz .LBB47_14
; %bb.15:
	s_or_b64 exec, exec, s[16:17]
	s_cmp_gt_u32 s21, s20
	s_cselect_b64 s[16:17], -1, 0
	s_cmp_le_u32 s21, s20
	s_waitcnt vmcnt(0) lgkmcnt(0)
	s_barrier
	s_cbranch_scc1 .LBB47_40
; %bb.16:
	v_and_b32_e32 v3, 3, v0
	v_lshlrev_b32_e32 v3, 2, v3
	s_sub_i32 s22, s21, s20
	v_xor_b32_e32 v4, 0x80, v8
	v_mov_b32_e32 v8, 1
	s_mov_b32 s23, s22
	v_mov_b32_e32 v9, v3
	s_mov_b32 s24, s20
	s_branch .LBB47_18
.LBB47_17:                              ;   in Loop: Header=BB47_18 Depth=1
	s_or_b64 exec, exec, s[18:19]
	s_add_i32 s24, s24, 8
	s_add_i32 s23, s23, -8
	s_cmp_ge_u32 s24, s21
	v_add_u32_e32 v9, 0x1000, v9
	s_cbranch_scc1 .LBB47_20
.LBB47_18:                              ; =>This Inner Loop Header: Depth=1
	s_and_saveexec_b64 s[18:19], s[6:7]
	s_cbranch_execz .LBB47_17
; %bb.19:                               ;   in Loop: Header=BB47_18 Depth=1
	s_min_u32 s25, s23, 8
	v_lshrrev_b32_sdwa v10, s24, v4 dst_sel:DWORD dst_unused:UNUSED_PAD src0_sel:DWORD src1_sel:BYTE_0
	v_bfe_u32 v10, v10, 0, s25
	v_lshl_add_u32 v10, v10, 4, v9
	ds_add_u32 v10, v8
	s_branch .LBB47_17
.LBB47_20:
	v_xor_b32_e32 v4, 0x80, v7
	v_mov_b32_e32 v7, 1
	s_mov_b32 s18, s22
	v_mov_b32_e32 v8, v3
	s_mov_b32 s19, s20
	s_branch .LBB47_22
.LBB47_21:                              ;   in Loop: Header=BB47_22 Depth=1
	s_or_b64 exec, exec, s[6:7]
	s_add_i32 s19, s19, 8
	s_add_i32 s18, s18, -8
	s_cmp_lt_u32 s19, s21
	v_add_u32_e32 v8, 0x1000, v8
	s_cbranch_scc0 .LBB47_24
.LBB47_22:                              ; =>This Inner Loop Header: Depth=1
	s_and_saveexec_b64 s[6:7], s[0:1]
	s_cbranch_execz .LBB47_21
; %bb.23:                               ;   in Loop: Header=BB47_22 Depth=1
	s_min_u32 s23, s18, 8
	v_lshrrev_b32_sdwa v9, s19, v4 dst_sel:DWORD dst_unused:UNUSED_PAD src0_sel:DWORD src1_sel:BYTE_0
	v_bfe_u32 v9, v9, 0, s23
	v_lshl_add_u32 v9, v9, 4, v8
	ds_add_u32 v9, v7
	s_branch .LBB47_21
.LBB47_24:
	v_xor_b32_e32 v2, 0x80, v2
	v_mov_b32_e32 v4, 1
	s_mov_b32 s6, s22
	v_mov_b32_e32 v7, v3
	s_mov_b32 s7, s20
	s_branch .LBB47_26
.LBB47_25:                              ;   in Loop: Header=BB47_26 Depth=1
	s_or_b64 exec, exec, s[0:1]
	s_add_i32 s7, s7, 8
	s_add_i32 s6, s6, -8
	s_cmp_lt_u32 s7, s21
	v_add_u32_e32 v7, 0x1000, v7
	s_cbranch_scc0 .LBB47_28
.LBB47_26:                              ; =>This Inner Loop Header: Depth=1
	s_and_saveexec_b64 s[0:1], s[2:3]
	s_cbranch_execz .LBB47_25
; %bb.27:                               ;   in Loop: Header=BB47_26 Depth=1
	s_min_u32 s18, s6, 8
	v_lshrrev_b32_sdwa v8, s7, v2 dst_sel:DWORD dst_unused:UNUSED_PAD src0_sel:DWORD src1_sel:BYTE_0
	v_bfe_u32 v8, v8, 0, s18
	v_lshl_add_u32 v8, v8, 4, v7
	ds_add_u32 v8, v4
	s_branch .LBB47_25
.LBB47_28:
	;; [unrolled: 24-line block ×4, first 2 shown]
	v_xor_b32_e32 v1, 0x80, v1
	v_mov_b32_e32 v2, 1
	s_mov_b32 s2, s20
	s_branch .LBB47_38
.LBB47_37:                              ;   in Loop: Header=BB47_38 Depth=1
	s_or_b64 exec, exec, s[0:1]
	s_add_i32 s2, s2, 8
	s_add_i32 s22, s22, -8
	s_cmp_lt_u32 s2, s21
	v_add_u32_e32 v3, 0x1000, v3
	s_cbranch_scc0 .LBB47_40
.LBB47_38:                              ; =>This Inner Loop Header: Depth=1
	s_and_saveexec_b64 s[0:1], s[10:11]
	s_cbranch_execz .LBB47_37
; %bb.39:                               ;   in Loop: Header=BB47_38 Depth=1
	s_min_u32 s3, s22, 8
	v_lshrrev_b32_sdwa v4, s2, v1 dst_sel:DWORD dst_unused:UNUSED_PAD src0_sel:DWORD src1_sel:BYTE_0
	v_bfe_u32 v4, v4, 0, s3
	v_lshl_add_u32 v4, v4, 4, v3
	ds_add_u32 v4, v2
	s_branch .LBB47_37
.LBB47_40:
	s_and_b64 vcc, exec, s[16:17]
	s_waitcnt lgkmcnt(0)
	s_barrier
	s_cbranch_vccz .LBB47_45
; %bb.41:
	s_movk_i32 s0, 0x100
	v_cmp_gt_u32_e32 vcc, s0, v0
	v_lshlrev_b32_e32 v3, 4, v0
	v_mov_b32_e32 v2, 0
	v_mov_b32_e32 v1, v0
	s_mov_b32 s4, s20
	s_branch .LBB47_43
.LBB47_42:                              ;   in Loop: Header=BB47_43 Depth=1
	s_or_b64 exec, exec, s[2:3]
	s_add_i32 s4, s4, 8
	v_add_u32_e32 v1, 0x100, v1
	s_cmp_lt_u32 s4, s21
	v_add_u32_e32 v3, 0x1000, v3
	s_cbranch_scc0 .LBB47_45
.LBB47_43:                              ; =>This Inner Loop Header: Depth=1
	s_and_saveexec_b64 s[2:3], vcc
	s_cbranch_execz .LBB47_42
; %bb.44:                               ;   in Loop: Header=BB47_43 Depth=1
	ds_read2_b32 v[4:5], v3 offset1:1
	ds_read2_b32 v[6:7], v3 offset0:2 offset1:3
	v_lshlrev_b64 v[8:9], 3, v[1:2]
	v_mov_b32_e32 v10, s15
	s_waitcnt lgkmcnt(1)
	v_add_u32_e32 v4, v5, v4
	s_waitcnt lgkmcnt(0)
	v_add3_u32 v4, v4, v6, v7
	v_add_co_u32_e64 v6, s[0:1], s14, v8
	v_addc_co_u32_e64 v7, s[0:1], v10, v9, s[0:1]
	v_mov_b32_e32 v5, v2
	global_atomic_add_x2 v[6:7], v[4:5], off
	s_branch .LBB47_42
.LBB47_45:
	s_mov_b64 s[0:1], 0
.LBB47_46:
	s_and_b64 vcc, exec, s[0:1]
	s_cbranch_vccz .LBB47_74
; %bb.47:
	global_load_ubyte v3, v0, s[12:13]
	global_load_ubyte v4, v0, s[12:13] offset:512
	global_load_ubyte v5, v0, s[12:13] offset:1024
	;; [unrolled: 1-line block ×5, first 2 shown]
	s_cmp_eq_u32 s20, 0
	s_cselect_b64 s[0:1], -1, 0
	s_cmp_eq_u32 s21, 8
	s_cselect_b64 s[2:3], -1, 0
	s_and_b64 s[2:3], s[0:1], s[2:3]
	v_mov_b32_e32 v1, 0
	s_mov_b64 s[0:1], -1
	s_and_b64 vcc, exec, s[2:3]
	v_lshlrev_b32_e32 v9, 2, v0
	s_cbranch_vccnz .LBB47_69
; %bb.48:
	v_or_b32_e32 v2, 0xfffffe00, v0
	v_lshlrev_b32_e32 v10, 2, v0
	s_mov_b64 s[0:1], 0
.LBB47_49:                              ; =>This Inner Loop Header: Depth=1
	v_add_co_u32_e32 v2, vcc, 0x200, v2
	s_xor_b64 s[2:3], vcc, -1
	s_and_b64 s[2:3], exec, s[2:3]
	ds_write_b32 v10, v1
	s_or_b64 s[0:1], s[2:3], s[0:1]
	v_add_u32_e32 v10, 0x800, v10
	s_andn2_b64 exec, exec, s[0:1]
	s_cbranch_execnz .LBB47_49
; %bb.50:
	s_or_b64 exec, exec, s[0:1]
	s_cmp_gt_u32 s21, s20
	s_cselect_b64 s[0:1], -1, 0
	s_cmp_le_u32 s21, s20
	s_waitcnt vmcnt(0) lgkmcnt(0)
	s_barrier
	s_cbranch_scc1 .LBB47_63
; %bb.51:
	v_and_b32_e32 v1, 3, v0
	v_lshlrev_b32_e32 v1, 2, v1
	s_sub_i32 s2, s21, s20
	v_xor_b32_e32 v2, 0x80, v3
	v_mov_b32_e32 v10, 1
	s_mov_b32 s3, s2
	v_mov_b32_e32 v11, v1
	s_mov_b32 s4, s20
.LBB47_52:                              ; =>This Inner Loop Header: Depth=1
	s_min_u32 s5, s3, 8
	v_lshrrev_b32_sdwa v12, s4, v2 dst_sel:DWORD dst_unused:UNUSED_PAD src0_sel:DWORD src1_sel:BYTE_0
	v_bfe_u32 v12, v12, 0, s5
	v_lshl_add_u32 v12, v12, 4, v11
	ds_add_u32 v12, v10
	s_add_i32 s4, s4, 8
	s_add_i32 s3, s3, -8
	s_cmp_ge_u32 s4, s21
	v_add_u32_e32 v11, 0x1000, v11
	s_cbranch_scc0 .LBB47_52
; %bb.53:
	v_xor_b32_e32 v2, 0x80, v4
	v_mov_b32_e32 v10, 1
	s_mov_b32 s3, s2
	v_mov_b32_e32 v11, v1
	s_mov_b32 s4, s20
.LBB47_54:                              ; =>This Inner Loop Header: Depth=1
	s_min_u32 s5, s3, 8
	v_lshrrev_b32_sdwa v12, s4, v2 dst_sel:DWORD dst_unused:UNUSED_PAD src0_sel:DWORD src1_sel:BYTE_0
	v_bfe_u32 v12, v12, 0, s5
	v_lshl_add_u32 v12, v12, 4, v11
	ds_add_u32 v12, v10
	s_add_i32 s4, s4, 8
	s_add_i32 s3, s3, -8
	s_cmp_lt_u32 s4, s21
	v_add_u32_e32 v11, 0x1000, v11
	s_cbranch_scc1 .LBB47_54
; %bb.55:
	v_xor_b32_e32 v2, 0x80, v5
	v_mov_b32_e32 v10, 1
	s_mov_b32 s3, s2
	v_mov_b32_e32 v11, v1
	s_mov_b32 s4, s20
.LBB47_56:                              ; =>This Inner Loop Header: Depth=1
	s_min_u32 s5, s3, 8
	v_lshrrev_b32_sdwa v12, s4, v2 dst_sel:DWORD dst_unused:UNUSED_PAD src0_sel:DWORD src1_sel:BYTE_0
	v_bfe_u32 v12, v12, 0, s5
	v_lshl_add_u32 v12, v12, 4, v11
	ds_add_u32 v12, v10
	s_add_i32 s4, s4, 8
	s_add_i32 s3, s3, -8
	s_cmp_lt_u32 s4, s21
	v_add_u32_e32 v11, 0x1000, v11
	s_cbranch_scc1 .LBB47_56
	;; [unrolled: 17-line block ×4, first 2 shown]
; %bb.61:
	v_xor_b32_e32 v2, 0x80, v8
	v_mov_b32_e32 v10, 1
	s_mov_b32 s3, s20
.LBB47_62:                              ; =>This Inner Loop Header: Depth=1
	s_min_u32 s4, s2, 8
	v_lshrrev_b32_sdwa v11, s3, v2 dst_sel:DWORD dst_unused:UNUSED_PAD src0_sel:DWORD src1_sel:BYTE_0
	v_bfe_u32 v11, v11, 0, s4
	v_lshl_add_u32 v11, v11, 4, v1
	ds_add_u32 v11, v10
	s_add_i32 s3, s3, 8
	s_add_i32 s2, s2, -8
	s_cmp_lt_u32 s3, s21
	v_add_u32_e32 v1, 0x1000, v1
	s_cbranch_scc1 .LBB47_62
.LBB47_63:
	s_and_b64 vcc, exec, s[0:1]
	s_waitcnt lgkmcnt(0)
	s_barrier
	s_cbranch_vccz .LBB47_68
; %bb.64:
	s_movk_i32 s0, 0x100
	v_cmp_gt_u32_e32 vcc, s0, v0
	v_lshlrev_b32_e32 v10, 4, v0
	v_mov_b32_e32 v2, 0
	v_mov_b32_e32 v1, v0
	s_branch .LBB47_66
.LBB47_65:                              ;   in Loop: Header=BB47_66 Depth=1
	s_or_b64 exec, exec, s[2:3]
	s_add_i32 s20, s20, 8
	v_add_u32_e32 v1, 0x100, v1
	s_cmp_ge_u32 s20, s21
	v_add_u32_e32 v10, 0x1000, v10
	s_cbranch_scc1 .LBB47_68
.LBB47_66:                              ; =>This Inner Loop Header: Depth=1
	s_and_saveexec_b64 s[2:3], vcc
	s_cbranch_execz .LBB47_65
; %bb.67:                               ;   in Loop: Header=BB47_66 Depth=1
	ds_read2_b32 v[11:12], v10 offset1:1
	ds_read2_b32 v[13:14], v10 offset0:2 offset1:3
	v_lshlrev_b64 v[15:16], 3, v[1:2]
	v_mov_b32_e32 v17, s15
	s_waitcnt lgkmcnt(1)
	v_add_u32_e32 v11, v12, v11
	s_waitcnt lgkmcnt(0)
	v_add3_u32 v11, v11, v13, v14
	v_add_co_u32_e64 v13, s[0:1], s14, v15
	v_addc_co_u32_e64 v14, s[0:1], v17, v16, s[0:1]
	v_mov_b32_e32 v12, v2
	global_atomic_add_x2 v[13:14], v[11:12], off
	s_branch .LBB47_65
.LBB47_68:
	s_mov_b64 s[0:1], 0
.LBB47_69:
	s_and_b64 vcc, exec, s[0:1]
	s_cbranch_vccz .LBB47_74
; %bb.70:
	v_or_b32_e32 v1, 0xfffffe00, v0
	s_mov_b64 s[0:1], 0
	v_mov_b32_e32 v2, 0
.LBB47_71:                              ; =>This Inner Loop Header: Depth=1
	v_add_co_u32_e32 v1, vcc, 0x200, v1
	s_xor_b64 s[2:3], vcc, -1
	s_and_b64 s[2:3], exec, s[2:3]
	ds_write_b32 v9, v2
	s_or_b64 s[0:1], s[2:3], s[0:1]
	v_add_u32_e32 v9, 0x800, v9
	s_andn2_b64 exec, exec, s[0:1]
	s_cbranch_execnz .LBB47_71
; %bb.72:
	s_or_b64 exec, exec, s[0:1]
	s_waitcnt vmcnt(5)
	v_xor_b32_e32 v1, 0x80, v3
	s_waitcnt vmcnt(3)
	v_xor_b32_e32 v3, 0x80, v5
	;; [unrolled: 2-line block ×3, first 2 shown]
	v_and_b32_e32 v7, 3, v0
	v_and_b32_e32 v1, 0xff, v1
	v_lshlrev_b32_e32 v7, 2, v7
	v_xor_b32_e32 v2, 0x80, v4
	v_xor_b32_e32 v4, 0x80, v6
	s_waitcnt vmcnt(0)
	v_xor_b32_e32 v6, 0x80, v8
	v_lshl_or_b32 v1, v1, 4, v7
	v_mov_b32_e32 v8, 1
	s_waitcnt lgkmcnt(0)
	s_barrier
	ds_add_u32 v1, v8
	v_and_b32_e32 v1, 0xff, v2
	v_lshl_or_b32 v1, v1, 4, v7
	ds_add_u32 v1, v8
	v_and_b32_e32 v1, 0xff, v3
	v_lshl_or_b32 v1, v1, 4, v7
	;; [unrolled: 3-line block ×5, first 2 shown]
	ds_add_u32 v1, v8
	s_movk_i32 s0, 0x100
	v_cmp_gt_u32_e32 vcc, s0, v0
	s_waitcnt lgkmcnt(0)
	s_barrier
	s_and_saveexec_b64 s[0:1], vcc
	s_cbranch_execz .LBB47_74
; %bb.73:
	v_lshlrev_b32_e32 v3, 4, v0
	ds_read2_b32 v[1:2], v3 offset1:1
	ds_read2_b32 v[3:4], v3 offset0:2 offset1:3
	v_lshlrev_b32_e32 v5, 3, v0
	s_waitcnt lgkmcnt(1)
	v_add_u32_e32 v0, v2, v1
	s_waitcnt lgkmcnt(0)
	v_add3_u32 v0, v0, v3, v4
	v_mov_b32_e32 v1, 0
	global_atomic_add_x2 v5, v[0:1], s[14:15]
.LBB47_74:
	s_endpgm
	.section	.rodata,"a",@progbits
	.p2align	6, 0x0
	.amdhsa_kernel _ZN7rocprim17ROCPRIM_304000_NS6detail26onesweep_histograms_kernelINS1_34wrapped_radix_sort_onesweep_configINS0_14default_configEaN2at4cuda3cub6detail10OpaqueTypeILi8EEEEELb0EPKamNS0_19identity_decomposerEEEvT1_PT2_SG_SG_T3_jj
		.amdhsa_group_segment_fixed_size 4096
		.amdhsa_private_segment_fixed_size 0
		.amdhsa_kernarg_size 44
		.amdhsa_user_sgpr_count 6
		.amdhsa_user_sgpr_private_segment_buffer 1
		.amdhsa_user_sgpr_dispatch_ptr 0
		.amdhsa_user_sgpr_queue_ptr 0
		.amdhsa_user_sgpr_kernarg_segment_ptr 1
		.amdhsa_user_sgpr_dispatch_id 0
		.amdhsa_user_sgpr_flat_scratch_init 0
		.amdhsa_user_sgpr_private_segment_size 0
		.amdhsa_uses_dynamic_stack 0
		.amdhsa_system_sgpr_private_segment_wavefront_offset 0
		.amdhsa_system_sgpr_workgroup_id_x 1
		.amdhsa_system_sgpr_workgroup_id_y 0
		.amdhsa_system_sgpr_workgroup_id_z 0
		.amdhsa_system_sgpr_workgroup_info 0
		.amdhsa_system_vgpr_workitem_id 0
		.amdhsa_next_free_vgpr 18
		.amdhsa_next_free_sgpr 26
		.amdhsa_reserve_vcc 1
		.amdhsa_reserve_flat_scratch 0
		.amdhsa_float_round_mode_32 0
		.amdhsa_float_round_mode_16_64 0
		.amdhsa_float_denorm_mode_32 3
		.amdhsa_float_denorm_mode_16_64 3
		.amdhsa_dx10_clamp 1
		.amdhsa_ieee_mode 1
		.amdhsa_fp16_overflow 0
		.amdhsa_exception_fp_ieee_invalid_op 0
		.amdhsa_exception_fp_denorm_src 0
		.amdhsa_exception_fp_ieee_div_zero 0
		.amdhsa_exception_fp_ieee_overflow 0
		.amdhsa_exception_fp_ieee_underflow 0
		.amdhsa_exception_fp_ieee_inexact 0
		.amdhsa_exception_int_div_zero 0
	.end_amdhsa_kernel
	.section	.text._ZN7rocprim17ROCPRIM_304000_NS6detail26onesweep_histograms_kernelINS1_34wrapped_radix_sort_onesweep_configINS0_14default_configEaN2at4cuda3cub6detail10OpaqueTypeILi8EEEEELb0EPKamNS0_19identity_decomposerEEEvT1_PT2_SG_SG_T3_jj,"axG",@progbits,_ZN7rocprim17ROCPRIM_304000_NS6detail26onesweep_histograms_kernelINS1_34wrapped_radix_sort_onesweep_configINS0_14default_configEaN2at4cuda3cub6detail10OpaqueTypeILi8EEEEELb0EPKamNS0_19identity_decomposerEEEvT1_PT2_SG_SG_T3_jj,comdat
.Lfunc_end47:
	.size	_ZN7rocprim17ROCPRIM_304000_NS6detail26onesweep_histograms_kernelINS1_34wrapped_radix_sort_onesweep_configINS0_14default_configEaN2at4cuda3cub6detail10OpaqueTypeILi8EEEEELb0EPKamNS0_19identity_decomposerEEEvT1_PT2_SG_SG_T3_jj, .Lfunc_end47-_ZN7rocprim17ROCPRIM_304000_NS6detail26onesweep_histograms_kernelINS1_34wrapped_radix_sort_onesweep_configINS0_14default_configEaN2at4cuda3cub6detail10OpaqueTypeILi8EEEEELb0EPKamNS0_19identity_decomposerEEEvT1_PT2_SG_SG_T3_jj
                                        ; -- End function
	.set _ZN7rocprim17ROCPRIM_304000_NS6detail26onesweep_histograms_kernelINS1_34wrapped_radix_sort_onesweep_configINS0_14default_configEaN2at4cuda3cub6detail10OpaqueTypeILi8EEEEELb0EPKamNS0_19identity_decomposerEEEvT1_PT2_SG_SG_T3_jj.num_vgpr, 18
	.set _ZN7rocprim17ROCPRIM_304000_NS6detail26onesweep_histograms_kernelINS1_34wrapped_radix_sort_onesweep_configINS0_14default_configEaN2at4cuda3cub6detail10OpaqueTypeILi8EEEEELb0EPKamNS0_19identity_decomposerEEEvT1_PT2_SG_SG_T3_jj.num_agpr, 0
	.set _ZN7rocprim17ROCPRIM_304000_NS6detail26onesweep_histograms_kernelINS1_34wrapped_radix_sort_onesweep_configINS0_14default_configEaN2at4cuda3cub6detail10OpaqueTypeILi8EEEEELb0EPKamNS0_19identity_decomposerEEEvT1_PT2_SG_SG_T3_jj.numbered_sgpr, 26
	.set _ZN7rocprim17ROCPRIM_304000_NS6detail26onesweep_histograms_kernelINS1_34wrapped_radix_sort_onesweep_configINS0_14default_configEaN2at4cuda3cub6detail10OpaqueTypeILi8EEEEELb0EPKamNS0_19identity_decomposerEEEvT1_PT2_SG_SG_T3_jj.num_named_barrier, 0
	.set _ZN7rocprim17ROCPRIM_304000_NS6detail26onesweep_histograms_kernelINS1_34wrapped_radix_sort_onesweep_configINS0_14default_configEaN2at4cuda3cub6detail10OpaqueTypeILi8EEEEELb0EPKamNS0_19identity_decomposerEEEvT1_PT2_SG_SG_T3_jj.private_seg_size, 0
	.set _ZN7rocprim17ROCPRIM_304000_NS6detail26onesweep_histograms_kernelINS1_34wrapped_radix_sort_onesweep_configINS0_14default_configEaN2at4cuda3cub6detail10OpaqueTypeILi8EEEEELb0EPKamNS0_19identity_decomposerEEEvT1_PT2_SG_SG_T3_jj.uses_vcc, 1
	.set _ZN7rocprim17ROCPRIM_304000_NS6detail26onesweep_histograms_kernelINS1_34wrapped_radix_sort_onesweep_configINS0_14default_configEaN2at4cuda3cub6detail10OpaqueTypeILi8EEEEELb0EPKamNS0_19identity_decomposerEEEvT1_PT2_SG_SG_T3_jj.uses_flat_scratch, 0
	.set _ZN7rocprim17ROCPRIM_304000_NS6detail26onesweep_histograms_kernelINS1_34wrapped_radix_sort_onesweep_configINS0_14default_configEaN2at4cuda3cub6detail10OpaqueTypeILi8EEEEELb0EPKamNS0_19identity_decomposerEEEvT1_PT2_SG_SG_T3_jj.has_dyn_sized_stack, 0
	.set _ZN7rocprim17ROCPRIM_304000_NS6detail26onesweep_histograms_kernelINS1_34wrapped_radix_sort_onesweep_configINS0_14default_configEaN2at4cuda3cub6detail10OpaqueTypeILi8EEEEELb0EPKamNS0_19identity_decomposerEEEvT1_PT2_SG_SG_T3_jj.has_recursion, 0
	.set _ZN7rocprim17ROCPRIM_304000_NS6detail26onesweep_histograms_kernelINS1_34wrapped_radix_sort_onesweep_configINS0_14default_configEaN2at4cuda3cub6detail10OpaqueTypeILi8EEEEELb0EPKamNS0_19identity_decomposerEEEvT1_PT2_SG_SG_T3_jj.has_indirect_call, 0
	.section	.AMDGPU.csdata,"",@progbits
; Kernel info:
; codeLenInByte = 2452
; TotalNumSgprs: 30
; NumVgprs: 18
; ScratchSize: 0
; MemoryBound: 0
; FloatMode: 240
; IeeeMode: 1
; LDSByteSize: 4096 bytes/workgroup (compile time only)
; SGPRBlocks: 3
; VGPRBlocks: 4
; NumSGPRsForWavesPerEU: 30
; NumVGPRsForWavesPerEU: 18
; Occupancy: 10
; WaveLimiterHint : 1
; COMPUTE_PGM_RSRC2:SCRATCH_EN: 0
; COMPUTE_PGM_RSRC2:USER_SGPR: 6
; COMPUTE_PGM_RSRC2:TRAP_HANDLER: 0
; COMPUTE_PGM_RSRC2:TGID_X_EN: 1
; COMPUTE_PGM_RSRC2:TGID_Y_EN: 0
; COMPUTE_PGM_RSRC2:TGID_Z_EN: 0
; COMPUTE_PGM_RSRC2:TIDIG_COMP_CNT: 0
	.section	.text._ZN7rocprim17ROCPRIM_304000_NS6detail25onesweep_iteration_kernelINS1_34wrapped_radix_sort_onesweep_configINS0_14default_configEaN2at4cuda3cub6detail10OpaqueTypeILi8EEEEELb0EPKaPaPKSA_PSA_mNS0_19identity_decomposerEEEvT1_T2_T3_T4_jPT5_SO_PNS1_23onesweep_lookback_stateET6_jjj,"axG",@progbits,_ZN7rocprim17ROCPRIM_304000_NS6detail25onesweep_iteration_kernelINS1_34wrapped_radix_sort_onesweep_configINS0_14default_configEaN2at4cuda3cub6detail10OpaqueTypeILi8EEEEELb0EPKaPaPKSA_PSA_mNS0_19identity_decomposerEEEvT1_T2_T3_T4_jPT5_SO_PNS1_23onesweep_lookback_stateET6_jjj,comdat
	.protected	_ZN7rocprim17ROCPRIM_304000_NS6detail25onesweep_iteration_kernelINS1_34wrapped_radix_sort_onesweep_configINS0_14default_configEaN2at4cuda3cub6detail10OpaqueTypeILi8EEEEELb0EPKaPaPKSA_PSA_mNS0_19identity_decomposerEEEvT1_T2_T3_T4_jPT5_SO_PNS1_23onesweep_lookback_stateET6_jjj ; -- Begin function _ZN7rocprim17ROCPRIM_304000_NS6detail25onesweep_iteration_kernelINS1_34wrapped_radix_sort_onesweep_configINS0_14default_configEaN2at4cuda3cub6detail10OpaqueTypeILi8EEEEELb0EPKaPaPKSA_PSA_mNS0_19identity_decomposerEEEvT1_T2_T3_T4_jPT5_SO_PNS1_23onesweep_lookback_stateET6_jjj
	.globl	_ZN7rocprim17ROCPRIM_304000_NS6detail25onesweep_iteration_kernelINS1_34wrapped_radix_sort_onesweep_configINS0_14default_configEaN2at4cuda3cub6detail10OpaqueTypeILi8EEEEELb0EPKaPaPKSA_PSA_mNS0_19identity_decomposerEEEvT1_T2_T3_T4_jPT5_SO_PNS1_23onesweep_lookback_stateET6_jjj
	.p2align	8
	.type	_ZN7rocprim17ROCPRIM_304000_NS6detail25onesweep_iteration_kernelINS1_34wrapped_radix_sort_onesweep_configINS0_14default_configEaN2at4cuda3cub6detail10OpaqueTypeILi8EEEEELb0EPKaPaPKSA_PSA_mNS0_19identity_decomposerEEEvT1_T2_T3_T4_jPT5_SO_PNS1_23onesweep_lookback_stateET6_jjj,@function
_ZN7rocprim17ROCPRIM_304000_NS6detail25onesweep_iteration_kernelINS1_34wrapped_radix_sort_onesweep_configINS0_14default_configEaN2at4cuda3cub6detail10OpaqueTypeILi8EEEEELb0EPKaPaPKSA_PSA_mNS0_19identity_decomposerEEEvT1_T2_T3_T4_jPT5_SO_PNS1_23onesweep_lookback_stateET6_jjj: ; @_ZN7rocprim17ROCPRIM_304000_NS6detail25onesweep_iteration_kernelINS1_34wrapped_radix_sort_onesweep_configINS0_14default_configEaN2at4cuda3cub6detail10OpaqueTypeILi8EEEEELb0EPKaPaPKSA_PSA_mNS0_19identity_decomposerEEEvT1_T2_T3_T4_jPT5_SO_PNS1_23onesweep_lookback_stateET6_jjj
; %bb.0:
	s_load_dwordx4 s[48:51], s[4:5], 0x44
	s_load_dwordx8 s[36:43], s[4:5], 0x0
	s_load_dwordx4 s[44:47], s[4:5], 0x28
	s_load_dwordx2 s[34:35], s[4:5], 0x38
	s_mov_b64 s[0:1], -1
	s_waitcnt lgkmcnt(0)
	s_cmp_ge_u32 s6, s50
	s_mul_i32 s30, s6, 0xc00
	v_mbcnt_lo_u32_b32 v19, -1, 0
	s_cbranch_scc0 .LBB48_96
; %bb.1:
	s_load_dword s0, s[4:5], 0x20
	s_mul_i32 s33, s50, 0xfffff400
	v_mbcnt_hi_u32_b32 v12, -1, v19
	v_and_b32_e32 v7, 0x1c0, v0
	v_mul_u32_u24_e32 v11, 6, v7
	s_waitcnt lgkmcnt(0)
	s_add_i32 s33, s33, s0
	s_add_u32 s0, s36, s30
	s_addc_u32 s1, s37, 0
	v_mov_b32_e32 v3, s1
	v_add_co_u32_e32 v4, vcc, s0, v12
	v_addc_co_u32_e32 v5, vcc, 0, v3, vcc
	v_add_co_u32_e32 v3, vcc, v4, v11
	v_addc_co_u32_e32 v4, vcc, 0, v5, vcc
	v_or_b32_e32 v8, v12, v11
	s_mov_b32 s31, 0
	v_cmp_gt_u32_e32 vcc, s33, v8
	v_mov_b32_e32 v6, 0x7f
	v_mov_b32_e32 v5, 0x7f
	;; [unrolled: 1-line block ×6, first 2 shown]
	s_and_saveexec_b64 s[0:1], vcc
	s_cbranch_execz .LBB48_3
; %bb.2:
	global_load_ubyte v5, v[3:4], off
	v_mov_b32_e32 v6, 0x7f
	v_mov_b32_e32 v13, 0x7f
	;; [unrolled: 1-line block ×5, first 2 shown]
.LBB48_3:
	s_or_b64 exec, exec, s[0:1]
	v_add_u32_e32 v9, 64, v8
	v_cmp_gt_u32_e64 s[0:1], s33, v9
	s_and_saveexec_b64 s[2:3], s[0:1]
	s_cbranch_execz .LBB48_5
; %bb.4:
	global_load_ubyte v13, v[3:4], off offset:64
.LBB48_5:
	s_or_b64 exec, exec, s[2:3]
	v_add_u32_e32 v9, 0x80, v8
	v_cmp_gt_u32_e64 s[2:3], s33, v9
	s_and_saveexec_b64 s[8:9], s[2:3]
	s_cbranch_execz .LBB48_7
; %bb.6:
	global_load_ubyte v18, v[3:4], off offset:128
.LBB48_7:
	;; [unrolled: 8-line block ×5, first 2 shown]
	s_or_b64 exec, exec, s[12:13]
	s_load_dword s12, s[4:5], 0x5c
	s_load_dword s7, s[4:5], 0x50
	s_add_u32 s13, s4, 0x50
	s_addc_u32 s14, s5, 0
	v_mov_b32_e32 v3, 0
	s_waitcnt lgkmcnt(0)
	s_lshr_b32 s15, s12, 16
	s_cmp_lt_u32 s6, s7
	s_cselect_b32 s12, 12, 18
	s_add_u32 s12, s13, s12
	s_addc_u32 s13, s14, 0
	global_load_ushort v10, v3, s[12:13]
	s_waitcnt vmcnt(1)
	v_xor_b32_e32 v8, 0xffffff80, v5
	s_lshl_b32 s12, -1, s49
	v_lshrrev_b32_sdwa v4, s48, v8 dst_sel:DWORD dst_unused:UNUSED_PAD src0_sel:DWORD src1_sel:BYTE_0
	s_not_b32 s52, s12
	v_and_b32_e32 v15, s52, v4
	v_and_b32_e32 v16, 1, v15
	v_add_co_u32_e64 v21, s[12:13], -1, v16
	v_lshlrev_b32_e32 v4, 30, v15
	v_addc_co_u32_e64 v22, s[12:13], 0, -1, s[12:13]
	v_mad_u32_u24 v5, v2, s15, v1
	v_cmp_ne_u32_e64 s[12:13], 0, v16
	v_cmp_gt_i64_e64 s[14:15], 0, v[3:4]
	v_not_b32_e32 v16, v4
	v_lshlrev_b32_e32 v4, 29, v15
	v_xor_b32_e32 v22, s13, v22
	v_xor_b32_e32 v21, s12, v21
	v_ashrrev_i32_e32 v16, 31, v16
	v_cmp_gt_i64_e64 s[12:13], 0, v[3:4]
	v_not_b32_e32 v23, v4
	v_lshlrev_b32_e32 v4, 28, v15
	v_and_b32_e32 v22, exec_hi, v22
	v_and_b32_e32 v21, exec_lo, v21
	v_xor_b32_e32 v24, s15, v16
	v_xor_b32_e32 v16, s14, v16
	v_ashrrev_i32_e32 v23, 31, v23
	v_cmp_gt_i64_e64 s[14:15], 0, v[3:4]
	v_not_b32_e32 v25, v4
	v_lshlrev_b32_e32 v4, 27, v15
	v_and_b32_e32 v22, v22, v24
	v_and_b32_e32 v16, v21, v16
	v_xor_b32_e32 v21, s13, v23
	v_xor_b32_e32 v23, s12, v23
	v_ashrrev_i32_e32 v24, 31, v25
	v_cmp_gt_i64_e64 s[12:13], 0, v[3:4]
	v_not_b32_e32 v25, v4
	v_lshlrev_b32_e32 v4, 26, v15
	v_and_b32_e32 v21, v22, v21
	v_and_b32_e32 v16, v16, v23
	;; [unrolled: 8-line block ×3, first 2 shown]
	v_xor_b32_e32 v22, s13, v24
	v_xor_b32_e32 v23, s12, v24
	v_ashrrev_i32_e32 v24, 31, v25
	v_cmp_gt_i64_e64 s[12:13], 0, v[3:4]
	v_not_b32_e32 v25, v4
	v_mul_u32_u24_e32 v17, 36, v15
	v_lshlrev_b32_e32 v4, 24, v15
	v_and_b32_e32 v15, v21, v22
	v_and_b32_e32 v16, v16, v23
	v_xor_b32_e32 v21, s15, v24
	v_xor_b32_e32 v22, s14, v24
	v_ashrrev_i32_e32 v23, 31, v25
	v_and_b32_e32 v15, v15, v21
	v_and_b32_e32 v16, v16, v22
	v_xor_b32_e32 v21, s13, v23
	v_xor_b32_e32 v22, s12, v23
	v_and_b32_e32 v21, v15, v21
	v_and_b32_e32 v22, v16, v22
	v_cmp_gt_i64_e64 s[14:15], 0, v[3:4]
	v_not_b32_e32 v4, v4
	v_ashrrev_i32_e32 v4, 31, v4
	v_xor_b32_e32 v23, s15, v4
	v_xor_b32_e32 v4, s14, v4
	v_and_b32_e32 v4, v22, v4
	v_mul_u32_u24_e32 v9, 20, v0
	ds_write2_b32 v9, v3, v3 offset0:8 offset1:9
	ds_write2_b32 v9, v3, v3 offset0:10 offset1:11
	ds_write_b32 v9, v3 offset:48
	s_waitcnt vmcnt(0) lgkmcnt(0)
	s_barrier
	; wave barrier
	v_mad_u64_u32 v[15:16], s[12:13], v5, v10, v[0:1]
	v_and_b32_e32 v5, v21, v23
	v_cmp_ne_u64_e64 s[12:13], 0, v[4:5]
	v_lshrrev_b32_e32 v10, 4, v15
	v_and_b32_e32 v23, 0xffffffc, v10
	v_mbcnt_lo_u32_b32 v10, v4, 0
	v_mbcnt_hi_u32_b32 v10, v5, v10
	v_cmp_eq_u32_e64 s[14:15], 0, v10
	s_and_b64 s[14:15], s[12:13], s[14:15]
	v_add_u32_e32 v16, v23, v17
	s_and_saveexec_b64 s[12:13], s[14:15]
; %bb.14:
	v_bcnt_u32_b32 v4, v4, 0
	v_bcnt_u32_b32 v4, v5, v4
	ds_write_b32 v16, v4 offset:32
; %bb.15:
	s_or_b64 exec, exec, s[12:13]
	v_xor_b32_e32 v13, 0xffffff80, v13
	v_lshrrev_b32_sdwa v4, s48, v13 dst_sel:DWORD dst_unused:UNUSED_PAD src0_sel:DWORD src1_sel:BYTE_0
	v_and_b32_e32 v5, s52, v4
	v_mad_u32_u24 v4, v5, 36, v23
	; wave barrier
	ds_read_b32 v15, v4 offset:32
	v_and_b32_e32 v4, 1, v5
	v_add_co_u32_e64 v17, s[12:13], -1, v4
	v_addc_co_u32_e64 v22, s[12:13], 0, -1, s[12:13]
	v_cmp_ne_u32_e64 s[12:13], 0, v4
	v_xor_b32_e32 v4, s13, v22
	v_and_b32_e32 v22, exec_hi, v4
	v_lshlrev_b32_e32 v4, 30, v5
	v_xor_b32_e32 v17, s12, v17
	v_cmp_gt_i64_e64 s[12:13], 0, v[3:4]
	v_not_b32_e32 v4, v4
	v_ashrrev_i32_e32 v4, 31, v4
	v_and_b32_e32 v17, exec_lo, v17
	v_xor_b32_e32 v24, s13, v4
	v_xor_b32_e32 v4, s12, v4
	v_and_b32_e32 v17, v17, v4
	v_lshlrev_b32_e32 v4, 29, v5
	v_cmp_gt_i64_e64 s[12:13], 0, v[3:4]
	v_not_b32_e32 v4, v4
	v_ashrrev_i32_e32 v4, 31, v4
	v_and_b32_e32 v22, v22, v24
	v_xor_b32_e32 v24, s13, v4
	v_xor_b32_e32 v4, s12, v4
	v_and_b32_e32 v17, v17, v4
	v_lshlrev_b32_e32 v4, 28, v5
	v_cmp_gt_i64_e64 s[12:13], 0, v[3:4]
	v_not_b32_e32 v4, v4
	v_ashrrev_i32_e32 v4, 31, v4
	v_and_b32_e32 v22, v22, v24
	;; [unrolled: 8-line block ×5, first 2 shown]
	v_xor_b32_e32 v24, s13, v4
	v_xor_b32_e32 v4, s12, v4
	v_and_b32_e32 v17, v17, v4
	v_lshlrev_b32_e32 v4, 24, v5
	v_cmp_gt_i64_e64 s[12:13], 0, v[3:4]
	v_not_b32_e32 v3, v4
	v_ashrrev_i32_e32 v3, 31, v3
	v_xor_b32_e32 v4, s13, v3
	v_xor_b32_e32 v3, s12, v3
	v_and_b32_e32 v22, v22, v24
	v_and_b32_e32 v3, v17, v3
	v_mul_u32_u24_e32 v21, 36, v5
	v_and_b32_e32 v4, v22, v4
	v_mbcnt_lo_u32_b32 v5, v3, 0
	v_mbcnt_hi_u32_b32 v17, v4, v5
	v_cmp_ne_u64_e64 s[12:13], 0, v[3:4]
	v_cmp_eq_u32_e64 s[14:15], 0, v17
	s_and_b64 s[14:15], s[12:13], s[14:15]
	v_add_u32_e32 v22, v23, v21
	; wave barrier
	s_and_saveexec_b64 s[12:13], s[14:15]
	s_cbranch_execz .LBB48_17
; %bb.16:
	v_bcnt_u32_b32 v3, v3, 0
	v_bcnt_u32_b32 v3, v4, v3
	s_waitcnt lgkmcnt(0)
	v_add_u32_e32 v3, v15, v3
	ds_write_b32 v22, v3 offset:32
.LBB48_17:
	s_or_b64 exec, exec, s[12:13]
	v_xor_b32_e32 v18, 0xffffff80, v18
	v_lshrrev_b32_sdwa v3, s48, v18 dst_sel:DWORD dst_unused:UNUSED_PAD src0_sel:DWORD src1_sel:BYTE_0
	v_and_b32_e32 v5, s52, v3
	v_and_b32_e32 v4, 1, v5
	v_add_co_u32_e64 v24, s[12:13], -1, v4
	v_addc_co_u32_e64 v26, s[12:13], 0, -1, s[12:13]
	v_cmp_ne_u32_e64 s[12:13], 0, v4
	v_mad_u32_u24 v3, v5, 36, v23
	v_xor_b32_e32 v4, s13, v26
	; wave barrier
	ds_read_b32 v21, v3 offset:32
	v_mov_b32_e32 v3, 0
	v_and_b32_e32 v26, exec_hi, v4
	v_lshlrev_b32_e32 v4, 30, v5
	v_xor_b32_e32 v24, s12, v24
	v_cmp_gt_i64_e64 s[12:13], 0, v[3:4]
	v_not_b32_e32 v4, v4
	v_ashrrev_i32_e32 v4, 31, v4
	v_and_b32_e32 v24, exec_lo, v24
	v_xor_b32_e32 v27, s13, v4
	v_xor_b32_e32 v4, s12, v4
	v_and_b32_e32 v24, v24, v4
	v_lshlrev_b32_e32 v4, 29, v5
	v_cmp_gt_i64_e64 s[12:13], 0, v[3:4]
	v_not_b32_e32 v4, v4
	v_ashrrev_i32_e32 v4, 31, v4
	v_and_b32_e32 v26, v26, v27
	v_xor_b32_e32 v27, s13, v4
	v_xor_b32_e32 v4, s12, v4
	v_and_b32_e32 v24, v24, v4
	v_lshlrev_b32_e32 v4, 28, v5
	v_cmp_gt_i64_e64 s[12:13], 0, v[3:4]
	v_not_b32_e32 v4, v4
	v_ashrrev_i32_e32 v4, 31, v4
	v_and_b32_e32 v26, v26, v27
	;; [unrolled: 8-line block ×5, first 2 shown]
	v_xor_b32_e32 v27, s13, v4
	v_xor_b32_e32 v4, s12, v4
	v_and_b32_e32 v24, v24, v4
	v_lshlrev_b32_e32 v4, 24, v5
	v_cmp_gt_i64_e64 s[12:13], 0, v[3:4]
	v_not_b32_e32 v4, v4
	v_ashrrev_i32_e32 v4, 31, v4
	v_mul_u32_u24_e32 v25, 36, v5
	v_xor_b32_e32 v5, s13, v4
	v_xor_b32_e32 v4, s12, v4
	v_and_b32_e32 v26, v26, v27
	v_and_b32_e32 v4, v24, v4
	;; [unrolled: 1-line block ×3, first 2 shown]
	v_mbcnt_lo_u32_b32 v24, v4, 0
	v_mbcnt_hi_u32_b32 v24, v5, v24
	v_cmp_ne_u64_e64 s[12:13], 0, v[4:5]
	v_cmp_eq_u32_e64 s[14:15], 0, v24
	s_and_b64 s[14:15], s[12:13], s[14:15]
	v_add_u32_e32 v27, v23, v25
	; wave barrier
	s_and_saveexec_b64 s[12:13], s[14:15]
	s_cbranch_execz .LBB48_19
; %bb.18:
	v_bcnt_u32_b32 v4, v4, 0
	v_bcnt_u32_b32 v4, v5, v4
	s_waitcnt lgkmcnt(0)
	v_add_u32_e32 v4, v21, v4
	ds_write_b32 v27, v4 offset:32
.LBB48_19:
	s_or_b64 exec, exec, s[12:13]
	v_xor_b32_e32 v25, 0xffffff80, v20
	v_lshrrev_b32_sdwa v4, s48, v25 dst_sel:DWORD dst_unused:UNUSED_PAD src0_sel:DWORD src1_sel:BYTE_0
	v_and_b32_e32 v5, s52, v4
	v_mad_u32_u24 v4, v5, 36, v23
	; wave barrier
	ds_read_b32 v26, v4 offset:32
	v_and_b32_e32 v4, 1, v5
	v_add_co_u32_e64 v28, s[12:13], -1, v4
	v_addc_co_u32_e64 v29, s[12:13], 0, -1, s[12:13]
	v_cmp_ne_u32_e64 s[12:13], 0, v4
	v_xor_b32_e32 v4, s13, v29
	v_and_b32_e32 v29, exec_hi, v4
	v_lshlrev_b32_e32 v4, 30, v5
	v_xor_b32_e32 v28, s12, v28
	v_cmp_gt_i64_e64 s[12:13], 0, v[3:4]
	v_not_b32_e32 v4, v4
	v_ashrrev_i32_e32 v4, 31, v4
	v_and_b32_e32 v28, exec_lo, v28
	v_xor_b32_e32 v30, s13, v4
	v_xor_b32_e32 v4, s12, v4
	v_and_b32_e32 v28, v28, v4
	v_lshlrev_b32_e32 v4, 29, v5
	v_cmp_gt_i64_e64 s[12:13], 0, v[3:4]
	v_not_b32_e32 v4, v4
	v_ashrrev_i32_e32 v4, 31, v4
	v_and_b32_e32 v29, v29, v30
	v_xor_b32_e32 v30, s13, v4
	v_xor_b32_e32 v4, s12, v4
	v_and_b32_e32 v28, v28, v4
	v_lshlrev_b32_e32 v4, 28, v5
	v_cmp_gt_i64_e64 s[12:13], 0, v[3:4]
	v_not_b32_e32 v4, v4
	v_ashrrev_i32_e32 v4, 31, v4
	v_and_b32_e32 v29, v29, v30
	;; [unrolled: 8-line block ×5, first 2 shown]
	v_xor_b32_e32 v30, s13, v4
	v_xor_b32_e32 v4, s12, v4
	v_and_b32_e32 v28, v28, v4
	v_lshlrev_b32_e32 v4, 24, v5
	v_cmp_gt_i64_e64 s[12:13], 0, v[3:4]
	v_not_b32_e32 v3, v4
	v_ashrrev_i32_e32 v3, 31, v3
	v_xor_b32_e32 v4, s13, v3
	v_xor_b32_e32 v3, s12, v3
	v_and_b32_e32 v29, v29, v30
	v_and_b32_e32 v3, v28, v3
	v_mul_u32_u24_e32 v20, 36, v5
	v_and_b32_e32 v4, v29, v4
	v_mbcnt_lo_u32_b32 v5, v3, 0
	v_mbcnt_hi_u32_b32 v30, v4, v5
	v_cmp_ne_u64_e64 s[12:13], 0, v[3:4]
	v_cmp_eq_u32_e64 s[14:15], 0, v30
	s_and_b64 s[14:15], s[12:13], s[14:15]
	v_add_u32_e32 v20, v23, v20
	; wave barrier
	s_and_saveexec_b64 s[12:13], s[14:15]
	s_cbranch_execz .LBB48_21
; %bb.20:
	v_bcnt_u32_b32 v3, v3, 0
	v_bcnt_u32_b32 v3, v4, v3
	s_waitcnt lgkmcnt(0)
	v_add_u32_e32 v3, v26, v3
	ds_write_b32 v20, v3 offset:32
.LBB48_21:
	s_or_b64 exec, exec, s[12:13]
	v_xor_b32_e32 v14, 0xffffff80, v14
	v_lshrrev_b32_sdwa v3, s48, v14 dst_sel:DWORD dst_unused:UNUSED_PAD src0_sel:DWORD src1_sel:BYTE_0
	v_and_b32_e32 v5, s52, v3
	v_and_b32_e32 v4, 1, v5
	v_add_co_u32_e64 v29, s[12:13], -1, v4
	v_addc_co_u32_e64 v32, s[12:13], 0, -1, s[12:13]
	v_cmp_ne_u32_e64 s[12:13], 0, v4
	v_mad_u32_u24 v3, v5, 36, v23
	v_xor_b32_e32 v4, s13, v32
	; wave barrier
	ds_read_b32 v31, v3 offset:32
	v_mov_b32_e32 v3, 0
	v_and_b32_e32 v32, exec_hi, v4
	v_lshlrev_b32_e32 v4, 30, v5
	v_xor_b32_e32 v29, s12, v29
	v_cmp_gt_i64_e64 s[12:13], 0, v[3:4]
	v_not_b32_e32 v4, v4
	v_ashrrev_i32_e32 v4, 31, v4
	v_and_b32_e32 v29, exec_lo, v29
	v_xor_b32_e32 v33, s13, v4
	v_xor_b32_e32 v4, s12, v4
	v_and_b32_e32 v29, v29, v4
	v_lshlrev_b32_e32 v4, 29, v5
	v_cmp_gt_i64_e64 s[12:13], 0, v[3:4]
	v_not_b32_e32 v4, v4
	v_ashrrev_i32_e32 v4, 31, v4
	v_and_b32_e32 v32, v32, v33
	v_xor_b32_e32 v33, s13, v4
	v_xor_b32_e32 v4, s12, v4
	v_and_b32_e32 v29, v29, v4
	v_lshlrev_b32_e32 v4, 28, v5
	v_cmp_gt_i64_e64 s[12:13], 0, v[3:4]
	v_not_b32_e32 v4, v4
	v_ashrrev_i32_e32 v4, 31, v4
	v_and_b32_e32 v32, v32, v33
	;; [unrolled: 8-line block ×5, first 2 shown]
	v_xor_b32_e32 v33, s13, v4
	v_xor_b32_e32 v4, s12, v4
	v_and_b32_e32 v29, v29, v4
	v_lshlrev_b32_e32 v4, 24, v5
	v_cmp_gt_i64_e64 s[12:13], 0, v[3:4]
	v_not_b32_e32 v4, v4
	v_ashrrev_i32_e32 v4, 31, v4
	v_mul_u32_u24_e32 v28, 36, v5
	v_xor_b32_e32 v5, s13, v4
	v_xor_b32_e32 v4, s12, v4
	v_and_b32_e32 v32, v32, v33
	v_and_b32_e32 v4, v29, v4
	;; [unrolled: 1-line block ×3, first 2 shown]
	v_mbcnt_lo_u32_b32 v29, v4, 0
	v_mbcnt_hi_u32_b32 v32, v5, v29
	v_cmp_ne_u64_e64 s[12:13], 0, v[4:5]
	v_cmp_eq_u32_e64 s[14:15], 0, v32
	s_and_b64 s[14:15], s[12:13], s[14:15]
	v_add_u32_e32 v28, v23, v28
	; wave barrier
	s_and_saveexec_b64 s[12:13], s[14:15]
	s_cbranch_execz .LBB48_23
; %bb.22:
	v_bcnt_u32_b32 v4, v4, 0
	v_bcnt_u32_b32 v4, v5, v4
	s_waitcnt lgkmcnt(0)
	v_add_u32_e32 v4, v31, v4
	ds_write_b32 v28, v4 offset:32
.LBB48_23:
	s_or_b64 exec, exec, s[12:13]
	v_xor_b32_e32 v33, 0xffffff80, v6
	v_lshrrev_b32_sdwa v4, s48, v33 dst_sel:DWORD dst_unused:UNUSED_PAD src0_sel:DWORD src1_sel:BYTE_0
	v_and_b32_e32 v5, s52, v4
	v_mad_u32_u24 v4, v5, 36, v23
	; wave barrier
	ds_read_b32 v34, v4 offset:32
	v_and_b32_e32 v4, 1, v5
	v_add_co_u32_e64 v29, s[12:13], -1, v4
	v_addc_co_u32_e64 v35, s[12:13], 0, -1, s[12:13]
	v_cmp_ne_u32_e64 s[12:13], 0, v4
	v_xor_b32_e32 v4, s13, v35
	v_and_b32_e32 v35, exec_hi, v4
	v_lshlrev_b32_e32 v4, 30, v5
	v_xor_b32_e32 v29, s12, v29
	v_cmp_gt_i64_e64 s[12:13], 0, v[3:4]
	v_not_b32_e32 v4, v4
	v_ashrrev_i32_e32 v4, 31, v4
	v_and_b32_e32 v29, exec_lo, v29
	v_xor_b32_e32 v36, s13, v4
	v_xor_b32_e32 v4, s12, v4
	v_and_b32_e32 v29, v29, v4
	v_lshlrev_b32_e32 v4, 29, v5
	v_cmp_gt_i64_e64 s[12:13], 0, v[3:4]
	v_not_b32_e32 v4, v4
	v_ashrrev_i32_e32 v4, 31, v4
	v_and_b32_e32 v35, v35, v36
	v_xor_b32_e32 v36, s13, v4
	v_xor_b32_e32 v4, s12, v4
	v_and_b32_e32 v29, v29, v4
	v_lshlrev_b32_e32 v4, 28, v5
	v_cmp_gt_i64_e64 s[12:13], 0, v[3:4]
	v_not_b32_e32 v4, v4
	v_ashrrev_i32_e32 v4, 31, v4
	v_and_b32_e32 v35, v35, v36
	;; [unrolled: 8-line block ×5, first 2 shown]
	v_xor_b32_e32 v36, s13, v4
	v_xor_b32_e32 v4, s12, v4
	v_and_b32_e32 v29, v29, v4
	v_lshlrev_b32_e32 v4, 24, v5
	v_cmp_gt_i64_e64 s[12:13], 0, v[3:4]
	v_not_b32_e32 v3, v4
	v_ashrrev_i32_e32 v3, 31, v3
	v_xor_b32_e32 v4, s13, v3
	v_xor_b32_e32 v3, s12, v3
	v_and_b32_e32 v35, v35, v36
	v_and_b32_e32 v3, v29, v3
	v_mul_u32_u24_e32 v6, 36, v5
	v_and_b32_e32 v4, v35, v4
	v_mbcnt_lo_u32_b32 v5, v3, 0
	v_mbcnt_hi_u32_b32 v35, v4, v5
	v_cmp_ne_u64_e64 s[12:13], 0, v[3:4]
	v_cmp_eq_u32_e64 s[14:15], 0, v35
	s_and_b64 s[14:15], s[12:13], s[14:15]
	v_add_u32_e32 v23, v23, v6
	; wave barrier
	s_and_saveexec_b64 s[12:13], s[14:15]
	s_cbranch_execz .LBB48_25
; %bb.24:
	v_bcnt_u32_b32 v3, v3, 0
	v_bcnt_u32_b32 v3, v4, v3
	s_waitcnt lgkmcnt(0)
	v_add_u32_e32 v3, v34, v3
	ds_write_b32 v23, v3 offset:32
.LBB48_25:
	s_or_b64 exec, exec, s[12:13]
	; wave barrier
	s_waitcnt lgkmcnt(0)
	s_barrier
	ds_read2_b32 v[5:6], v9 offset0:8 offset1:9
	ds_read2_b32 v[3:4], v9 offset0:10 offset1:11
	ds_read_b32 v29, v9 offset:48
	v_min_u32_e32 v7, 0x1c0, v7
	v_or_b32_e32 v7, 63, v7
	s_waitcnt lgkmcnt(1)
	v_add3_u32 v36, v6, v5, v3
	s_waitcnt lgkmcnt(0)
	v_add3_u32 v29, v36, v4, v29
	v_and_b32_e32 v36, 15, v12
	v_cmp_ne_u32_e64 s[12:13], 0, v36
	v_mov_b32_dpp v37, v29 row_shr:1 row_mask:0xf bank_mask:0xf
	v_cndmask_b32_e64 v37, 0, v37, s[12:13]
	v_add_u32_e32 v29, v37, v29
	v_cmp_lt_u32_e64 s[12:13], 1, v36
	s_nop 0
	v_mov_b32_dpp v37, v29 row_shr:2 row_mask:0xf bank_mask:0xf
	v_cndmask_b32_e64 v37, 0, v37, s[12:13]
	v_add_u32_e32 v29, v29, v37
	v_cmp_lt_u32_e64 s[12:13], 3, v36
	s_nop 0
	;; [unrolled: 5-line block ×3, first 2 shown]
	v_mov_b32_dpp v37, v29 row_shr:8 row_mask:0xf bank_mask:0xf
	v_cndmask_b32_e64 v36, 0, v37, s[12:13]
	v_add_u32_e32 v29, v29, v36
	v_bfe_i32 v37, v12, 4, 1
	v_cmp_lt_u32_e64 s[12:13], 31, v12
	v_mov_b32_dpp v36, v29 row_bcast:15 row_mask:0xf bank_mask:0xf
	v_and_b32_e32 v36, v37, v36
	v_add_u32_e32 v29, v29, v36
	s_nop 1
	v_mov_b32_dpp v36, v29 row_bcast:31 row_mask:0xf bank_mask:0xf
	v_cndmask_b32_e64 v36, 0, v36, s[12:13]
	v_add_u32_e32 v29, v29, v36
	v_lshrrev_b32_e32 v36, 6, v0
	v_cmp_eq_u32_e64 s[12:13], v0, v7
	s_and_saveexec_b64 s[14:15], s[12:13]
; %bb.26:
	v_lshlrev_b32_e32 v7, 2, v36
	ds_write_b32 v7, v29
; %bb.27:
	s_or_b64 exec, exec, s[14:15]
	v_cmp_gt_u32_e64 s[12:13], 8, v0
	s_waitcnt lgkmcnt(0)
	s_barrier
	s_and_saveexec_b64 s[14:15], s[12:13]
	s_cbranch_execz .LBB48_29
; %bb.28:
	v_lshlrev_b32_e32 v7, 2, v0
	ds_read_b32 v37, v7
	v_and_b32_e32 v38, 7, v12
	v_cmp_ne_u32_e64 s[12:13], 0, v38
	s_waitcnt lgkmcnt(0)
	v_mov_b32_dpp v39, v37 row_shr:1 row_mask:0xf bank_mask:0xf
	v_cndmask_b32_e64 v39, 0, v39, s[12:13]
	v_add_u32_e32 v37, v39, v37
	v_cmp_lt_u32_e64 s[12:13], 1, v38
	s_nop 0
	v_mov_b32_dpp v39, v37 row_shr:2 row_mask:0xf bank_mask:0xf
	v_cndmask_b32_e64 v39, 0, v39, s[12:13]
	v_add_u32_e32 v37, v37, v39
	v_cmp_lt_u32_e64 s[12:13], 3, v38
	s_nop 0
	v_mov_b32_dpp v39, v37 row_shr:4 row_mask:0xf bank_mask:0xf
	v_cndmask_b32_e64 v38, 0, v39, s[12:13]
	v_add_u32_e32 v37, v37, v38
	ds_write_b32 v7, v37
.LBB48_29:
	s_or_b64 exec, exec, s[14:15]
	v_cmp_lt_u32_e64 s[12:13], 63, v0
	v_mov_b32_e32 v7, 0
	s_waitcnt lgkmcnt(0)
	s_barrier
	s_and_saveexec_b64 s[14:15], s[12:13]
; %bb.30:
	v_lshl_add_u32 v7, v36, 2, -4
	ds_read_b32 v7, v7
; %bb.31:
	s_or_b64 exec, exec, s[14:15]
	v_add_u32_e32 v36, -1, v12
	v_and_b32_e32 v37, 64, v12
	v_cmp_lt_i32_e64 s[12:13], v36, v37
	v_cndmask_b32_e64 v36, v36, v12, s[12:13]
	s_waitcnt lgkmcnt(0)
	v_add_u32_e32 v29, v7, v29
	v_lshlrev_b32_e32 v36, 2, v36
	ds_bpermute_b32 v29, v36, v29
	v_cmp_eq_u32_e64 s[12:13], 0, v12
	s_movk_i32 s16, 0x100
	v_cmp_gt_u32_e64 s[14:15], s16, v0
	s_waitcnt lgkmcnt(0)
	v_cndmask_b32_e64 v7, v29, v7, s[12:13]
	v_cmp_ne_u32_e64 s[12:13], 0, v0
	v_cndmask_b32_e64 v7, 0, v7, s[12:13]
	v_add_u32_e32 v5, v7, v5
	v_add_u32_e32 v6, v5, v6
	;; [unrolled: 1-line block ×4, first 2 shown]
	ds_write2_b32 v9, v7, v5 offset0:8 offset1:9
	ds_write2_b32 v9, v6, v3 offset0:10 offset1:11
	ds_write_b32 v9, v4 offset:48
	s_waitcnt lgkmcnt(0)
	s_barrier
	ds_read_b32 v5, v16 offset:32
	ds_read_b32 v6, v22 offset:32
	;; [unrolled: 1-line block ×6, first 2 shown]
	s_movk_i32 s12, 0xff
	v_mov_b32_e32 v3, 0
	v_cmp_lt_u32_e64 s[12:13], s12, v0
	v_mov_b32_e32 v4, 0
                                        ; implicit-def: $vgpr20
	s_and_saveexec_b64 s[18:19], s[14:15]
	s_cbranch_execz .LBB48_35
; %bb.32:
	v_mul_u32_u24_e32 v3, 36, v0
	ds_read_b32 v3, v3 offset:32
	v_add_u32_e32 v20, 1, v0
	v_cmp_ne_u32_e64 s[16:17], s16, v20
	v_mov_b32_e32 v4, 0xc00
	s_and_saveexec_b64 s[20:21], s[16:17]
; %bb.33:
	v_mul_u32_u24_e32 v4, 36, v20
	ds_read_b32 v4, v4 offset:32
; %bb.34:
	s_or_b64 exec, exec, s[20:21]
	s_waitcnt lgkmcnt(0)
	v_sub_u32_e32 v20, v4, v3
	v_mov_b32_e32 v4, 0
.LBB48_35:
	s_or_b64 exec, exec, s[18:19]
	s_waitcnt lgkmcnt(5)
	v_add_u32_e32 v29, v5, v10
	s_waitcnt lgkmcnt(4)
	v_add3_u32 v28, v17, v15, v6
	s_waitcnt lgkmcnt(3)
	v_add3_u32 v27, v24, v21, v7
	s_waitcnt lgkmcnt(2)
	v_add3_u32 v24, v30, v26, v9
	s_waitcnt lgkmcnt(1)
	v_add3_u32 v23, v32, v31, v16
	s_waitcnt lgkmcnt(0)
	v_add3_u32 v22, v35, v34, v22
	v_mov_b32_e32 v6, 0
	v_lshlrev_b32_e32 v21, 3, v0
	s_barrier
	ds_write_b8 v29, v8 offset:2048
	ds_write_b8 v28, v13 offset:2048
	;; [unrolled: 1-line block ×6, first 2 shown]
	s_waitcnt lgkmcnt(0)
	s_barrier
	s_and_saveexec_b64 s[16:17], s[14:15]
	s_cbranch_execz .LBB48_45
; %bb.36:
	v_lshl_add_u32 v5, s6, 8, v0
	v_lshlrev_b64 v[7:8], 2, v[5:6]
	v_mov_b32_e32 v13, s35
	v_add_co_u32_e64 v7, s[14:15], s34, v7
	v_addc_co_u32_e64 v8, s[14:15], v13, v8, s[14:15]
	v_or_b32_e32 v5, 2.0, v20
	s_mov_b64 s[18:19], 0
	s_brev_b32 s24, -4
	s_mov_b32 s25, s6
	v_mov_b32_e32 v14, 0
	global_store_dword v[7:8], v5, off
                                        ; implicit-def: $sgpr14_sgpr15
	s_branch .LBB48_39
.LBB48_37:                              ;   in Loop: Header=BB48_39 Depth=1
	s_or_b64 exec, exec, s[22:23]
.LBB48_38:                              ;   in Loop: Header=BB48_39 Depth=1
	s_or_b64 exec, exec, s[20:21]
	v_and_b32_e32 v9, 0x3fffffff, v5
	v_add_u32_e32 v14, v9, v14
	v_cmp_gt_i32_e64 s[14:15], -2.0, v5
	s_and_b64 s[20:21], exec, s[14:15]
	s_or_b64 s[18:19], s[20:21], s[18:19]
	s_andn2_b64 exec, exec, s[18:19]
	s_cbranch_execz .LBB48_44
.LBB48_39:                              ; =>This Loop Header: Depth=1
                                        ;     Child Loop BB48_42 Depth 2
	s_or_b64 s[14:15], s[14:15], exec
	s_cmp_eq_u32 s25, 0
	s_cbranch_scc1 .LBB48_43
; %bb.40:                               ;   in Loop: Header=BB48_39 Depth=1
	s_add_i32 s25, s25, -1
	v_lshl_or_b32 v5, s25, 8, v0
	v_lshlrev_b64 v[9:10], 2, v[5:6]
	v_add_co_u32_e64 v9, s[14:15], s34, v9
	v_addc_co_u32_e64 v10, s[14:15], v13, v10, s[14:15]
	global_load_dword v5, v[9:10], off glc
	s_waitcnt vmcnt(0)
	v_cmp_gt_u32_e64 s[14:15], 2.0, v5
	s_and_saveexec_b64 s[20:21], s[14:15]
	s_cbranch_execz .LBB48_38
; %bb.41:                               ;   in Loop: Header=BB48_39 Depth=1
	s_mov_b64 s[22:23], 0
.LBB48_42:                              ;   Parent Loop BB48_39 Depth=1
                                        ; =>  This Inner Loop Header: Depth=2
	global_load_dword v5, v[9:10], off glc
	s_waitcnt vmcnt(0)
	v_cmp_lt_u32_e64 s[14:15], s24, v5
	s_or_b64 s[22:23], s[14:15], s[22:23]
	s_andn2_b64 exec, exec, s[22:23]
	s_cbranch_execnz .LBB48_42
	s_branch .LBB48_37
.LBB48_43:                              ;   in Loop: Header=BB48_39 Depth=1
                                        ; implicit-def: $sgpr25
	s_and_b64 s[20:21], exec, s[14:15]
	s_or_b64 s[18:19], s[20:21], s[18:19]
	s_andn2_b64 exec, exec, s[18:19]
	s_cbranch_execnz .LBB48_39
.LBB48_44:
	s_or_b64 exec, exec, s[18:19]
	v_add_u32_e32 v5, v14, v20
	v_or_b32_e32 v5, 0x80000000, v5
	global_store_dword v[7:8], v5, off
	global_load_dwordx2 v[5:6], v21, s[44:45]
	v_sub_co_u32_e64 v7, s[14:15], v14, v3
	v_subb_co_u32_e64 v8, s[14:15], 0, v4, s[14:15]
	s_waitcnt vmcnt(0)
	v_add_co_u32_e64 v5, s[14:15], v7, v5
	v_addc_co_u32_e64 v6, s[14:15], v8, v6, s[14:15]
	ds_write_b64 v21, v[5:6]
.LBB48_45:
	s_or_b64 exec, exec, s[16:17]
	v_cmp_gt_u32_e64 s[14:15], s33, v0
	s_waitcnt lgkmcnt(0)
	s_barrier
	s_and_saveexec_b64 s[18:19], s[14:15]
	s_cbranch_execz .LBB48_47
; %bb.46:
	ds_read_u8 v7, v0 offset:2048
	v_mov_b32_e32 v8, s39
	s_waitcnt lgkmcnt(0)
	v_lshrrev_b32_sdwa v5, s48, v7 dst_sel:DWORD dst_unused:UNUSED_PAD src0_sel:DWORD src1_sel:BYTE_0
	v_and_b32_e32 v5, s52, v5
	v_lshlrev_b32_e32 v5, 3, v5
	ds_read_b64 v[5:6], v5
	v_xor_b32_e32 v7, 0x80, v7
	s_waitcnt lgkmcnt(0)
	v_add_co_u32_e64 v5, s[16:17], s38, v5
	v_addc_co_u32_e64 v6, s[16:17], v8, v6, s[16:17]
	v_add_co_u32_e64 v5, s[16:17], v5, v0
	v_addc_co_u32_e64 v6, s[16:17], 0, v6, s[16:17]
	global_store_byte v[5:6], v7, off
.LBB48_47:
	s_or_b64 exec, exec, s[18:19]
	v_or_b32_e32 v25, 0x200, v0
	v_cmp_gt_u32_e64 s[16:17], s33, v25
	s_and_saveexec_b64 s[20:21], s[16:17]
	s_cbranch_execz .LBB48_49
; %bb.48:
	ds_read_u8 v7, v0 offset:2560
	v_mov_b32_e32 v8, s39
	s_waitcnt lgkmcnt(0)
	v_lshrrev_b32_sdwa v5, s48, v7 dst_sel:DWORD dst_unused:UNUSED_PAD src0_sel:DWORD src1_sel:BYTE_0
	v_and_b32_e32 v5, s52, v5
	v_lshlrev_b32_e32 v5, 3, v5
	ds_read_b64 v[5:6], v5
	v_xor_b32_e32 v7, 0x80, v7
	s_waitcnt lgkmcnt(0)
	v_add_co_u32_e64 v5, s[18:19], s38, v5
	v_addc_co_u32_e64 v6, s[18:19], v8, v6, s[18:19]
	v_add_co_u32_e64 v5, s[18:19], v5, v0
	v_addc_co_u32_e64 v6, s[18:19], 0, v6, s[18:19]
	global_store_byte v[5:6], v7, off offset:512
.LBB48_49:
	s_or_b64 exec, exec, s[20:21]
	v_or_b32_e32 v26, 0x400, v0
	v_cmp_gt_u32_e64 s[18:19], s33, v26
	s_and_saveexec_b64 s[22:23], s[18:19]
	s_cbranch_execz .LBB48_51
; %bb.50:
	ds_read_u8 v7, v0 offset:3072
	v_mov_b32_e32 v8, s39
	s_waitcnt lgkmcnt(0)
	v_lshrrev_b32_sdwa v5, s48, v7 dst_sel:DWORD dst_unused:UNUSED_PAD src0_sel:DWORD src1_sel:BYTE_0
	v_and_b32_e32 v5, s52, v5
	v_lshlrev_b32_e32 v5, 3, v5
	ds_read_b64 v[5:6], v5
	v_xor_b32_e32 v7, 0x80, v7
	s_waitcnt lgkmcnt(0)
	v_add_co_u32_e64 v5, s[20:21], s38, v5
	v_addc_co_u32_e64 v6, s[20:21], v8, v6, s[20:21]
	v_add_co_u32_e64 v5, s[20:21], v5, v0
	v_addc_co_u32_e64 v6, s[20:21], 0, v6, s[20:21]
	global_store_byte v[5:6], v7, off offset:1024
.LBB48_51:
	;; [unrolled: 21-line block ×5, first 2 shown]
	s_or_b64 exec, exec, s[50:51]
	s_lshl_b64 s[28:29], s[30:31], 3
	s_add_u32 s28, s40, s28
	s_addc_u32 s29, s41, s29
	v_lshlrev_b32_e32 v5, 3, v12
	v_mov_b32_e32 v6, s29
	v_add_co_u32_e64 v5, s[28:29], s28, v5
	v_addc_co_u32_e64 v6, s[28:29], 0, v6, s[28:29]
	v_lshlrev_b32_e32 v7, 3, v11
	v_add_co_u32_e64 v17, s[28:29], v5, v7
	v_addc_co_u32_e64 v18, s[28:29], 0, v6, s[28:29]
                                        ; implicit-def: $vgpr5_vgpr6
	s_and_saveexec_b64 s[28:29], vcc
	s_xor_b64 s[28:29], exec, s[28:29]
	s_cbranch_execz .LBB48_63
; %bb.58:
	global_load_dwordx2 v[5:6], v[17:18], off
	s_or_b64 exec, exec, s[28:29]
                                        ; implicit-def: $vgpr7_vgpr8
	s_and_saveexec_b64 s[28:29], s[0:1]
	s_cbranch_execnz .LBB48_64
.LBB48_59:
	s_or_b64 exec, exec, s[28:29]
                                        ; implicit-def: $vgpr9_vgpr10
	s_and_saveexec_b64 s[0:1], s[2:3]
	s_cbranch_execz .LBB48_65
.LBB48_60:
	global_load_dwordx2 v[9:10], v[17:18], off offset:1024
	s_or_b64 exec, exec, s[0:1]
                                        ; implicit-def: $vgpr11_vgpr12
	s_and_saveexec_b64 s[0:1], s[26:27]
	s_cbranch_execnz .LBB48_66
.LBB48_61:
	s_or_b64 exec, exec, s[0:1]
                                        ; implicit-def: $vgpr13_vgpr14
	s_and_saveexec_b64 s[0:1], s[8:9]
	s_cbranch_execz .LBB48_67
.LBB48_62:
	global_load_dwordx2 v[13:14], v[17:18], off offset:2048
	s_or_b64 exec, exec, s[0:1]
                                        ; implicit-def: $vgpr15_vgpr16
	s_and_saveexec_b64 s[0:1], s[10:11]
	s_cbranch_execnz .LBB48_68
	s_branch .LBB48_69
.LBB48_63:
	s_or_b64 exec, exec, s[28:29]
                                        ; implicit-def: $vgpr7_vgpr8
	s_and_saveexec_b64 s[28:29], s[0:1]
	s_cbranch_execz .LBB48_59
.LBB48_64:
	global_load_dwordx2 v[7:8], v[17:18], off offset:512
	s_or_b64 exec, exec, s[28:29]
                                        ; implicit-def: $vgpr9_vgpr10
	s_and_saveexec_b64 s[0:1], s[2:3]
	s_cbranch_execnz .LBB48_60
.LBB48_65:
	s_or_b64 exec, exec, s[0:1]
                                        ; implicit-def: $vgpr11_vgpr12
	s_and_saveexec_b64 s[0:1], s[26:27]
	s_cbranch_execz .LBB48_61
.LBB48_66:
	global_load_dwordx2 v[11:12], v[17:18], off offset:1536
	s_or_b64 exec, exec, s[0:1]
                                        ; implicit-def: $vgpr13_vgpr14
	s_and_saveexec_b64 s[0:1], s[8:9]
	s_cbranch_execnz .LBB48_62
.LBB48_67:
	s_or_b64 exec, exec, s[0:1]
                                        ; implicit-def: $vgpr15_vgpr16
	s_and_saveexec_b64 s[0:1], s[10:11]
	s_cbranch_execz .LBB48_69
.LBB48_68:
	global_load_dwordx2 v[15:16], v[17:18], off offset:2560
.LBB48_69:
	s_or_b64 exec, exec, s[0:1]
	v_mov_b32_e32 v34, 0
	v_mov_b32_e32 v36, 0
	s_and_saveexec_b64 s[0:1], s[14:15]
	s_cbranch_execz .LBB48_71
; %bb.70:
	ds_read_u8 v17, v0 offset:2048
	s_waitcnt lgkmcnt(0)
	v_lshrrev_b32_e32 v17, s48, v17
	v_and_b32_e32 v36, s52, v17
.LBB48_71:
	s_or_b64 exec, exec, s[0:1]
	s_and_saveexec_b64 s[0:1], s[16:17]
	s_cbranch_execz .LBB48_73
; %bb.72:
	ds_read_u8 v17, v0 offset:2560
	s_waitcnt lgkmcnt(0)
	v_lshrrev_b32_e32 v17, s48, v17
	v_and_b32_e32 v34, s52, v17
.LBB48_73:
	s_or_b64 exec, exec, s[0:1]
	v_mov_b32_e32 v18, 0
	v_mov_b32_e32 v35, 0
	s_and_saveexec_b64 s[0:1], s[18:19]
	s_cbranch_execz .LBB48_75
; %bb.74:
	ds_read_u8 v17, v0 offset:3072
	s_waitcnt lgkmcnt(0)
	v_lshrrev_b32_e32 v17, s48, v17
	v_and_b32_e32 v35, s52, v17
.LBB48_75:
	s_or_b64 exec, exec, s[0:1]
	s_and_saveexec_b64 s[0:1], s[20:21]
	s_cbranch_execz .LBB48_77
; %bb.76:
	ds_read_u8 v17, v0 offset:3584
	s_waitcnt lgkmcnt(0)
	v_lshrrev_b32_e32 v17, s48, v17
	v_and_b32_e32 v18, s52, v17
.LBB48_77:
	;; [unrolled: 20-line block ×3, first 2 shown]
	s_or_b64 exec, exec, s[0:1]
	v_lshlrev_b32_e32 v29, 3, v29
	s_waitcnt vmcnt(0)
	s_barrier
	ds_write_b64 v29, v[5:6] offset:2048
	v_lshlrev_b32_e32 v5, 3, v28
	ds_write_b64 v5, v[7:8] offset:2048
	v_lshlrev_b32_e32 v5, 3, v27
	;; [unrolled: 2-line block ×5, first 2 shown]
	ds_write_b64 v5, v[15:16] offset:2048
	s_waitcnt lgkmcnt(0)
	s_barrier
	s_and_saveexec_b64 s[0:1], s[14:15]
	s_cbranch_execz .LBB48_87
; %bb.82:
	v_lshlrev_b32_e32 v5, 3, v36
	ds_read_b64 v[5:6], v5
	ds_read_b64 v[7:8], v21 offset:2048
	v_mov_b32_e32 v9, s43
	s_waitcnt lgkmcnt(1)
	v_lshlrev_b64 v[5:6], 3, v[5:6]
	v_add_co_u32_e32 v5, vcc, s42, v5
	v_addc_co_u32_e32 v6, vcc, v9, v6, vcc
	v_add_co_u32_e32 v5, vcc, v5, v21
	v_addc_co_u32_e32 v6, vcc, 0, v6, vcc
	s_waitcnt lgkmcnt(0)
	global_store_dwordx2 v[5:6], v[7:8], off
	s_or_b64 exec, exec, s[0:1]
	s_and_saveexec_b64 s[0:1], s[16:17]
	s_cbranch_execnz .LBB48_88
.LBB48_83:
	s_or_b64 exec, exec, s[0:1]
	s_and_saveexec_b64 s[0:1], s[18:19]
	s_cbranch_execz .LBB48_89
.LBB48_84:
	v_lshlrev_b32_e32 v5, 3, v35
	ds_read_b64 v[5:6], v5
	ds_read_b64 v[7:8], v21 offset:10240
	v_mov_b32_e32 v9, s43
	s_waitcnt lgkmcnt(1)
	v_lshlrev_b64 v[5:6], 3, v[5:6]
	v_add_co_u32_e32 v5, vcc, s42, v5
	v_addc_co_u32_e32 v6, vcc, v9, v6, vcc
	v_lshlrev_b32_e32 v9, 3, v26
	v_add_co_u32_e32 v5, vcc, v5, v9
	v_addc_co_u32_e32 v6, vcc, 0, v6, vcc
	s_waitcnt lgkmcnt(0)
	global_store_dwordx2 v[5:6], v[7:8], off
	s_or_b64 exec, exec, s[0:1]
	s_and_saveexec_b64 s[0:1], s[20:21]
	s_cbranch_execnz .LBB48_90
.LBB48_85:
	s_or_b64 exec, exec, s[0:1]
	s_and_saveexec_b64 s[0:1], s[22:23]
	s_cbranch_execz .LBB48_91
.LBB48_86:
	v_lshlrev_b32_e32 v5, 3, v33
	ds_read_b64 v[5:6], v5
	ds_read_b64 v[7:8], v21 offset:18432
	v_mov_b32_e32 v9, s43
	s_waitcnt lgkmcnt(1)
	v_lshlrev_b64 v[5:6], 3, v[5:6]
	v_add_co_u32_e32 v5, vcc, s42, v5
	v_addc_co_u32_e32 v6, vcc, v9, v6, vcc
	v_lshlrev_b32_e32 v9, 3, v31
	v_add_co_u32_e32 v5, vcc, v5, v9
	v_addc_co_u32_e32 v6, vcc, 0, v6, vcc
	s_waitcnt lgkmcnt(0)
	global_store_dwordx2 v[5:6], v[7:8], off
	s_or_b64 exec, exec, s[0:1]
	s_and_saveexec_b64 s[0:1], s[24:25]
	s_cbranch_execnz .LBB48_92
	s_branch .LBB48_93
.LBB48_87:
	s_or_b64 exec, exec, s[0:1]
	s_and_saveexec_b64 s[0:1], s[16:17]
	s_cbranch_execz .LBB48_83
.LBB48_88:
	v_lshlrev_b32_e32 v5, 3, v34
	ds_read_b64 v[5:6], v5
	ds_read_b64 v[7:8], v21 offset:6144
	v_mov_b32_e32 v9, s43
	s_waitcnt lgkmcnt(1)
	v_lshlrev_b64 v[5:6], 3, v[5:6]
	v_add_co_u32_e32 v5, vcc, s42, v5
	v_addc_co_u32_e32 v6, vcc, v9, v6, vcc
	v_lshlrev_b32_e32 v9, 3, v25
	v_add_co_u32_e32 v5, vcc, v5, v9
	v_addc_co_u32_e32 v6, vcc, 0, v6, vcc
	s_waitcnt lgkmcnt(0)
	global_store_dwordx2 v[5:6], v[7:8], off
	s_or_b64 exec, exec, s[0:1]
	s_and_saveexec_b64 s[0:1], s[18:19]
	s_cbranch_execnz .LBB48_84
.LBB48_89:
	s_or_b64 exec, exec, s[0:1]
	s_and_saveexec_b64 s[0:1], s[20:21]
	s_cbranch_execz .LBB48_85
.LBB48_90:
	v_lshlrev_b32_e32 v5, 3, v18
	ds_read_b64 v[5:6], v5
	ds_read_b64 v[7:8], v21 offset:14336
	v_mov_b32_e32 v9, s43
	s_waitcnt lgkmcnt(1)
	v_lshlrev_b64 v[5:6], 3, v[5:6]
	v_add_co_u32_e32 v5, vcc, s42, v5
	v_addc_co_u32_e32 v6, vcc, v9, v6, vcc
	v_lshlrev_b32_e32 v9, 3, v30
	v_add_co_u32_e32 v5, vcc, v5, v9
	v_addc_co_u32_e32 v6, vcc, 0, v6, vcc
	s_waitcnt lgkmcnt(0)
	global_store_dwordx2 v[5:6], v[7:8], off
	s_or_b64 exec, exec, s[0:1]
	s_and_saveexec_b64 s[0:1], s[22:23]
	s_cbranch_execnz .LBB48_86
.LBB48_91:
	s_or_b64 exec, exec, s[0:1]
	s_and_saveexec_b64 s[0:1], s[24:25]
	s_cbranch_execz .LBB48_93
.LBB48_92:
	v_lshlrev_b32_e32 v5, 3, v17
	ds_read_b64 v[5:6], v5
	ds_read_b64 v[7:8], v21 offset:22528
	v_mov_b32_e32 v9, s43
	s_waitcnt lgkmcnt(1)
	v_lshlrev_b64 v[5:6], 3, v[5:6]
	v_add_co_u32_e32 v5, vcc, s42, v5
	v_addc_co_u32_e32 v6, vcc, v9, v6, vcc
	v_lshlrev_b32_e32 v9, 3, v32
	v_add_co_u32_e32 v5, vcc, v5, v9
	v_addc_co_u32_e32 v6, vcc, 0, v6, vcc
	s_waitcnt lgkmcnt(0)
	global_store_dwordx2 v[5:6], v[7:8], off
.LBB48_93:
	s_or_b64 exec, exec, s[0:1]
	s_add_i32 s7, s7, -1
	s_cmp_eq_u32 s6, s7
	s_cselect_b64 s[0:1], -1, 0
	s_xor_b64 s[2:3], s[12:13], -1
	s_and_b64 s[2:3], s[2:3], s[0:1]
	s_and_saveexec_b64 s[0:1], s[2:3]
	s_cbranch_execz .LBB48_95
; %bb.94:
	ds_read_b64 v[5:6], v21
	v_add_co_u32_e32 v3, vcc, v3, v20
	v_addc_co_u32_e32 v4, vcc, 0, v4, vcc
	s_waitcnt lgkmcnt(0)
	v_add_co_u32_e32 v3, vcc, v3, v5
	v_addc_co_u32_e32 v4, vcc, v4, v6, vcc
	global_store_dwordx2 v21, v[3:4], s[46:47]
.LBB48_95:
	s_or_b64 exec, exec, s[0:1]
	s_mov_b64 s[0:1], 0
.LBB48_96:
	s_and_b64 vcc, exec, s[0:1]
	s_cbranch_vccz .LBB48_131
; %bb.97:
	s_add_u32 s0, s36, s30
	s_addc_u32 s1, s37, 0
	v_mbcnt_hi_u32_b32 v10, -1, v19
	v_and_b32_e32 v7, 0x1c0, v0
	v_mov_b32_e32 v3, s1
	v_add_co_u32_e32 v4, vcc, s0, v10
	v_mul_u32_u24_e32 v9, 6, v7
	v_addc_co_u32_e32 v3, vcc, 0, v3, vcc
	v_add_co_u32_e32 v4, vcc, v4, v9
	v_addc_co_u32_e32 v5, vcc, 0, v3, vcc
	global_load_ubyte v8, v[4:5], off
	s_load_dword s0, s[4:5], 0x5c
	s_load_dword s7, s[4:5], 0x50
	s_add_u32 s1, s4, 0x50
	s_addc_u32 s2, s5, 0
	v_mov_b32_e32 v3, 0
	s_waitcnt lgkmcnt(0)
	s_lshr_b32 s3, s0, 16
	s_cmp_lt_u32 s6, s7
	s_cselect_b32 s0, 12, 18
	s_add_u32 s0, s1, s0
	s_addc_u32 s1, s2, 0
	global_load_ushort v12, v3, s[0:1]
	v_mul_u32_u24_e32 v6, 20, v0
	ds_write2_b32 v6, v3, v3 offset0:8 offset1:9
	ds_write2_b32 v6, v3, v3 offset0:10 offset1:11
	ds_write_b32 v6, v3 offset:48
	global_load_ubyte v11, v[4:5], off offset:64
	global_load_ubyte v15, v[4:5], off offset:128
	;; [unrolled: 1-line block ×5, first 2 shown]
	s_lshl_b32 s0, -1, s49
	v_mad_u32_u24 v1, v2, s3, v1
	s_not_b32 s12, s0
	s_mov_b32 s31, 0
	s_waitcnt vmcnt(0) lgkmcnt(0)
	s_barrier
	; wave barrier
	v_xor_b32_e32 v5, 0x80, v8
	v_lshrrev_b32_e32 v2, s48, v5
	v_and_b32_e32 v8, s12, v2
	v_and_b32_e32 v2, 1, v8
	v_add_co_u32_e32 v14, vcc, -1, v2
	v_lshlrev_b32_e32 v4, 30, v8
	v_addc_co_u32_e64 v16, s[0:1], 0, -1, vcc
	v_cmp_ne_u32_e32 vcc, 0, v2
	v_cmp_gt_i64_e64 s[0:1], 0, v[3:4]
	v_not_b32_e32 v18, v4
	v_lshlrev_b32_e32 v4, 29, v8
	v_mad_u64_u32 v[1:2], s[2:3], v1, v12, v[0:1]
	v_xor_b32_e32 v2, vcc_hi, v16
	v_xor_b32_e32 v12, vcc_lo, v14
	v_ashrrev_i32_e32 v14, 31, v18
	v_cmp_gt_i64_e32 vcc, 0, v[3:4]
	v_not_b32_e32 v16, v4
	v_lshlrev_b32_e32 v4, 28, v8
	v_and_b32_e32 v2, exec_hi, v2
	v_and_b32_e32 v12, exec_lo, v12
	v_xor_b32_e32 v18, s1, v14
	v_xor_b32_e32 v14, s0, v14
	v_ashrrev_i32_e32 v16, 31, v16
	v_cmp_gt_i64_e64 s[0:1], 0, v[3:4]
	v_not_b32_e32 v19, v4
	v_lshlrev_b32_e32 v4, 27, v8
	v_and_b32_e32 v2, v2, v18
	v_and_b32_e32 v12, v12, v14
	v_xor_b32_e32 v14, vcc_hi, v16
	v_xor_b32_e32 v16, vcc_lo, v16
	v_ashrrev_i32_e32 v18, 31, v19
	v_cmp_gt_i64_e32 vcc, 0, v[3:4]
	v_not_b32_e32 v19, v4
	v_lshlrev_b32_e32 v4, 26, v8
	v_and_b32_e32 v2, v2, v14
	v_and_b32_e32 v12, v12, v16
	v_xor_b32_e32 v14, s1, v18
	v_xor_b32_e32 v16, s0, v18
	v_ashrrev_i32_e32 v18, 31, v19
	v_cmp_gt_i64_e64 s[0:1], 0, v[3:4]
	v_not_b32_e32 v4, v4
	v_lshrrev_b32_e32 v1, 4, v1
	v_and_b32_e32 v2, v2, v14
	v_and_b32_e32 v12, v12, v16
	v_xor_b32_e32 v14, vcc_hi, v18
	v_xor_b32_e32 v16, vcc_lo, v18
	v_ashrrev_i32_e32 v4, 31, v4
	v_and_b32_e32 v18, 0xffffffc, v1
	v_and_b32_e32 v1, v2, v14
	;; [unrolled: 1-line block ×3, first 2 shown]
	v_xor_b32_e32 v12, s1, v4
	v_xor_b32_e32 v4, s0, v4
	v_and_b32_e32 v2, v2, v4
	v_lshlrev_b32_e32 v4, 25, v8
	v_cmp_gt_i64_e32 vcc, 0, v[3:4]
	v_not_b32_e32 v4, v4
	v_ashrrev_i32_e32 v4, 31, v4
	v_and_b32_e32 v1, v1, v12
	v_xor_b32_e32 v12, vcc_hi, v4
	v_xor_b32_e32 v4, vcc_lo, v4
	v_and_b32_e32 v1, v1, v12
	v_and_b32_e32 v12, v2, v4
	v_lshlrev_b32_e32 v4, 24, v8
	v_cmp_gt_i64_e32 vcc, 0, v[3:4]
	v_not_b32_e32 v2, v4
	v_ashrrev_i32_e32 v2, 31, v2
	v_mul_u32_u24_e32 v13, 36, v8
	v_xor_b32_e32 v4, vcc_hi, v2
	v_xor_b32_e32 v8, vcc_lo, v2
	v_and_b32_e32 v2, v1, v4
	v_and_b32_e32 v1, v12, v8
	v_mbcnt_lo_u32_b32 v4, v1, 0
	v_mbcnt_hi_u32_b32 v8, v2, v4
	v_cmp_ne_u64_e32 vcc, 0, v[1:2]
	v_cmp_eq_u32_e64 s[0:1], 0, v8
	s_and_b64 s[2:3], vcc, s[0:1]
	v_add_u32_e32 v13, v18, v13
	s_and_saveexec_b64 s[0:1], s[2:3]
; %bb.98:
	v_bcnt_u32_b32 v1, v1, 0
	v_bcnt_u32_b32 v1, v2, v1
	ds_write_b32 v13, v1 offset:32
; %bb.99:
	s_or_b64 exec, exec, s[0:1]
	v_xor_b32_e32 v11, 0xffffff80, v11
	v_lshrrev_b32_sdwa v1, s48, v11 dst_sel:DWORD dst_unused:UNUSED_PAD src0_sel:DWORD src1_sel:BYTE_0
	v_and_b32_e32 v1, s12, v1
	v_mad_u32_u24 v2, v1, 36, v18
	; wave barrier
	ds_read_b32 v12, v2 offset:32
	v_and_b32_e32 v2, 1, v1
	v_add_co_u32_e32 v4, vcc, -1, v2
	v_addc_co_u32_e64 v14, s[0:1], 0, -1, vcc
	v_cmp_ne_u32_e32 vcc, 0, v2
	v_xor_b32_e32 v4, vcc_lo, v4
	v_xor_b32_e32 v2, vcc_hi, v14
	v_and_b32_e32 v14, exec_lo, v4
	v_lshlrev_b32_e32 v4, 30, v1
	v_cmp_gt_i64_e32 vcc, 0, v[3:4]
	v_not_b32_e32 v4, v4
	v_ashrrev_i32_e32 v4, 31, v4
	v_xor_b32_e32 v19, vcc_hi, v4
	v_xor_b32_e32 v4, vcc_lo, v4
	v_and_b32_e32 v14, v14, v4
	v_lshlrev_b32_e32 v4, 29, v1
	v_cmp_gt_i64_e32 vcc, 0, v[3:4]
	v_not_b32_e32 v4, v4
	v_and_b32_e32 v2, exec_hi, v2
	v_ashrrev_i32_e32 v4, 31, v4
	v_and_b32_e32 v2, v2, v19
	v_xor_b32_e32 v19, vcc_hi, v4
	v_xor_b32_e32 v4, vcc_lo, v4
	v_and_b32_e32 v14, v14, v4
	v_lshlrev_b32_e32 v4, 28, v1
	v_cmp_gt_i64_e32 vcc, 0, v[3:4]
	v_not_b32_e32 v4, v4
	v_ashrrev_i32_e32 v4, 31, v4
	v_and_b32_e32 v2, v2, v19
	v_xor_b32_e32 v19, vcc_hi, v4
	v_xor_b32_e32 v4, vcc_lo, v4
	v_and_b32_e32 v14, v14, v4
	v_lshlrev_b32_e32 v4, 27, v1
	v_cmp_gt_i64_e32 vcc, 0, v[3:4]
	v_not_b32_e32 v4, v4
	;; [unrolled: 8-line block ×4, first 2 shown]
	v_ashrrev_i32_e32 v4, 31, v4
	v_and_b32_e32 v2, v2, v19
	v_xor_b32_e32 v19, vcc_hi, v4
	v_xor_b32_e32 v4, vcc_lo, v4
	v_and_b32_e32 v14, v14, v4
	v_lshlrev_b32_e32 v4, 24, v1
	v_mul_u32_u24_e32 v16, 36, v1
	v_cmp_gt_i64_e32 vcc, 0, v[3:4]
	v_not_b32_e32 v1, v4
	v_ashrrev_i32_e32 v1, 31, v1
	v_xor_b32_e32 v3, vcc_hi, v1
	v_xor_b32_e32 v1, vcc_lo, v1
	v_and_b32_e32 v2, v2, v19
	v_and_b32_e32 v1, v14, v1
	v_and_b32_e32 v2, v2, v3
	v_mbcnt_lo_u32_b32 v3, v1, 0
	v_mbcnt_hi_u32_b32 v14, v2, v3
	v_cmp_ne_u64_e32 vcc, 0, v[1:2]
	v_cmp_eq_u32_e64 s[0:1], 0, v14
	s_and_b64 s[2:3], vcc, s[0:1]
	v_add_u32_e32 v19, v18, v16
	; wave barrier
	s_and_saveexec_b64 s[0:1], s[2:3]
	s_cbranch_execz .LBB48_101
; %bb.100:
	v_bcnt_u32_b32 v1, v1, 0
	v_bcnt_u32_b32 v1, v2, v1
	s_waitcnt lgkmcnt(0)
	v_add_u32_e32 v1, v12, v1
	ds_write_b32 v19, v1 offset:32
.LBB48_101:
	s_or_b64 exec, exec, s[0:1]
	v_xor_b32_e32 v15, 0xffffff80, v15
	v_lshrrev_b32_sdwa v1, s48, v15 dst_sel:DWORD dst_unused:UNUSED_PAD src0_sel:DWORD src1_sel:BYTE_0
	v_and_b32_e32 v3, s12, v1
	v_and_b32_e32 v2, 1, v3
	v_add_co_u32_e32 v20, vcc, -1, v2
	v_addc_co_u32_e64 v22, s[0:1], 0, -1, vcc
	v_cmp_ne_u32_e32 vcc, 0, v2
	v_mad_u32_u24 v1, v3, 36, v18
	v_xor_b32_e32 v2, vcc_hi, v22
	; wave barrier
	ds_read_b32 v16, v1 offset:32
	v_mov_b32_e32 v1, 0
	v_and_b32_e32 v22, exec_hi, v2
	v_lshlrev_b32_e32 v2, 30, v3
	v_xor_b32_e32 v20, vcc_lo, v20
	v_cmp_gt_i64_e32 vcc, 0, v[1:2]
	v_not_b32_e32 v2, v2
	v_ashrrev_i32_e32 v2, 31, v2
	v_and_b32_e32 v20, exec_lo, v20
	v_xor_b32_e32 v24, vcc_hi, v2
	v_xor_b32_e32 v2, vcc_lo, v2
	v_and_b32_e32 v20, v20, v2
	v_lshlrev_b32_e32 v2, 29, v3
	v_cmp_gt_i64_e32 vcc, 0, v[1:2]
	v_not_b32_e32 v2, v2
	v_ashrrev_i32_e32 v2, 31, v2
	v_and_b32_e32 v22, v22, v24
	v_xor_b32_e32 v24, vcc_hi, v2
	v_xor_b32_e32 v2, vcc_lo, v2
	v_and_b32_e32 v20, v20, v2
	v_lshlrev_b32_e32 v2, 28, v3
	v_cmp_gt_i64_e32 vcc, 0, v[1:2]
	v_not_b32_e32 v2, v2
	v_ashrrev_i32_e32 v2, 31, v2
	v_and_b32_e32 v22, v22, v24
	;; [unrolled: 8-line block ×5, first 2 shown]
	v_xor_b32_e32 v24, vcc_hi, v2
	v_xor_b32_e32 v2, vcc_lo, v2
	v_and_b32_e32 v20, v20, v2
	v_lshlrev_b32_e32 v2, 24, v3
	v_cmp_gt_i64_e32 vcc, 0, v[1:2]
	v_not_b32_e32 v2, v2
	v_ashrrev_i32_e32 v2, 31, v2
	v_mul_u32_u24_e32 v4, 36, v3
	v_xor_b32_e32 v3, vcc_hi, v2
	v_xor_b32_e32 v2, vcc_lo, v2
	v_and_b32_e32 v22, v22, v24
	v_and_b32_e32 v2, v20, v2
	v_and_b32_e32 v3, v22, v3
	v_mbcnt_lo_u32_b32 v20, v2, 0
	v_mbcnt_hi_u32_b32 v20, v3, v20
	v_cmp_ne_u64_e32 vcc, 0, v[2:3]
	v_cmp_eq_u32_e64 s[0:1], 0, v20
	s_and_b64 s[2:3], vcc, s[0:1]
	v_add_u32_e32 v24, v18, v4
	; wave barrier
	s_and_saveexec_b64 s[0:1], s[2:3]
	s_cbranch_execz .LBB48_103
; %bb.102:
	v_bcnt_u32_b32 v2, v2, 0
	v_bcnt_u32_b32 v2, v3, v2
	s_waitcnt lgkmcnt(0)
	v_add_u32_e32 v2, v16, v2
	ds_write_b32 v24, v2 offset:32
.LBB48_103:
	s_or_b64 exec, exec, s[0:1]
	v_xor_b32_e32 v21, 0xffffff80, v21
	v_lshrrev_b32_sdwa v2, s48, v21 dst_sel:DWORD dst_unused:UNUSED_PAD src0_sel:DWORD src1_sel:BYTE_0
	v_and_b32_e32 v3, s12, v2
	v_mad_u32_u24 v2, v3, 36, v18
	; wave barrier
	ds_read_b32 v22, v2 offset:32
	v_and_b32_e32 v2, 1, v3
	v_add_co_u32_e32 v25, vcc, -1, v2
	v_addc_co_u32_e64 v26, s[0:1], 0, -1, vcc
	v_cmp_ne_u32_e32 vcc, 0, v2
	v_xor_b32_e32 v2, vcc_hi, v26
	v_and_b32_e32 v26, exec_hi, v2
	v_lshlrev_b32_e32 v2, 30, v3
	v_xor_b32_e32 v25, vcc_lo, v25
	v_cmp_gt_i64_e32 vcc, 0, v[1:2]
	v_not_b32_e32 v2, v2
	v_ashrrev_i32_e32 v2, 31, v2
	v_and_b32_e32 v25, exec_lo, v25
	v_xor_b32_e32 v27, vcc_hi, v2
	v_xor_b32_e32 v2, vcc_lo, v2
	v_and_b32_e32 v25, v25, v2
	v_lshlrev_b32_e32 v2, 29, v3
	v_cmp_gt_i64_e32 vcc, 0, v[1:2]
	v_not_b32_e32 v2, v2
	v_ashrrev_i32_e32 v2, 31, v2
	v_and_b32_e32 v26, v26, v27
	v_xor_b32_e32 v27, vcc_hi, v2
	v_xor_b32_e32 v2, vcc_lo, v2
	v_and_b32_e32 v25, v25, v2
	v_lshlrev_b32_e32 v2, 28, v3
	v_cmp_gt_i64_e32 vcc, 0, v[1:2]
	v_not_b32_e32 v2, v2
	v_ashrrev_i32_e32 v2, 31, v2
	v_and_b32_e32 v26, v26, v27
	;; [unrolled: 8-line block ×5, first 2 shown]
	v_xor_b32_e32 v27, vcc_hi, v2
	v_xor_b32_e32 v2, vcc_lo, v2
	v_and_b32_e32 v25, v25, v2
	v_lshlrev_b32_e32 v2, 24, v3
	v_cmp_gt_i64_e32 vcc, 0, v[1:2]
	v_not_b32_e32 v1, v2
	v_ashrrev_i32_e32 v1, 31, v1
	v_xor_b32_e32 v2, vcc_hi, v1
	v_xor_b32_e32 v1, vcc_lo, v1
	v_and_b32_e32 v26, v26, v27
	v_and_b32_e32 v1, v25, v1
	v_mul_u32_u24_e32 v4, 36, v3
	v_and_b32_e32 v2, v26, v2
	v_mbcnt_lo_u32_b32 v3, v1, 0
	v_mbcnt_hi_u32_b32 v25, v2, v3
	v_cmp_ne_u64_e32 vcc, 0, v[1:2]
	v_cmp_eq_u32_e64 s[0:1], 0, v25
	s_and_b64 s[2:3], vcc, s[0:1]
	v_add_u32_e32 v27, v18, v4
	; wave barrier
	s_and_saveexec_b64 s[0:1], s[2:3]
	s_cbranch_execz .LBB48_105
; %bb.104:
	v_bcnt_u32_b32 v1, v1, 0
	v_bcnt_u32_b32 v1, v2, v1
	s_waitcnt lgkmcnt(0)
	v_add_u32_e32 v1, v22, v1
	ds_write_b32 v27, v1 offset:32
.LBB48_105:
	s_or_b64 exec, exec, s[0:1]
	v_xor_b32_e32 v23, 0xffffff80, v23
	v_lshrrev_b32_sdwa v1, s48, v23 dst_sel:DWORD dst_unused:UNUSED_PAD src0_sel:DWORD src1_sel:BYTE_0
	v_and_b32_e32 v3, s12, v1
	v_and_b32_e32 v2, 1, v3
	v_add_co_u32_e32 v28, vcc, -1, v2
	v_addc_co_u32_e64 v29, s[0:1], 0, -1, vcc
	v_cmp_ne_u32_e32 vcc, 0, v2
	v_mad_u32_u24 v1, v3, 36, v18
	v_xor_b32_e32 v2, vcc_hi, v29
	; wave barrier
	ds_read_b32 v26, v1 offset:32
	v_mov_b32_e32 v1, 0
	v_and_b32_e32 v29, exec_hi, v2
	v_lshlrev_b32_e32 v2, 30, v3
	v_xor_b32_e32 v28, vcc_lo, v28
	v_cmp_gt_i64_e32 vcc, 0, v[1:2]
	v_not_b32_e32 v2, v2
	v_ashrrev_i32_e32 v2, 31, v2
	v_and_b32_e32 v28, exec_lo, v28
	v_xor_b32_e32 v30, vcc_hi, v2
	v_xor_b32_e32 v2, vcc_lo, v2
	v_and_b32_e32 v28, v28, v2
	v_lshlrev_b32_e32 v2, 29, v3
	v_cmp_gt_i64_e32 vcc, 0, v[1:2]
	v_not_b32_e32 v2, v2
	v_ashrrev_i32_e32 v2, 31, v2
	v_and_b32_e32 v29, v29, v30
	v_xor_b32_e32 v30, vcc_hi, v2
	v_xor_b32_e32 v2, vcc_lo, v2
	v_and_b32_e32 v28, v28, v2
	v_lshlrev_b32_e32 v2, 28, v3
	v_cmp_gt_i64_e32 vcc, 0, v[1:2]
	v_not_b32_e32 v2, v2
	v_ashrrev_i32_e32 v2, 31, v2
	v_and_b32_e32 v29, v29, v30
	;; [unrolled: 8-line block ×5, first 2 shown]
	v_xor_b32_e32 v30, vcc_hi, v2
	v_xor_b32_e32 v2, vcc_lo, v2
	v_and_b32_e32 v28, v28, v2
	v_lshlrev_b32_e32 v2, 24, v3
	v_cmp_gt_i64_e32 vcc, 0, v[1:2]
	v_not_b32_e32 v2, v2
	v_ashrrev_i32_e32 v2, 31, v2
	v_mul_u32_u24_e32 v4, 36, v3
	v_xor_b32_e32 v3, vcc_hi, v2
	v_xor_b32_e32 v2, vcc_lo, v2
	v_and_b32_e32 v29, v29, v30
	v_and_b32_e32 v2, v28, v2
	;; [unrolled: 1-line block ×3, first 2 shown]
	v_mbcnt_lo_u32_b32 v28, v2, 0
	v_mbcnt_hi_u32_b32 v28, v3, v28
	v_cmp_ne_u64_e32 vcc, 0, v[2:3]
	v_cmp_eq_u32_e64 s[0:1], 0, v28
	s_and_b64 s[2:3], vcc, s[0:1]
	v_add_u32_e32 v31, v18, v4
	; wave barrier
	s_and_saveexec_b64 s[0:1], s[2:3]
	s_cbranch_execz .LBB48_107
; %bb.106:
	v_bcnt_u32_b32 v2, v2, 0
	v_bcnt_u32_b32 v2, v3, v2
	s_waitcnt lgkmcnt(0)
	v_add_u32_e32 v2, v26, v2
	ds_write_b32 v31, v2 offset:32
.LBB48_107:
	s_or_b64 exec, exec, s[0:1]
	v_xor_b32_e32 v29, 0xffffff80, v17
	v_lshrrev_b32_sdwa v2, s48, v29 dst_sel:DWORD dst_unused:UNUSED_PAD src0_sel:DWORD src1_sel:BYTE_0
	v_and_b32_e32 v3, s12, v2
	v_mad_u32_u24 v2, v3, 36, v18
	; wave barrier
	ds_read_b32 v30, v2 offset:32
	v_and_b32_e32 v2, 1, v3
	v_add_co_u32_e32 v17, vcc, -1, v2
	v_addc_co_u32_e64 v32, s[0:1], 0, -1, vcc
	v_cmp_ne_u32_e32 vcc, 0, v2
	v_xor_b32_e32 v2, vcc_hi, v32
	v_and_b32_e32 v32, exec_hi, v2
	v_lshlrev_b32_e32 v2, 30, v3
	v_xor_b32_e32 v17, vcc_lo, v17
	v_cmp_gt_i64_e32 vcc, 0, v[1:2]
	v_not_b32_e32 v2, v2
	v_ashrrev_i32_e32 v2, 31, v2
	v_and_b32_e32 v17, exec_lo, v17
	v_xor_b32_e32 v33, vcc_hi, v2
	v_xor_b32_e32 v2, vcc_lo, v2
	v_and_b32_e32 v17, v17, v2
	v_lshlrev_b32_e32 v2, 29, v3
	v_cmp_gt_i64_e32 vcc, 0, v[1:2]
	v_not_b32_e32 v2, v2
	v_ashrrev_i32_e32 v2, 31, v2
	v_and_b32_e32 v32, v32, v33
	v_xor_b32_e32 v33, vcc_hi, v2
	v_xor_b32_e32 v2, vcc_lo, v2
	v_and_b32_e32 v17, v17, v2
	v_lshlrev_b32_e32 v2, 28, v3
	v_cmp_gt_i64_e32 vcc, 0, v[1:2]
	v_not_b32_e32 v2, v2
	v_ashrrev_i32_e32 v2, 31, v2
	v_and_b32_e32 v32, v32, v33
	;; [unrolled: 8-line block ×5, first 2 shown]
	v_xor_b32_e32 v33, vcc_hi, v2
	v_xor_b32_e32 v2, vcc_lo, v2
	v_and_b32_e32 v17, v17, v2
	v_lshlrev_b32_e32 v2, 24, v3
	v_cmp_gt_i64_e32 vcc, 0, v[1:2]
	v_not_b32_e32 v1, v2
	v_ashrrev_i32_e32 v1, 31, v1
	v_xor_b32_e32 v2, vcc_hi, v1
	v_xor_b32_e32 v1, vcc_lo, v1
	v_and_b32_e32 v32, v32, v33
	v_and_b32_e32 v1, v17, v1
	v_mul_u32_u24_e32 v4, 36, v3
	v_and_b32_e32 v2, v32, v2
	v_mbcnt_lo_u32_b32 v3, v1, 0
	v_mbcnt_hi_u32_b32 v32, v2, v3
	v_cmp_ne_u64_e32 vcc, 0, v[1:2]
	v_cmp_eq_u32_e64 s[0:1], 0, v32
	s_and_b64 s[2:3], vcc, s[0:1]
	v_add_u32_e32 v17, v18, v4
	; wave barrier
	s_and_saveexec_b64 s[0:1], s[2:3]
	s_cbranch_execz .LBB48_109
; %bb.108:
	v_bcnt_u32_b32 v1, v1, 0
	v_bcnt_u32_b32 v1, v2, v1
	s_waitcnt lgkmcnt(0)
	v_add_u32_e32 v1, v30, v1
	ds_write_b32 v17, v1 offset:32
.LBB48_109:
	s_or_b64 exec, exec, s[0:1]
	; wave barrier
	s_waitcnt lgkmcnt(0)
	s_barrier
	ds_read2_b32 v[3:4], v6 offset0:8 offset1:9
	ds_read2_b32 v[1:2], v6 offset0:10 offset1:11
	ds_read_b32 v18, v6 offset:48
	v_min_u32_e32 v7, 0x1c0, v7
	v_or_b32_e32 v7, 63, v7
	s_waitcnt lgkmcnt(1)
	v_add3_u32 v33, v4, v3, v1
	s_waitcnt lgkmcnt(0)
	v_add3_u32 v18, v33, v2, v18
	v_and_b32_e32 v33, 15, v10
	v_cmp_ne_u32_e32 vcc, 0, v33
	v_mov_b32_dpp v34, v18 row_shr:1 row_mask:0xf bank_mask:0xf
	v_cndmask_b32_e32 v34, 0, v34, vcc
	v_add_u32_e32 v18, v34, v18
	v_cmp_lt_u32_e32 vcc, 1, v33
	s_nop 0
	v_mov_b32_dpp v34, v18 row_shr:2 row_mask:0xf bank_mask:0xf
	v_cndmask_b32_e32 v34, 0, v34, vcc
	v_add_u32_e32 v18, v18, v34
	v_cmp_lt_u32_e32 vcc, 3, v33
	s_nop 0
	;; [unrolled: 5-line block ×3, first 2 shown]
	v_mov_b32_dpp v34, v18 row_shr:8 row_mask:0xf bank_mask:0xf
	v_cndmask_b32_e32 v33, 0, v34, vcc
	v_add_u32_e32 v18, v18, v33
	v_bfe_i32 v34, v10, 4, 1
	v_cmp_lt_u32_e32 vcc, 31, v10
	v_mov_b32_dpp v33, v18 row_bcast:15 row_mask:0xf bank_mask:0xf
	v_and_b32_e32 v33, v34, v33
	v_add_u32_e32 v18, v18, v33
	s_nop 1
	v_mov_b32_dpp v33, v18 row_bcast:31 row_mask:0xf bank_mask:0xf
	v_cndmask_b32_e32 v33, 0, v33, vcc
	v_add_u32_e32 v18, v18, v33
	v_lshrrev_b32_e32 v33, 6, v0
	v_cmp_eq_u32_e32 vcc, v0, v7
	s_and_saveexec_b64 s[0:1], vcc
; %bb.110:
	v_lshlrev_b32_e32 v7, 2, v33
	ds_write_b32 v7, v18
; %bb.111:
	s_or_b64 exec, exec, s[0:1]
	v_cmp_gt_u32_e32 vcc, 8, v0
	s_waitcnt lgkmcnt(0)
	s_barrier
	s_and_saveexec_b64 s[0:1], vcc
	s_cbranch_execz .LBB48_113
; %bb.112:
	v_lshlrev_b32_e32 v7, 2, v0
	ds_read_b32 v34, v7
	v_and_b32_e32 v35, 7, v10
	v_cmp_ne_u32_e32 vcc, 0, v35
	s_waitcnt lgkmcnt(0)
	v_mov_b32_dpp v36, v34 row_shr:1 row_mask:0xf bank_mask:0xf
	v_cndmask_b32_e32 v36, 0, v36, vcc
	v_add_u32_e32 v34, v36, v34
	v_cmp_lt_u32_e32 vcc, 1, v35
	s_nop 0
	v_mov_b32_dpp v36, v34 row_shr:2 row_mask:0xf bank_mask:0xf
	v_cndmask_b32_e32 v36, 0, v36, vcc
	v_add_u32_e32 v34, v34, v36
	v_cmp_lt_u32_e32 vcc, 3, v35
	s_nop 0
	v_mov_b32_dpp v36, v34 row_shr:4 row_mask:0xf bank_mask:0xf
	v_cndmask_b32_e32 v35, 0, v36, vcc
	v_add_u32_e32 v34, v34, v35
	ds_write_b32 v7, v34
.LBB48_113:
	s_or_b64 exec, exec, s[0:1]
	v_cmp_lt_u32_e32 vcc, 63, v0
	v_mov_b32_e32 v7, 0
	s_waitcnt lgkmcnt(0)
	s_barrier
	s_and_saveexec_b64 s[0:1], vcc
; %bb.114:
	v_lshl_add_u32 v7, v33, 2, -4
	ds_read_b32 v7, v7
; %bb.115:
	s_or_b64 exec, exec, s[0:1]
	v_add_u32_e32 v33, -1, v10
	v_and_b32_e32 v34, 64, v10
	v_cmp_lt_i32_e32 vcc, v33, v34
	v_cndmask_b32_e32 v33, v33, v10, vcc
	s_waitcnt lgkmcnt(0)
	v_add_u32_e32 v18, v7, v18
	v_lshlrev_b32_e32 v33, 2, v33
	ds_bpermute_b32 v18, v33, v18
	v_cmp_eq_u32_e32 vcc, 0, v10
	s_movk_i32 s0, 0xff
	s_movk_i32 s2, 0x100
	s_waitcnt lgkmcnt(0)
	v_cndmask_b32_e32 v7, v18, v7, vcc
	v_cmp_ne_u32_e32 vcc, 0, v0
	v_cndmask_b32_e32 v7, 0, v7, vcc
	v_add_u32_e32 v3, v7, v3
	v_add_u32_e32 v4, v3, v4
	v_add_u32_e32 v1, v4, v1
	v_add_u32_e32 v2, v1, v2
	ds_write2_b32 v6, v7, v3 offset0:8 offset1:9
	ds_write2_b32 v6, v4, v1 offset0:10 offset1:11
	ds_write_b32 v6, v2 offset:48
	s_waitcnt lgkmcnt(0)
	s_barrier
	ds_read_b32 v3, v13 offset:32
	ds_read_b32 v4, v19 offset:32
	;; [unrolled: 1-line block ×6, first 2 shown]
	v_mov_b32_e32 v1, 0
	v_cmp_lt_u32_e32 vcc, s0, v0
	v_mov_b32_e32 v2, 0
	v_cmp_gt_u32_e64 s[0:1], s2, v0
                                        ; implicit-def: $vgpr13
	s_and_saveexec_b64 s[4:5], s[0:1]
	s_cbranch_execz .LBB48_119
; %bb.116:
	v_mul_u32_u24_e32 v1, 36, v0
	ds_read_b32 v1, v1 offset:32
	v_add_u32_e32 v13, 1, v0
	v_cmp_ne_u32_e64 s[2:3], s2, v13
	v_mov_b32_e32 v2, 0xc00
	s_and_saveexec_b64 s[8:9], s[2:3]
; %bb.117:
	v_mul_u32_u24_e32 v2, 36, v13
	ds_read_b32 v2, v2 offset:32
; %bb.118:
	s_or_b64 exec, exec, s[8:9]
	s_waitcnt lgkmcnt(0)
	v_sub_u32_e32 v13, v2, v1
	v_mov_b32_e32 v2, 0
.LBB48_119:
	s_or_b64 exec, exec, s[4:5]
	s_waitcnt lgkmcnt(5)
	v_add_u32_e32 v19, v3, v8
	s_waitcnt lgkmcnt(4)
	v_add3_u32 v18, v14, v12, v4
	s_waitcnt lgkmcnt(3)
	v_add3_u32 v17, v20, v16, v6
	;; [unrolled: 2-line block ×5, first 2 shown]
	s_barrier
	ds_write_b8 v19, v5 offset:2048
	ds_write_b8 v18, v11 offset:2048
	;; [unrolled: 1-line block ×6, first 2 shown]
	v_mov_b32_e32 v4, 0
	v_lshlrev_b32_e32 v11, 3, v0
	s_waitcnt lgkmcnt(0)
	s_barrier
	s_and_saveexec_b64 s[2:3], s[0:1]
	s_cbranch_execz .LBB48_129
; %bb.120:
	v_lshl_add_u32 v3, s6, 8, v0
	v_lshlrev_b64 v[5:6], 2, v[3:4]
	v_mov_b32_e32 v15, s35
	v_add_co_u32_e64 v5, s[0:1], s34, v5
	v_addc_co_u32_e64 v6, s[0:1], v15, v6, s[0:1]
	v_or_b32_e32 v3, 2.0, v13
	s_mov_b64 s[4:5], 0
	s_brev_b32 s13, -4
	s_mov_b32 s14, s6
	v_mov_b32_e32 v20, 0
	global_store_dword v[5:6], v3, off
                                        ; implicit-def: $sgpr0_sgpr1
	s_branch .LBB48_123
.LBB48_121:                             ;   in Loop: Header=BB48_123 Depth=1
	s_or_b64 exec, exec, s[10:11]
.LBB48_122:                             ;   in Loop: Header=BB48_123 Depth=1
	s_or_b64 exec, exec, s[8:9]
	v_and_b32_e32 v7, 0x3fffffff, v3
	v_add_u32_e32 v20, v7, v20
	v_cmp_gt_i32_e64 s[0:1], -2.0, v3
	s_and_b64 s[8:9], exec, s[0:1]
	s_or_b64 s[4:5], s[8:9], s[4:5]
	s_andn2_b64 exec, exec, s[4:5]
	s_cbranch_execz .LBB48_128
.LBB48_123:                             ; =>This Loop Header: Depth=1
                                        ;     Child Loop BB48_126 Depth 2
	s_or_b64 s[0:1], s[0:1], exec
	s_cmp_eq_u32 s14, 0
	s_cbranch_scc1 .LBB48_127
; %bb.124:                              ;   in Loop: Header=BB48_123 Depth=1
	s_add_i32 s14, s14, -1
	v_lshl_or_b32 v3, s14, 8, v0
	v_lshlrev_b64 v[7:8], 2, v[3:4]
	v_add_co_u32_e64 v7, s[0:1], s34, v7
	v_addc_co_u32_e64 v8, s[0:1], v15, v8, s[0:1]
	global_load_dword v3, v[7:8], off glc
	s_waitcnt vmcnt(0)
	v_cmp_gt_u32_e64 s[0:1], 2.0, v3
	s_and_saveexec_b64 s[8:9], s[0:1]
	s_cbranch_execz .LBB48_122
; %bb.125:                              ;   in Loop: Header=BB48_123 Depth=1
	s_mov_b64 s[10:11], 0
.LBB48_126:                             ;   Parent Loop BB48_123 Depth=1
                                        ; =>  This Inner Loop Header: Depth=2
	global_load_dword v3, v[7:8], off glc
	s_waitcnt vmcnt(0)
	v_cmp_lt_u32_e64 s[0:1], s13, v3
	s_or_b64 s[10:11], s[0:1], s[10:11]
	s_andn2_b64 exec, exec, s[10:11]
	s_cbranch_execnz .LBB48_126
	s_branch .LBB48_121
.LBB48_127:                             ;   in Loop: Header=BB48_123 Depth=1
                                        ; implicit-def: $sgpr14
	s_and_b64 s[8:9], exec, s[0:1]
	s_or_b64 s[4:5], s[8:9], s[4:5]
	s_andn2_b64 exec, exec, s[4:5]
	s_cbranch_execnz .LBB48_123
.LBB48_128:
	s_or_b64 exec, exec, s[4:5]
	v_add_u32_e32 v3, v20, v13
	v_or_b32_e32 v3, 0x80000000, v3
	global_store_dword v[5:6], v3, off
	global_load_dwordx2 v[3:4], v11, s[44:45]
	v_sub_co_u32_e64 v5, s[0:1], v20, v1
	v_subb_co_u32_e64 v6, s[0:1], 0, v2, s[0:1]
	s_waitcnt vmcnt(0)
	v_add_co_u32_e64 v3, s[0:1], v5, v3
	v_addc_co_u32_e64 v4, s[0:1], v6, v4, s[0:1]
	ds_write_b64 v11, v[3:4]
.LBB48_129:
	s_or_b64 exec, exec, s[2:3]
	s_waitcnt lgkmcnt(0)
	s_barrier
	ds_read_u8 v15, v0 offset:4096
	ds_read_u8 v26, v0 offset:3072
	;; [unrolled: 1-line block ×5, first 2 shown]
	s_waitcnt lgkmcnt(4)
	v_lshrrev_b32_sdwa v3, s48, v15 dst_sel:DWORD dst_unused:UNUSED_PAD src0_sel:DWORD src1_sel:BYTE_0
	v_and_b32_e32 v3, s12, v3
	v_lshlrev_b32_e32 v29, 3, v3
	s_waitcnt lgkmcnt(1)
	v_lshrrev_b32_sdwa v3, s48, v28 dst_sel:DWORD dst_unused:UNUSED_PAD src0_sel:DWORD src1_sel:BYTE_0
	v_and_b32_e32 v3, s12, v3
	v_lshlrev_b32_e32 v30, 3, v3
	ds_read_u8 v31, v0 offset:2560
	ds_read_b64 v[3:4], v29
	ds_read_b64 v[5:6], v30
	s_waitcnt lgkmcnt(3)
	v_lshrrev_b32_sdwa v8, s48, v7 dst_sel:DWORD dst_unused:UNUSED_PAD src0_sel:DWORD src1_sel:BYTE_0
	v_xor_b32_e32 v32, 0x80, v7
	s_waitcnt lgkmcnt(2)
	v_lshrrev_b32_sdwa v7, s48, v31 dst_sel:DWORD dst_unused:UNUSED_PAD src0_sel:DWORD src1_sel:BYTE_0
	v_and_b32_e32 v7, s12, v7
	v_lshlrev_b32_e32 v35, 3, v7
	v_lshrrev_b32_sdwa v7, s48, v26 dst_sel:DWORD dst_unused:UNUSED_PAD src0_sel:DWORD src1_sel:BYTE_0
	v_and_b32_e32 v7, s12, v7
	v_and_b32_e32 v8, s12, v8
	v_lshlrev_b32_e32 v36, 3, v7
	v_lshrrev_b32_sdwa v7, s48, v27 dst_sel:DWORD dst_unused:UNUSED_PAD src0_sel:DWORD src1_sel:BYTE_0
	v_lshlrev_b32_e32 v33, 3, v8
	v_and_b32_e32 v7, s12, v7
	v_lshlrev_b32_e32 v37, 3, v7
	ds_read_b64 v[7:8], v33
	ds_read_b64 v[20:21], v35
	;; [unrolled: 1-line block ×4, first 2 shown]
	v_mov_b32_e32 v34, s39
	s_waitcnt lgkmcnt(3)
	v_add_co_u32_e64 v7, s[0:1], s38, v7
	v_addc_co_u32_e64 v8, s[0:1], v34, v8, s[0:1]
	v_add_co_u32_e64 v7, s[0:1], v7, v0
	v_addc_co_u32_e64 v8, s[0:1], 0, v8, s[0:1]
	global_store_byte v[7:8], v32, off
	v_mov_b32_e32 v7, s39
	s_waitcnt lgkmcnt(2)
	v_add_co_u32_e64 v8, s[0:1], s38, v20
	v_addc_co_u32_e64 v20, s[0:1], v7, v21, s[0:1]
	v_add_co_u32_e64 v7, s[0:1], v8, v0
	v_xor_b32_e32 v31, 0x80, v31
	v_addc_co_u32_e64 v8, s[0:1], 0, v20, s[0:1]
	global_store_byte v[7:8], v31, off offset:512
	v_mov_b32_e32 v7, s39
	s_waitcnt lgkmcnt(1)
	v_add_co_u32_e64 v8, s[0:1], s38, v22
	v_addc_co_u32_e64 v21, s[0:1], v7, v23, s[0:1]
	v_add_co_u32_e64 v7, s[0:1], v8, v0
	v_xor_b32_e32 v20, 0x80, v26
	v_addc_co_u32_e64 v8, s[0:1], 0, v21, s[0:1]
	global_store_byte v[7:8], v20, off offset:1024
	;; [unrolled: 8-line block ×3, first 2 shown]
	v_mov_b32_e32 v8, s39
	v_add_co_u32_e64 v3, s[0:1], s38, v3
	v_addc_co_u32_e64 v4, s[0:1], v8, v4, s[0:1]
	v_add_co_u32_e64 v3, s[0:1], v3, v0
	v_xor_b32_e32 v7, 0x80, v15
	v_addc_co_u32_e64 v4, s[0:1], 0, v4, s[0:1]
	global_store_byte v[3:4], v7, off offset:2048
	v_mov_b32_e32 v3, s39
	v_add_co_u32_e64 v4, s[0:1], s38, v5
	v_addc_co_u32_e64 v5, s[0:1], v3, v6, s[0:1]
	v_add_co_u32_e64 v3, s[0:1], v4, v0
	v_addc_co_u32_e64 v4, s[0:1], 0, v5, s[0:1]
	s_lshl_b64 s[0:1], s[30:31], 3
	v_xor_b32_e32 v7, 0x80, v28
	s_add_u32 s0, s40, s0
	global_store_byte v[3:4], v7, off offset:2560
	s_addc_u32 s1, s41, s1
	v_lshlrev_b32_e32 v3, 3, v10
	v_mov_b32_e32 v4, s1
	v_add_co_u32_e64 v3, s[0:1], s0, v3
	v_addc_co_u32_e64 v4, s[0:1], 0, v4, s[0:1]
	v_lshlrev_b32_e32 v5, 3, v9
	v_add_co_u32_e64 v3, s[0:1], v3, v5
	v_addc_co_u32_e64 v4, s[0:1], 0, v4, s[0:1]
	global_load_dwordx2 v[5:6], v[3:4], off
	global_load_dwordx2 v[7:8], v[3:4], off offset:512
	global_load_dwordx2 v[9:10], v[3:4], off offset:1024
	global_load_dwordx2 v[20:21], v[3:4], off offset:1536
	global_load_dwordx2 v[22:23], v[3:4], off offset:2048
	global_load_dwordx2 v[24:25], v[3:4], off offset:2560
	v_lshlrev_b32_e32 v3, 3, v19
	s_waitcnt vmcnt(0)
	s_barrier
	v_mad_u32_u24 v0, v0, 7, v0
	s_add_i32 s7, s7, -1
	s_cmp_eq_u32 s6, s7
	ds_write_b64 v3, v[5:6] offset:2048
	v_lshlrev_b32_e32 v3, 3, v18
	ds_write_b64 v3, v[7:8] offset:2048
	v_lshlrev_b32_e32 v3, 3, v17
	;; [unrolled: 2-line block ×5, first 2 shown]
	ds_write_b64 v3, v[24:25] offset:2048
	s_waitcnt lgkmcnt(0)
	s_barrier
	ds_read_b64 v[7:8], v33
	ds_read2st64_b64 v[3:6], v0 offset0:4 offset1:12
	ds_read_b64 v[9:10], v35
	ds_read_b64 v[14:15], v36
	;; [unrolled: 1-line block ×3, first 2 shown]
	s_waitcnt lgkmcnt(4)
	v_lshlrev_b64 v[7:8], 3, v[7:8]
	v_mov_b32_e32 v12, s43
	v_add_co_u32_e64 v7, s[0:1], s42, v7
	v_addc_co_u32_e64 v8, s[0:1], v12, v8, s[0:1]
	v_add_co_u32_e64 v7, s[0:1], v7, v11
	v_addc_co_u32_e64 v8, s[0:1], 0, v8, s[0:1]
	s_waitcnt lgkmcnt(3)
	global_store_dwordx2 v[7:8], v[3:4], off
	s_waitcnt lgkmcnt(2)
	v_lshlrev_b64 v[3:4], 3, v[9:10]
	v_mov_b32_e32 v7, s43
	v_add_co_u32_e64 v3, s[0:1], s42, v3
	v_addc_co_u32_e64 v4, s[0:1], v7, v4, s[0:1]
	v_or_b32_e32 v7, 0x1000, v11
	v_add_co_u32_e64 v3, s[0:1], v3, v7
	v_addc_co_u32_e64 v4, s[0:1], 0, v4, s[0:1]
	s_waitcnt lgkmcnt(1)
	v_lshlrev_b64 v[7:8], 3, v[14:15]
	global_store_dwordx2 v[3:4], v[5:6], off
	ds_read2st64_b64 v[3:6], v0 offset0:20 offset1:28
	v_mov_b32_e32 v9, s43
	v_add_co_u32_e64 v7, s[0:1], s42, v7
	v_addc_co_u32_e64 v8, s[0:1], v9, v8, s[0:1]
	v_or_b32_e32 v9, 0x2000, v11
	v_add_co_u32_e64 v7, s[0:1], v7, v9
	v_addc_co_u32_e64 v8, s[0:1], 0, v8, s[0:1]
	s_waitcnt lgkmcnt(0)
	global_store_dwordx2 v[7:8], v[3:4], off
	v_lshlrev_b64 v[3:4], 3, v[16:17]
	v_mov_b32_e32 v7, s43
	v_add_co_u32_e64 v3, s[0:1], s42, v3
	v_addc_co_u32_e64 v4, s[0:1], v7, v4, s[0:1]
	ds_read_b64 v[7:8], v29
	v_or_b32_e32 v9, 0x3000, v11
	v_add_co_u32_e64 v3, s[0:1], v3, v9
	v_addc_co_u32_e64 v4, s[0:1], 0, v4, s[0:1]
	global_store_dwordx2 v[3:4], v[5:6], off
	s_waitcnt lgkmcnt(0)
	v_lshlrev_b64 v[7:8], 3, v[7:8]
	ds_read2st64_b64 v[3:6], v0 offset0:36 offset1:44
	ds_read_b64 v[9:10], v30
	v_mov_b32_e32 v0, s43
	v_add_co_u32_e64 v7, s[0:1], s42, v7
	v_addc_co_u32_e64 v0, s[0:1], v0, v8, s[0:1]
	v_or_b32_e32 v8, 0x4000, v11
	v_add_co_u32_e64 v7, s[0:1], v7, v8
	v_addc_co_u32_e64 v8, s[0:1], 0, v0, s[0:1]
	s_waitcnt lgkmcnt(1)
	global_store_dwordx2 v[7:8], v[3:4], off
	s_waitcnt lgkmcnt(0)
	v_lshlrev_b64 v[3:4], 3, v[9:10]
	v_mov_b32_e32 v0, s43
	v_add_co_u32_e64 v3, s[0:1], s42, v3
	v_addc_co_u32_e64 v0, s[0:1], v0, v4, s[0:1]
	v_or_b32_e32 v4, 0x5000, v11
	v_add_co_u32_e64 v3, s[0:1], v3, v4
	v_addc_co_u32_e64 v4, s[0:1], 0, v0, s[0:1]
	s_cselect_b64 s[0:1], -1, 0
	s_xor_b64 s[2:3], vcc, -1
	s_and_b64 s[0:1], s[2:3], s[0:1]
	global_store_dwordx2 v[3:4], v[5:6], off
	s_and_saveexec_b64 s[2:3], s[0:1]
	s_cbranch_execz .LBB48_131
; %bb.130:
	ds_read_b64 v[3:4], v11
	v_add_co_u32_e32 v0, vcc, v1, v13
	v_addc_co_u32_e32 v1, vcc, 0, v2, vcc
	s_waitcnt lgkmcnt(0)
	v_add_co_u32_e32 v0, vcc, v0, v3
	v_addc_co_u32_e32 v1, vcc, v1, v4, vcc
	global_store_dwordx2 v11, v[0:1], s[46:47]
.LBB48_131:
	s_endpgm
	.section	.rodata,"a",@progbits
	.p2align	6, 0x0
	.amdhsa_kernel _ZN7rocprim17ROCPRIM_304000_NS6detail25onesweep_iteration_kernelINS1_34wrapped_radix_sort_onesweep_configINS0_14default_configEaN2at4cuda3cub6detail10OpaqueTypeILi8EEEEELb0EPKaPaPKSA_PSA_mNS0_19identity_decomposerEEEvT1_T2_T3_T4_jPT5_SO_PNS1_23onesweep_lookback_stateET6_jjj
		.amdhsa_group_segment_fixed_size 26624
		.amdhsa_private_segment_fixed_size 0
		.amdhsa_kernarg_size 336
		.amdhsa_user_sgpr_count 6
		.amdhsa_user_sgpr_private_segment_buffer 1
		.amdhsa_user_sgpr_dispatch_ptr 0
		.amdhsa_user_sgpr_queue_ptr 0
		.amdhsa_user_sgpr_kernarg_segment_ptr 1
		.amdhsa_user_sgpr_dispatch_id 0
		.amdhsa_user_sgpr_flat_scratch_init 0
		.amdhsa_user_sgpr_private_segment_size 0
		.amdhsa_uses_dynamic_stack 0
		.amdhsa_system_sgpr_private_segment_wavefront_offset 0
		.amdhsa_system_sgpr_workgroup_id_x 1
		.amdhsa_system_sgpr_workgroup_id_y 0
		.amdhsa_system_sgpr_workgroup_id_z 0
		.amdhsa_system_sgpr_workgroup_info 0
		.amdhsa_system_vgpr_workitem_id 2
		.amdhsa_next_free_vgpr 49
		.amdhsa_next_free_sgpr 98
		.amdhsa_reserve_vcc 1
		.amdhsa_reserve_flat_scratch 0
		.amdhsa_float_round_mode_32 0
		.amdhsa_float_round_mode_16_64 0
		.amdhsa_float_denorm_mode_32 3
		.amdhsa_float_denorm_mode_16_64 3
		.amdhsa_dx10_clamp 1
		.amdhsa_ieee_mode 1
		.amdhsa_fp16_overflow 0
		.amdhsa_exception_fp_ieee_invalid_op 0
		.amdhsa_exception_fp_denorm_src 0
		.amdhsa_exception_fp_ieee_div_zero 0
		.amdhsa_exception_fp_ieee_overflow 0
		.amdhsa_exception_fp_ieee_underflow 0
		.amdhsa_exception_fp_ieee_inexact 0
		.amdhsa_exception_int_div_zero 0
	.end_amdhsa_kernel
	.section	.text._ZN7rocprim17ROCPRIM_304000_NS6detail25onesweep_iteration_kernelINS1_34wrapped_radix_sort_onesweep_configINS0_14default_configEaN2at4cuda3cub6detail10OpaqueTypeILi8EEEEELb0EPKaPaPKSA_PSA_mNS0_19identity_decomposerEEEvT1_T2_T3_T4_jPT5_SO_PNS1_23onesweep_lookback_stateET6_jjj,"axG",@progbits,_ZN7rocprim17ROCPRIM_304000_NS6detail25onesweep_iteration_kernelINS1_34wrapped_radix_sort_onesweep_configINS0_14default_configEaN2at4cuda3cub6detail10OpaqueTypeILi8EEEEELb0EPKaPaPKSA_PSA_mNS0_19identity_decomposerEEEvT1_T2_T3_T4_jPT5_SO_PNS1_23onesweep_lookback_stateET6_jjj,comdat
.Lfunc_end48:
	.size	_ZN7rocprim17ROCPRIM_304000_NS6detail25onesweep_iteration_kernelINS1_34wrapped_radix_sort_onesweep_configINS0_14default_configEaN2at4cuda3cub6detail10OpaqueTypeILi8EEEEELb0EPKaPaPKSA_PSA_mNS0_19identity_decomposerEEEvT1_T2_T3_T4_jPT5_SO_PNS1_23onesweep_lookback_stateET6_jjj, .Lfunc_end48-_ZN7rocprim17ROCPRIM_304000_NS6detail25onesweep_iteration_kernelINS1_34wrapped_radix_sort_onesweep_configINS0_14default_configEaN2at4cuda3cub6detail10OpaqueTypeILi8EEEEELb0EPKaPaPKSA_PSA_mNS0_19identity_decomposerEEEvT1_T2_T3_T4_jPT5_SO_PNS1_23onesweep_lookback_stateET6_jjj
                                        ; -- End function
	.set _ZN7rocprim17ROCPRIM_304000_NS6detail25onesweep_iteration_kernelINS1_34wrapped_radix_sort_onesweep_configINS0_14default_configEaN2at4cuda3cub6detail10OpaqueTypeILi8EEEEELb0EPKaPaPKSA_PSA_mNS0_19identity_decomposerEEEvT1_T2_T3_T4_jPT5_SO_PNS1_23onesweep_lookback_stateET6_jjj.num_vgpr, 40
	.set _ZN7rocprim17ROCPRIM_304000_NS6detail25onesweep_iteration_kernelINS1_34wrapped_radix_sort_onesweep_configINS0_14default_configEaN2at4cuda3cub6detail10OpaqueTypeILi8EEEEELb0EPKaPaPKSA_PSA_mNS0_19identity_decomposerEEEvT1_T2_T3_T4_jPT5_SO_PNS1_23onesweep_lookback_stateET6_jjj.num_agpr, 0
	.set _ZN7rocprim17ROCPRIM_304000_NS6detail25onesweep_iteration_kernelINS1_34wrapped_radix_sort_onesweep_configINS0_14default_configEaN2at4cuda3cub6detail10OpaqueTypeILi8EEEEELb0EPKaPaPKSA_PSA_mNS0_19identity_decomposerEEEvT1_T2_T3_T4_jPT5_SO_PNS1_23onesweep_lookback_stateET6_jjj.numbered_sgpr, 53
	.set _ZN7rocprim17ROCPRIM_304000_NS6detail25onesweep_iteration_kernelINS1_34wrapped_radix_sort_onesweep_configINS0_14default_configEaN2at4cuda3cub6detail10OpaqueTypeILi8EEEEELb0EPKaPaPKSA_PSA_mNS0_19identity_decomposerEEEvT1_T2_T3_T4_jPT5_SO_PNS1_23onesweep_lookback_stateET6_jjj.num_named_barrier, 0
	.set _ZN7rocprim17ROCPRIM_304000_NS6detail25onesweep_iteration_kernelINS1_34wrapped_radix_sort_onesweep_configINS0_14default_configEaN2at4cuda3cub6detail10OpaqueTypeILi8EEEEELb0EPKaPaPKSA_PSA_mNS0_19identity_decomposerEEEvT1_T2_T3_T4_jPT5_SO_PNS1_23onesweep_lookback_stateET6_jjj.private_seg_size, 0
	.set _ZN7rocprim17ROCPRIM_304000_NS6detail25onesweep_iteration_kernelINS1_34wrapped_radix_sort_onesweep_configINS0_14default_configEaN2at4cuda3cub6detail10OpaqueTypeILi8EEEEELb0EPKaPaPKSA_PSA_mNS0_19identity_decomposerEEEvT1_T2_T3_T4_jPT5_SO_PNS1_23onesweep_lookback_stateET6_jjj.uses_vcc, 1
	.set _ZN7rocprim17ROCPRIM_304000_NS6detail25onesweep_iteration_kernelINS1_34wrapped_radix_sort_onesweep_configINS0_14default_configEaN2at4cuda3cub6detail10OpaqueTypeILi8EEEEELb0EPKaPaPKSA_PSA_mNS0_19identity_decomposerEEEvT1_T2_T3_T4_jPT5_SO_PNS1_23onesweep_lookback_stateET6_jjj.uses_flat_scratch, 0
	.set _ZN7rocprim17ROCPRIM_304000_NS6detail25onesweep_iteration_kernelINS1_34wrapped_radix_sort_onesweep_configINS0_14default_configEaN2at4cuda3cub6detail10OpaqueTypeILi8EEEEELb0EPKaPaPKSA_PSA_mNS0_19identity_decomposerEEEvT1_T2_T3_T4_jPT5_SO_PNS1_23onesweep_lookback_stateET6_jjj.has_dyn_sized_stack, 0
	.set _ZN7rocprim17ROCPRIM_304000_NS6detail25onesweep_iteration_kernelINS1_34wrapped_radix_sort_onesweep_configINS0_14default_configEaN2at4cuda3cub6detail10OpaqueTypeILi8EEEEELb0EPKaPaPKSA_PSA_mNS0_19identity_decomposerEEEvT1_T2_T3_T4_jPT5_SO_PNS1_23onesweep_lookback_stateET6_jjj.has_recursion, 0
	.set _ZN7rocprim17ROCPRIM_304000_NS6detail25onesweep_iteration_kernelINS1_34wrapped_radix_sort_onesweep_configINS0_14default_configEaN2at4cuda3cub6detail10OpaqueTypeILi8EEEEELb0EPKaPaPKSA_PSA_mNS0_19identity_decomposerEEEvT1_T2_T3_T4_jPT5_SO_PNS1_23onesweep_lookback_stateET6_jjj.has_indirect_call, 0
	.section	.AMDGPU.csdata,"",@progbits
; Kernel info:
; codeLenInByte = 11084
; TotalNumSgprs: 57
; NumVgprs: 40
; ScratchSize: 0
; MemoryBound: 0
; FloatMode: 240
; IeeeMode: 1
; LDSByteSize: 26624 bytes/workgroup (compile time only)
; SGPRBlocks: 12
; VGPRBlocks: 12
; NumSGPRsForWavesPerEU: 102
; NumVGPRsForWavesPerEU: 49
; Occupancy: 4
; WaveLimiterHint : 1
; COMPUTE_PGM_RSRC2:SCRATCH_EN: 0
; COMPUTE_PGM_RSRC2:USER_SGPR: 6
; COMPUTE_PGM_RSRC2:TRAP_HANDLER: 0
; COMPUTE_PGM_RSRC2:TGID_X_EN: 1
; COMPUTE_PGM_RSRC2:TGID_Y_EN: 0
; COMPUTE_PGM_RSRC2:TGID_Z_EN: 0
; COMPUTE_PGM_RSRC2:TIDIG_COMP_CNT: 2
	.section	.text._ZN7rocprim17ROCPRIM_304000_NS6detail25onesweep_iteration_kernelINS1_34wrapped_radix_sort_onesweep_configINS0_14default_configEaN2at4cuda3cub6detail10OpaqueTypeILi8EEEEELb0EPaSC_PSA_SD_mNS0_19identity_decomposerEEEvT1_T2_T3_T4_jPT5_SK_PNS1_23onesweep_lookback_stateET6_jjj,"axG",@progbits,_ZN7rocprim17ROCPRIM_304000_NS6detail25onesweep_iteration_kernelINS1_34wrapped_radix_sort_onesweep_configINS0_14default_configEaN2at4cuda3cub6detail10OpaqueTypeILi8EEEEELb0EPaSC_PSA_SD_mNS0_19identity_decomposerEEEvT1_T2_T3_T4_jPT5_SK_PNS1_23onesweep_lookback_stateET6_jjj,comdat
	.protected	_ZN7rocprim17ROCPRIM_304000_NS6detail25onesweep_iteration_kernelINS1_34wrapped_radix_sort_onesweep_configINS0_14default_configEaN2at4cuda3cub6detail10OpaqueTypeILi8EEEEELb0EPaSC_PSA_SD_mNS0_19identity_decomposerEEEvT1_T2_T3_T4_jPT5_SK_PNS1_23onesweep_lookback_stateET6_jjj ; -- Begin function _ZN7rocprim17ROCPRIM_304000_NS6detail25onesweep_iteration_kernelINS1_34wrapped_radix_sort_onesweep_configINS0_14default_configEaN2at4cuda3cub6detail10OpaqueTypeILi8EEEEELb0EPaSC_PSA_SD_mNS0_19identity_decomposerEEEvT1_T2_T3_T4_jPT5_SK_PNS1_23onesweep_lookback_stateET6_jjj
	.globl	_ZN7rocprim17ROCPRIM_304000_NS6detail25onesweep_iteration_kernelINS1_34wrapped_radix_sort_onesweep_configINS0_14default_configEaN2at4cuda3cub6detail10OpaqueTypeILi8EEEEELb0EPaSC_PSA_SD_mNS0_19identity_decomposerEEEvT1_T2_T3_T4_jPT5_SK_PNS1_23onesweep_lookback_stateET6_jjj
	.p2align	8
	.type	_ZN7rocprim17ROCPRIM_304000_NS6detail25onesweep_iteration_kernelINS1_34wrapped_radix_sort_onesweep_configINS0_14default_configEaN2at4cuda3cub6detail10OpaqueTypeILi8EEEEELb0EPaSC_PSA_SD_mNS0_19identity_decomposerEEEvT1_T2_T3_T4_jPT5_SK_PNS1_23onesweep_lookback_stateET6_jjj,@function
_ZN7rocprim17ROCPRIM_304000_NS6detail25onesweep_iteration_kernelINS1_34wrapped_radix_sort_onesweep_configINS0_14default_configEaN2at4cuda3cub6detail10OpaqueTypeILi8EEEEELb0EPaSC_PSA_SD_mNS0_19identity_decomposerEEEvT1_T2_T3_T4_jPT5_SK_PNS1_23onesweep_lookback_stateET6_jjj: ; @_ZN7rocprim17ROCPRIM_304000_NS6detail25onesweep_iteration_kernelINS1_34wrapped_radix_sort_onesweep_configINS0_14default_configEaN2at4cuda3cub6detail10OpaqueTypeILi8EEEEELb0EPaSC_PSA_SD_mNS0_19identity_decomposerEEEvT1_T2_T3_T4_jPT5_SK_PNS1_23onesweep_lookback_stateET6_jjj
; %bb.0:
	s_load_dwordx4 s[48:51], s[4:5], 0x44
	s_load_dwordx8 s[36:43], s[4:5], 0x0
	s_load_dwordx4 s[44:47], s[4:5], 0x28
	s_load_dwordx2 s[34:35], s[4:5], 0x38
	s_mov_b64 s[0:1], -1
	s_waitcnt lgkmcnt(0)
	s_cmp_ge_u32 s6, s50
	s_mul_i32 s30, s6, 0xc00
	v_mbcnt_lo_u32_b32 v19, -1, 0
	s_cbranch_scc0 .LBB49_96
; %bb.1:
	s_load_dword s0, s[4:5], 0x20
	s_mul_i32 s33, s50, 0xfffff400
	v_mbcnt_hi_u32_b32 v12, -1, v19
	v_and_b32_e32 v7, 0x1c0, v0
	v_mul_u32_u24_e32 v11, 6, v7
	s_waitcnt lgkmcnt(0)
	s_add_i32 s33, s33, s0
	s_add_u32 s0, s36, s30
	s_addc_u32 s1, s37, 0
	v_mov_b32_e32 v3, s1
	v_add_co_u32_e32 v4, vcc, s0, v12
	v_addc_co_u32_e32 v5, vcc, 0, v3, vcc
	v_add_co_u32_e32 v3, vcc, v4, v11
	v_addc_co_u32_e32 v4, vcc, 0, v5, vcc
	v_or_b32_e32 v8, v12, v11
	s_mov_b32 s31, 0
	v_cmp_gt_u32_e32 vcc, s33, v8
	v_mov_b32_e32 v6, 0x7f
	v_mov_b32_e32 v5, 0x7f
	v_mov_b32_e32 v13, 0x7f
	v_mov_b32_e32 v18, 0x7f
	v_mov_b32_e32 v20, 0x7f
	v_mov_b32_e32 v14, 0x7f
	s_and_saveexec_b64 s[0:1], vcc
	s_cbranch_execz .LBB49_3
; %bb.2:
	global_load_ubyte v5, v[3:4], off
	v_mov_b32_e32 v6, 0x7f
	v_mov_b32_e32 v13, 0x7f
	;; [unrolled: 1-line block ×5, first 2 shown]
.LBB49_3:
	s_or_b64 exec, exec, s[0:1]
	v_add_u32_e32 v9, 64, v8
	v_cmp_gt_u32_e64 s[0:1], s33, v9
	s_and_saveexec_b64 s[2:3], s[0:1]
	s_cbranch_execz .LBB49_5
; %bb.4:
	global_load_ubyte v13, v[3:4], off offset:64
.LBB49_5:
	s_or_b64 exec, exec, s[2:3]
	v_add_u32_e32 v9, 0x80, v8
	v_cmp_gt_u32_e64 s[2:3], s33, v9
	s_and_saveexec_b64 s[8:9], s[2:3]
	s_cbranch_execz .LBB49_7
; %bb.6:
	global_load_ubyte v18, v[3:4], off offset:128
.LBB49_7:
	;; [unrolled: 8-line block ×5, first 2 shown]
	s_or_b64 exec, exec, s[12:13]
	s_load_dword s12, s[4:5], 0x5c
	s_load_dword s7, s[4:5], 0x50
	s_add_u32 s13, s4, 0x50
	s_addc_u32 s14, s5, 0
	v_mov_b32_e32 v3, 0
	s_waitcnt lgkmcnt(0)
	s_lshr_b32 s15, s12, 16
	s_cmp_lt_u32 s6, s7
	s_cselect_b32 s12, 12, 18
	s_add_u32 s12, s13, s12
	s_addc_u32 s13, s14, 0
	global_load_ushort v10, v3, s[12:13]
	s_waitcnt vmcnt(1)
	v_xor_b32_e32 v8, 0xffffff80, v5
	s_lshl_b32 s12, -1, s49
	v_lshrrev_b32_sdwa v4, s48, v8 dst_sel:DWORD dst_unused:UNUSED_PAD src0_sel:DWORD src1_sel:BYTE_0
	s_not_b32 s52, s12
	v_and_b32_e32 v15, s52, v4
	v_and_b32_e32 v16, 1, v15
	v_add_co_u32_e64 v21, s[12:13], -1, v16
	v_lshlrev_b32_e32 v4, 30, v15
	v_addc_co_u32_e64 v22, s[12:13], 0, -1, s[12:13]
	v_mad_u32_u24 v5, v2, s15, v1
	v_cmp_ne_u32_e64 s[12:13], 0, v16
	v_cmp_gt_i64_e64 s[14:15], 0, v[3:4]
	v_not_b32_e32 v16, v4
	v_lshlrev_b32_e32 v4, 29, v15
	v_xor_b32_e32 v22, s13, v22
	v_xor_b32_e32 v21, s12, v21
	v_ashrrev_i32_e32 v16, 31, v16
	v_cmp_gt_i64_e64 s[12:13], 0, v[3:4]
	v_not_b32_e32 v23, v4
	v_lshlrev_b32_e32 v4, 28, v15
	v_and_b32_e32 v22, exec_hi, v22
	v_and_b32_e32 v21, exec_lo, v21
	v_xor_b32_e32 v24, s15, v16
	v_xor_b32_e32 v16, s14, v16
	v_ashrrev_i32_e32 v23, 31, v23
	v_cmp_gt_i64_e64 s[14:15], 0, v[3:4]
	v_not_b32_e32 v25, v4
	v_lshlrev_b32_e32 v4, 27, v15
	v_and_b32_e32 v22, v22, v24
	v_and_b32_e32 v16, v21, v16
	v_xor_b32_e32 v21, s13, v23
	v_xor_b32_e32 v23, s12, v23
	v_ashrrev_i32_e32 v24, 31, v25
	v_cmp_gt_i64_e64 s[12:13], 0, v[3:4]
	v_not_b32_e32 v25, v4
	v_lshlrev_b32_e32 v4, 26, v15
	v_and_b32_e32 v21, v22, v21
	v_and_b32_e32 v16, v16, v23
	;; [unrolled: 8-line block ×3, first 2 shown]
	v_xor_b32_e32 v22, s13, v24
	v_xor_b32_e32 v23, s12, v24
	v_ashrrev_i32_e32 v24, 31, v25
	v_cmp_gt_i64_e64 s[12:13], 0, v[3:4]
	v_not_b32_e32 v25, v4
	v_mul_u32_u24_e32 v17, 36, v15
	v_lshlrev_b32_e32 v4, 24, v15
	v_and_b32_e32 v15, v21, v22
	v_and_b32_e32 v16, v16, v23
	v_xor_b32_e32 v21, s15, v24
	v_xor_b32_e32 v22, s14, v24
	v_ashrrev_i32_e32 v23, 31, v25
	v_and_b32_e32 v15, v15, v21
	v_and_b32_e32 v16, v16, v22
	v_xor_b32_e32 v21, s13, v23
	v_xor_b32_e32 v22, s12, v23
	v_and_b32_e32 v21, v15, v21
	v_and_b32_e32 v22, v16, v22
	v_cmp_gt_i64_e64 s[14:15], 0, v[3:4]
	v_not_b32_e32 v4, v4
	v_ashrrev_i32_e32 v4, 31, v4
	v_xor_b32_e32 v23, s15, v4
	v_xor_b32_e32 v4, s14, v4
	v_and_b32_e32 v4, v22, v4
	v_mul_u32_u24_e32 v9, 20, v0
	ds_write2_b32 v9, v3, v3 offset0:8 offset1:9
	ds_write2_b32 v9, v3, v3 offset0:10 offset1:11
	ds_write_b32 v9, v3 offset:48
	s_waitcnt vmcnt(0) lgkmcnt(0)
	s_barrier
	; wave barrier
	v_mad_u64_u32 v[15:16], s[12:13], v5, v10, v[0:1]
	v_and_b32_e32 v5, v21, v23
	v_cmp_ne_u64_e64 s[12:13], 0, v[4:5]
	v_lshrrev_b32_e32 v10, 4, v15
	v_and_b32_e32 v23, 0xffffffc, v10
	v_mbcnt_lo_u32_b32 v10, v4, 0
	v_mbcnt_hi_u32_b32 v10, v5, v10
	v_cmp_eq_u32_e64 s[14:15], 0, v10
	s_and_b64 s[14:15], s[12:13], s[14:15]
	v_add_u32_e32 v16, v23, v17
	s_and_saveexec_b64 s[12:13], s[14:15]
; %bb.14:
	v_bcnt_u32_b32 v4, v4, 0
	v_bcnt_u32_b32 v4, v5, v4
	ds_write_b32 v16, v4 offset:32
; %bb.15:
	s_or_b64 exec, exec, s[12:13]
	v_xor_b32_e32 v13, 0xffffff80, v13
	v_lshrrev_b32_sdwa v4, s48, v13 dst_sel:DWORD dst_unused:UNUSED_PAD src0_sel:DWORD src1_sel:BYTE_0
	v_and_b32_e32 v5, s52, v4
	v_mad_u32_u24 v4, v5, 36, v23
	; wave barrier
	ds_read_b32 v15, v4 offset:32
	v_and_b32_e32 v4, 1, v5
	v_add_co_u32_e64 v17, s[12:13], -1, v4
	v_addc_co_u32_e64 v22, s[12:13], 0, -1, s[12:13]
	v_cmp_ne_u32_e64 s[12:13], 0, v4
	v_xor_b32_e32 v4, s13, v22
	v_and_b32_e32 v22, exec_hi, v4
	v_lshlrev_b32_e32 v4, 30, v5
	v_xor_b32_e32 v17, s12, v17
	v_cmp_gt_i64_e64 s[12:13], 0, v[3:4]
	v_not_b32_e32 v4, v4
	v_ashrrev_i32_e32 v4, 31, v4
	v_and_b32_e32 v17, exec_lo, v17
	v_xor_b32_e32 v24, s13, v4
	v_xor_b32_e32 v4, s12, v4
	v_and_b32_e32 v17, v17, v4
	v_lshlrev_b32_e32 v4, 29, v5
	v_cmp_gt_i64_e64 s[12:13], 0, v[3:4]
	v_not_b32_e32 v4, v4
	v_ashrrev_i32_e32 v4, 31, v4
	v_and_b32_e32 v22, v22, v24
	v_xor_b32_e32 v24, s13, v4
	v_xor_b32_e32 v4, s12, v4
	v_and_b32_e32 v17, v17, v4
	v_lshlrev_b32_e32 v4, 28, v5
	v_cmp_gt_i64_e64 s[12:13], 0, v[3:4]
	v_not_b32_e32 v4, v4
	v_ashrrev_i32_e32 v4, 31, v4
	v_and_b32_e32 v22, v22, v24
	;; [unrolled: 8-line block ×5, first 2 shown]
	v_xor_b32_e32 v24, s13, v4
	v_xor_b32_e32 v4, s12, v4
	v_and_b32_e32 v17, v17, v4
	v_lshlrev_b32_e32 v4, 24, v5
	v_cmp_gt_i64_e64 s[12:13], 0, v[3:4]
	v_not_b32_e32 v3, v4
	v_ashrrev_i32_e32 v3, 31, v3
	v_xor_b32_e32 v4, s13, v3
	v_xor_b32_e32 v3, s12, v3
	v_and_b32_e32 v22, v22, v24
	v_and_b32_e32 v3, v17, v3
	v_mul_u32_u24_e32 v21, 36, v5
	v_and_b32_e32 v4, v22, v4
	v_mbcnt_lo_u32_b32 v5, v3, 0
	v_mbcnt_hi_u32_b32 v17, v4, v5
	v_cmp_ne_u64_e64 s[12:13], 0, v[3:4]
	v_cmp_eq_u32_e64 s[14:15], 0, v17
	s_and_b64 s[14:15], s[12:13], s[14:15]
	v_add_u32_e32 v22, v23, v21
	; wave barrier
	s_and_saveexec_b64 s[12:13], s[14:15]
	s_cbranch_execz .LBB49_17
; %bb.16:
	v_bcnt_u32_b32 v3, v3, 0
	v_bcnt_u32_b32 v3, v4, v3
	s_waitcnt lgkmcnt(0)
	v_add_u32_e32 v3, v15, v3
	ds_write_b32 v22, v3 offset:32
.LBB49_17:
	s_or_b64 exec, exec, s[12:13]
	v_xor_b32_e32 v18, 0xffffff80, v18
	v_lshrrev_b32_sdwa v3, s48, v18 dst_sel:DWORD dst_unused:UNUSED_PAD src0_sel:DWORD src1_sel:BYTE_0
	v_and_b32_e32 v5, s52, v3
	v_and_b32_e32 v4, 1, v5
	v_add_co_u32_e64 v24, s[12:13], -1, v4
	v_addc_co_u32_e64 v26, s[12:13], 0, -1, s[12:13]
	v_cmp_ne_u32_e64 s[12:13], 0, v4
	v_mad_u32_u24 v3, v5, 36, v23
	v_xor_b32_e32 v4, s13, v26
	; wave barrier
	ds_read_b32 v21, v3 offset:32
	v_mov_b32_e32 v3, 0
	v_and_b32_e32 v26, exec_hi, v4
	v_lshlrev_b32_e32 v4, 30, v5
	v_xor_b32_e32 v24, s12, v24
	v_cmp_gt_i64_e64 s[12:13], 0, v[3:4]
	v_not_b32_e32 v4, v4
	v_ashrrev_i32_e32 v4, 31, v4
	v_and_b32_e32 v24, exec_lo, v24
	v_xor_b32_e32 v27, s13, v4
	v_xor_b32_e32 v4, s12, v4
	v_and_b32_e32 v24, v24, v4
	v_lshlrev_b32_e32 v4, 29, v5
	v_cmp_gt_i64_e64 s[12:13], 0, v[3:4]
	v_not_b32_e32 v4, v4
	v_ashrrev_i32_e32 v4, 31, v4
	v_and_b32_e32 v26, v26, v27
	v_xor_b32_e32 v27, s13, v4
	v_xor_b32_e32 v4, s12, v4
	v_and_b32_e32 v24, v24, v4
	v_lshlrev_b32_e32 v4, 28, v5
	v_cmp_gt_i64_e64 s[12:13], 0, v[3:4]
	v_not_b32_e32 v4, v4
	v_ashrrev_i32_e32 v4, 31, v4
	v_and_b32_e32 v26, v26, v27
	;; [unrolled: 8-line block ×5, first 2 shown]
	v_xor_b32_e32 v27, s13, v4
	v_xor_b32_e32 v4, s12, v4
	v_and_b32_e32 v24, v24, v4
	v_lshlrev_b32_e32 v4, 24, v5
	v_cmp_gt_i64_e64 s[12:13], 0, v[3:4]
	v_not_b32_e32 v4, v4
	v_ashrrev_i32_e32 v4, 31, v4
	v_mul_u32_u24_e32 v25, 36, v5
	v_xor_b32_e32 v5, s13, v4
	v_xor_b32_e32 v4, s12, v4
	v_and_b32_e32 v26, v26, v27
	v_and_b32_e32 v4, v24, v4
	;; [unrolled: 1-line block ×3, first 2 shown]
	v_mbcnt_lo_u32_b32 v24, v4, 0
	v_mbcnt_hi_u32_b32 v24, v5, v24
	v_cmp_ne_u64_e64 s[12:13], 0, v[4:5]
	v_cmp_eq_u32_e64 s[14:15], 0, v24
	s_and_b64 s[14:15], s[12:13], s[14:15]
	v_add_u32_e32 v27, v23, v25
	; wave barrier
	s_and_saveexec_b64 s[12:13], s[14:15]
	s_cbranch_execz .LBB49_19
; %bb.18:
	v_bcnt_u32_b32 v4, v4, 0
	v_bcnt_u32_b32 v4, v5, v4
	s_waitcnt lgkmcnt(0)
	v_add_u32_e32 v4, v21, v4
	ds_write_b32 v27, v4 offset:32
.LBB49_19:
	s_or_b64 exec, exec, s[12:13]
	v_xor_b32_e32 v25, 0xffffff80, v20
	v_lshrrev_b32_sdwa v4, s48, v25 dst_sel:DWORD dst_unused:UNUSED_PAD src0_sel:DWORD src1_sel:BYTE_0
	v_and_b32_e32 v5, s52, v4
	v_mad_u32_u24 v4, v5, 36, v23
	; wave barrier
	ds_read_b32 v26, v4 offset:32
	v_and_b32_e32 v4, 1, v5
	v_add_co_u32_e64 v28, s[12:13], -1, v4
	v_addc_co_u32_e64 v29, s[12:13], 0, -1, s[12:13]
	v_cmp_ne_u32_e64 s[12:13], 0, v4
	v_xor_b32_e32 v4, s13, v29
	v_and_b32_e32 v29, exec_hi, v4
	v_lshlrev_b32_e32 v4, 30, v5
	v_xor_b32_e32 v28, s12, v28
	v_cmp_gt_i64_e64 s[12:13], 0, v[3:4]
	v_not_b32_e32 v4, v4
	v_ashrrev_i32_e32 v4, 31, v4
	v_and_b32_e32 v28, exec_lo, v28
	v_xor_b32_e32 v30, s13, v4
	v_xor_b32_e32 v4, s12, v4
	v_and_b32_e32 v28, v28, v4
	v_lshlrev_b32_e32 v4, 29, v5
	v_cmp_gt_i64_e64 s[12:13], 0, v[3:4]
	v_not_b32_e32 v4, v4
	v_ashrrev_i32_e32 v4, 31, v4
	v_and_b32_e32 v29, v29, v30
	v_xor_b32_e32 v30, s13, v4
	v_xor_b32_e32 v4, s12, v4
	v_and_b32_e32 v28, v28, v4
	v_lshlrev_b32_e32 v4, 28, v5
	v_cmp_gt_i64_e64 s[12:13], 0, v[3:4]
	v_not_b32_e32 v4, v4
	v_ashrrev_i32_e32 v4, 31, v4
	v_and_b32_e32 v29, v29, v30
	;; [unrolled: 8-line block ×5, first 2 shown]
	v_xor_b32_e32 v30, s13, v4
	v_xor_b32_e32 v4, s12, v4
	v_and_b32_e32 v28, v28, v4
	v_lshlrev_b32_e32 v4, 24, v5
	v_cmp_gt_i64_e64 s[12:13], 0, v[3:4]
	v_not_b32_e32 v3, v4
	v_ashrrev_i32_e32 v3, 31, v3
	v_xor_b32_e32 v4, s13, v3
	v_xor_b32_e32 v3, s12, v3
	v_and_b32_e32 v29, v29, v30
	v_and_b32_e32 v3, v28, v3
	v_mul_u32_u24_e32 v20, 36, v5
	v_and_b32_e32 v4, v29, v4
	v_mbcnt_lo_u32_b32 v5, v3, 0
	v_mbcnt_hi_u32_b32 v30, v4, v5
	v_cmp_ne_u64_e64 s[12:13], 0, v[3:4]
	v_cmp_eq_u32_e64 s[14:15], 0, v30
	s_and_b64 s[14:15], s[12:13], s[14:15]
	v_add_u32_e32 v20, v23, v20
	; wave barrier
	s_and_saveexec_b64 s[12:13], s[14:15]
	s_cbranch_execz .LBB49_21
; %bb.20:
	v_bcnt_u32_b32 v3, v3, 0
	v_bcnt_u32_b32 v3, v4, v3
	s_waitcnt lgkmcnt(0)
	v_add_u32_e32 v3, v26, v3
	ds_write_b32 v20, v3 offset:32
.LBB49_21:
	s_or_b64 exec, exec, s[12:13]
	v_xor_b32_e32 v14, 0xffffff80, v14
	v_lshrrev_b32_sdwa v3, s48, v14 dst_sel:DWORD dst_unused:UNUSED_PAD src0_sel:DWORD src1_sel:BYTE_0
	v_and_b32_e32 v5, s52, v3
	v_and_b32_e32 v4, 1, v5
	v_add_co_u32_e64 v29, s[12:13], -1, v4
	v_addc_co_u32_e64 v32, s[12:13], 0, -1, s[12:13]
	v_cmp_ne_u32_e64 s[12:13], 0, v4
	v_mad_u32_u24 v3, v5, 36, v23
	v_xor_b32_e32 v4, s13, v32
	; wave barrier
	ds_read_b32 v31, v3 offset:32
	v_mov_b32_e32 v3, 0
	v_and_b32_e32 v32, exec_hi, v4
	v_lshlrev_b32_e32 v4, 30, v5
	v_xor_b32_e32 v29, s12, v29
	v_cmp_gt_i64_e64 s[12:13], 0, v[3:4]
	v_not_b32_e32 v4, v4
	v_ashrrev_i32_e32 v4, 31, v4
	v_and_b32_e32 v29, exec_lo, v29
	v_xor_b32_e32 v33, s13, v4
	v_xor_b32_e32 v4, s12, v4
	v_and_b32_e32 v29, v29, v4
	v_lshlrev_b32_e32 v4, 29, v5
	v_cmp_gt_i64_e64 s[12:13], 0, v[3:4]
	v_not_b32_e32 v4, v4
	v_ashrrev_i32_e32 v4, 31, v4
	v_and_b32_e32 v32, v32, v33
	v_xor_b32_e32 v33, s13, v4
	v_xor_b32_e32 v4, s12, v4
	v_and_b32_e32 v29, v29, v4
	v_lshlrev_b32_e32 v4, 28, v5
	v_cmp_gt_i64_e64 s[12:13], 0, v[3:4]
	v_not_b32_e32 v4, v4
	v_ashrrev_i32_e32 v4, 31, v4
	v_and_b32_e32 v32, v32, v33
	;; [unrolled: 8-line block ×5, first 2 shown]
	v_xor_b32_e32 v33, s13, v4
	v_xor_b32_e32 v4, s12, v4
	v_and_b32_e32 v29, v29, v4
	v_lshlrev_b32_e32 v4, 24, v5
	v_cmp_gt_i64_e64 s[12:13], 0, v[3:4]
	v_not_b32_e32 v4, v4
	v_ashrrev_i32_e32 v4, 31, v4
	v_mul_u32_u24_e32 v28, 36, v5
	v_xor_b32_e32 v5, s13, v4
	v_xor_b32_e32 v4, s12, v4
	v_and_b32_e32 v32, v32, v33
	v_and_b32_e32 v4, v29, v4
	;; [unrolled: 1-line block ×3, first 2 shown]
	v_mbcnt_lo_u32_b32 v29, v4, 0
	v_mbcnt_hi_u32_b32 v32, v5, v29
	v_cmp_ne_u64_e64 s[12:13], 0, v[4:5]
	v_cmp_eq_u32_e64 s[14:15], 0, v32
	s_and_b64 s[14:15], s[12:13], s[14:15]
	v_add_u32_e32 v28, v23, v28
	; wave barrier
	s_and_saveexec_b64 s[12:13], s[14:15]
	s_cbranch_execz .LBB49_23
; %bb.22:
	v_bcnt_u32_b32 v4, v4, 0
	v_bcnt_u32_b32 v4, v5, v4
	s_waitcnt lgkmcnt(0)
	v_add_u32_e32 v4, v31, v4
	ds_write_b32 v28, v4 offset:32
.LBB49_23:
	s_or_b64 exec, exec, s[12:13]
	v_xor_b32_e32 v33, 0xffffff80, v6
	v_lshrrev_b32_sdwa v4, s48, v33 dst_sel:DWORD dst_unused:UNUSED_PAD src0_sel:DWORD src1_sel:BYTE_0
	v_and_b32_e32 v5, s52, v4
	v_mad_u32_u24 v4, v5, 36, v23
	; wave barrier
	ds_read_b32 v34, v4 offset:32
	v_and_b32_e32 v4, 1, v5
	v_add_co_u32_e64 v29, s[12:13], -1, v4
	v_addc_co_u32_e64 v35, s[12:13], 0, -1, s[12:13]
	v_cmp_ne_u32_e64 s[12:13], 0, v4
	v_xor_b32_e32 v4, s13, v35
	v_and_b32_e32 v35, exec_hi, v4
	v_lshlrev_b32_e32 v4, 30, v5
	v_xor_b32_e32 v29, s12, v29
	v_cmp_gt_i64_e64 s[12:13], 0, v[3:4]
	v_not_b32_e32 v4, v4
	v_ashrrev_i32_e32 v4, 31, v4
	v_and_b32_e32 v29, exec_lo, v29
	v_xor_b32_e32 v36, s13, v4
	v_xor_b32_e32 v4, s12, v4
	v_and_b32_e32 v29, v29, v4
	v_lshlrev_b32_e32 v4, 29, v5
	v_cmp_gt_i64_e64 s[12:13], 0, v[3:4]
	v_not_b32_e32 v4, v4
	v_ashrrev_i32_e32 v4, 31, v4
	v_and_b32_e32 v35, v35, v36
	v_xor_b32_e32 v36, s13, v4
	v_xor_b32_e32 v4, s12, v4
	v_and_b32_e32 v29, v29, v4
	v_lshlrev_b32_e32 v4, 28, v5
	v_cmp_gt_i64_e64 s[12:13], 0, v[3:4]
	v_not_b32_e32 v4, v4
	v_ashrrev_i32_e32 v4, 31, v4
	v_and_b32_e32 v35, v35, v36
	;; [unrolled: 8-line block ×5, first 2 shown]
	v_xor_b32_e32 v36, s13, v4
	v_xor_b32_e32 v4, s12, v4
	v_and_b32_e32 v29, v29, v4
	v_lshlrev_b32_e32 v4, 24, v5
	v_cmp_gt_i64_e64 s[12:13], 0, v[3:4]
	v_not_b32_e32 v3, v4
	v_ashrrev_i32_e32 v3, 31, v3
	v_xor_b32_e32 v4, s13, v3
	v_xor_b32_e32 v3, s12, v3
	v_and_b32_e32 v35, v35, v36
	v_and_b32_e32 v3, v29, v3
	v_mul_u32_u24_e32 v6, 36, v5
	v_and_b32_e32 v4, v35, v4
	v_mbcnt_lo_u32_b32 v5, v3, 0
	v_mbcnt_hi_u32_b32 v35, v4, v5
	v_cmp_ne_u64_e64 s[12:13], 0, v[3:4]
	v_cmp_eq_u32_e64 s[14:15], 0, v35
	s_and_b64 s[14:15], s[12:13], s[14:15]
	v_add_u32_e32 v23, v23, v6
	; wave barrier
	s_and_saveexec_b64 s[12:13], s[14:15]
	s_cbranch_execz .LBB49_25
; %bb.24:
	v_bcnt_u32_b32 v3, v3, 0
	v_bcnt_u32_b32 v3, v4, v3
	s_waitcnt lgkmcnt(0)
	v_add_u32_e32 v3, v34, v3
	ds_write_b32 v23, v3 offset:32
.LBB49_25:
	s_or_b64 exec, exec, s[12:13]
	; wave barrier
	s_waitcnt lgkmcnt(0)
	s_barrier
	ds_read2_b32 v[5:6], v9 offset0:8 offset1:9
	ds_read2_b32 v[3:4], v9 offset0:10 offset1:11
	ds_read_b32 v29, v9 offset:48
	v_min_u32_e32 v7, 0x1c0, v7
	v_or_b32_e32 v7, 63, v7
	s_waitcnt lgkmcnt(1)
	v_add3_u32 v36, v6, v5, v3
	s_waitcnt lgkmcnt(0)
	v_add3_u32 v29, v36, v4, v29
	v_and_b32_e32 v36, 15, v12
	v_cmp_ne_u32_e64 s[12:13], 0, v36
	v_mov_b32_dpp v37, v29 row_shr:1 row_mask:0xf bank_mask:0xf
	v_cndmask_b32_e64 v37, 0, v37, s[12:13]
	v_add_u32_e32 v29, v37, v29
	v_cmp_lt_u32_e64 s[12:13], 1, v36
	s_nop 0
	v_mov_b32_dpp v37, v29 row_shr:2 row_mask:0xf bank_mask:0xf
	v_cndmask_b32_e64 v37, 0, v37, s[12:13]
	v_add_u32_e32 v29, v29, v37
	v_cmp_lt_u32_e64 s[12:13], 3, v36
	s_nop 0
	;; [unrolled: 5-line block ×3, first 2 shown]
	v_mov_b32_dpp v37, v29 row_shr:8 row_mask:0xf bank_mask:0xf
	v_cndmask_b32_e64 v36, 0, v37, s[12:13]
	v_add_u32_e32 v29, v29, v36
	v_bfe_i32 v37, v12, 4, 1
	v_cmp_lt_u32_e64 s[12:13], 31, v12
	v_mov_b32_dpp v36, v29 row_bcast:15 row_mask:0xf bank_mask:0xf
	v_and_b32_e32 v36, v37, v36
	v_add_u32_e32 v29, v29, v36
	s_nop 1
	v_mov_b32_dpp v36, v29 row_bcast:31 row_mask:0xf bank_mask:0xf
	v_cndmask_b32_e64 v36, 0, v36, s[12:13]
	v_add_u32_e32 v29, v29, v36
	v_lshrrev_b32_e32 v36, 6, v0
	v_cmp_eq_u32_e64 s[12:13], v0, v7
	s_and_saveexec_b64 s[14:15], s[12:13]
; %bb.26:
	v_lshlrev_b32_e32 v7, 2, v36
	ds_write_b32 v7, v29
; %bb.27:
	s_or_b64 exec, exec, s[14:15]
	v_cmp_gt_u32_e64 s[12:13], 8, v0
	s_waitcnt lgkmcnt(0)
	s_barrier
	s_and_saveexec_b64 s[14:15], s[12:13]
	s_cbranch_execz .LBB49_29
; %bb.28:
	v_lshlrev_b32_e32 v7, 2, v0
	ds_read_b32 v37, v7
	v_and_b32_e32 v38, 7, v12
	v_cmp_ne_u32_e64 s[12:13], 0, v38
	s_waitcnt lgkmcnt(0)
	v_mov_b32_dpp v39, v37 row_shr:1 row_mask:0xf bank_mask:0xf
	v_cndmask_b32_e64 v39, 0, v39, s[12:13]
	v_add_u32_e32 v37, v39, v37
	v_cmp_lt_u32_e64 s[12:13], 1, v38
	s_nop 0
	v_mov_b32_dpp v39, v37 row_shr:2 row_mask:0xf bank_mask:0xf
	v_cndmask_b32_e64 v39, 0, v39, s[12:13]
	v_add_u32_e32 v37, v37, v39
	v_cmp_lt_u32_e64 s[12:13], 3, v38
	s_nop 0
	v_mov_b32_dpp v39, v37 row_shr:4 row_mask:0xf bank_mask:0xf
	v_cndmask_b32_e64 v38, 0, v39, s[12:13]
	v_add_u32_e32 v37, v37, v38
	ds_write_b32 v7, v37
.LBB49_29:
	s_or_b64 exec, exec, s[14:15]
	v_cmp_lt_u32_e64 s[12:13], 63, v0
	v_mov_b32_e32 v7, 0
	s_waitcnt lgkmcnt(0)
	s_barrier
	s_and_saveexec_b64 s[14:15], s[12:13]
; %bb.30:
	v_lshl_add_u32 v7, v36, 2, -4
	ds_read_b32 v7, v7
; %bb.31:
	s_or_b64 exec, exec, s[14:15]
	v_add_u32_e32 v36, -1, v12
	v_and_b32_e32 v37, 64, v12
	v_cmp_lt_i32_e64 s[12:13], v36, v37
	v_cndmask_b32_e64 v36, v36, v12, s[12:13]
	s_waitcnt lgkmcnt(0)
	v_add_u32_e32 v29, v7, v29
	v_lshlrev_b32_e32 v36, 2, v36
	ds_bpermute_b32 v29, v36, v29
	v_cmp_eq_u32_e64 s[12:13], 0, v12
	s_movk_i32 s16, 0x100
	v_cmp_gt_u32_e64 s[14:15], s16, v0
	s_waitcnt lgkmcnt(0)
	v_cndmask_b32_e64 v7, v29, v7, s[12:13]
	v_cmp_ne_u32_e64 s[12:13], 0, v0
	v_cndmask_b32_e64 v7, 0, v7, s[12:13]
	v_add_u32_e32 v5, v7, v5
	v_add_u32_e32 v6, v5, v6
	;; [unrolled: 1-line block ×4, first 2 shown]
	ds_write2_b32 v9, v7, v5 offset0:8 offset1:9
	ds_write2_b32 v9, v6, v3 offset0:10 offset1:11
	ds_write_b32 v9, v4 offset:48
	s_waitcnt lgkmcnt(0)
	s_barrier
	ds_read_b32 v5, v16 offset:32
	ds_read_b32 v6, v22 offset:32
	;; [unrolled: 1-line block ×6, first 2 shown]
	s_movk_i32 s12, 0xff
	v_mov_b32_e32 v3, 0
	v_cmp_lt_u32_e64 s[12:13], s12, v0
	v_mov_b32_e32 v4, 0
                                        ; implicit-def: $vgpr20
	s_and_saveexec_b64 s[18:19], s[14:15]
	s_cbranch_execz .LBB49_35
; %bb.32:
	v_mul_u32_u24_e32 v3, 36, v0
	ds_read_b32 v3, v3 offset:32
	v_add_u32_e32 v20, 1, v0
	v_cmp_ne_u32_e64 s[16:17], s16, v20
	v_mov_b32_e32 v4, 0xc00
	s_and_saveexec_b64 s[20:21], s[16:17]
; %bb.33:
	v_mul_u32_u24_e32 v4, 36, v20
	ds_read_b32 v4, v4 offset:32
; %bb.34:
	s_or_b64 exec, exec, s[20:21]
	s_waitcnt lgkmcnt(0)
	v_sub_u32_e32 v20, v4, v3
	v_mov_b32_e32 v4, 0
.LBB49_35:
	s_or_b64 exec, exec, s[18:19]
	s_waitcnt lgkmcnt(5)
	v_add_u32_e32 v29, v5, v10
	s_waitcnt lgkmcnt(4)
	v_add3_u32 v28, v17, v15, v6
	s_waitcnt lgkmcnt(3)
	v_add3_u32 v27, v24, v21, v7
	;; [unrolled: 2-line block ×5, first 2 shown]
	v_mov_b32_e32 v6, 0
	v_lshlrev_b32_e32 v21, 3, v0
	s_barrier
	ds_write_b8 v29, v8 offset:2048
	ds_write_b8 v28, v13 offset:2048
	;; [unrolled: 1-line block ×6, first 2 shown]
	s_waitcnt lgkmcnt(0)
	s_barrier
	s_and_saveexec_b64 s[16:17], s[14:15]
	s_cbranch_execz .LBB49_45
; %bb.36:
	v_lshl_add_u32 v5, s6, 8, v0
	v_lshlrev_b64 v[7:8], 2, v[5:6]
	v_mov_b32_e32 v13, s35
	v_add_co_u32_e64 v7, s[14:15], s34, v7
	v_addc_co_u32_e64 v8, s[14:15], v13, v8, s[14:15]
	v_or_b32_e32 v5, 2.0, v20
	s_mov_b64 s[18:19], 0
	s_brev_b32 s24, -4
	s_mov_b32 s25, s6
	v_mov_b32_e32 v14, 0
	global_store_dword v[7:8], v5, off
                                        ; implicit-def: $sgpr14_sgpr15
	s_branch .LBB49_39
.LBB49_37:                              ;   in Loop: Header=BB49_39 Depth=1
	s_or_b64 exec, exec, s[22:23]
.LBB49_38:                              ;   in Loop: Header=BB49_39 Depth=1
	s_or_b64 exec, exec, s[20:21]
	v_and_b32_e32 v9, 0x3fffffff, v5
	v_add_u32_e32 v14, v9, v14
	v_cmp_gt_i32_e64 s[14:15], -2.0, v5
	s_and_b64 s[20:21], exec, s[14:15]
	s_or_b64 s[18:19], s[20:21], s[18:19]
	s_andn2_b64 exec, exec, s[18:19]
	s_cbranch_execz .LBB49_44
.LBB49_39:                              ; =>This Loop Header: Depth=1
                                        ;     Child Loop BB49_42 Depth 2
	s_or_b64 s[14:15], s[14:15], exec
	s_cmp_eq_u32 s25, 0
	s_cbranch_scc1 .LBB49_43
; %bb.40:                               ;   in Loop: Header=BB49_39 Depth=1
	s_add_i32 s25, s25, -1
	v_lshl_or_b32 v5, s25, 8, v0
	v_lshlrev_b64 v[9:10], 2, v[5:6]
	v_add_co_u32_e64 v9, s[14:15], s34, v9
	v_addc_co_u32_e64 v10, s[14:15], v13, v10, s[14:15]
	global_load_dword v5, v[9:10], off glc
	s_waitcnt vmcnt(0)
	v_cmp_gt_u32_e64 s[14:15], 2.0, v5
	s_and_saveexec_b64 s[20:21], s[14:15]
	s_cbranch_execz .LBB49_38
; %bb.41:                               ;   in Loop: Header=BB49_39 Depth=1
	s_mov_b64 s[22:23], 0
.LBB49_42:                              ;   Parent Loop BB49_39 Depth=1
                                        ; =>  This Inner Loop Header: Depth=2
	global_load_dword v5, v[9:10], off glc
	s_waitcnt vmcnt(0)
	v_cmp_lt_u32_e64 s[14:15], s24, v5
	s_or_b64 s[22:23], s[14:15], s[22:23]
	s_andn2_b64 exec, exec, s[22:23]
	s_cbranch_execnz .LBB49_42
	s_branch .LBB49_37
.LBB49_43:                              ;   in Loop: Header=BB49_39 Depth=1
                                        ; implicit-def: $sgpr25
	s_and_b64 s[20:21], exec, s[14:15]
	s_or_b64 s[18:19], s[20:21], s[18:19]
	s_andn2_b64 exec, exec, s[18:19]
	s_cbranch_execnz .LBB49_39
.LBB49_44:
	s_or_b64 exec, exec, s[18:19]
	v_add_u32_e32 v5, v14, v20
	v_or_b32_e32 v5, 0x80000000, v5
	global_store_dword v[7:8], v5, off
	global_load_dwordx2 v[5:6], v21, s[44:45]
	v_sub_co_u32_e64 v7, s[14:15], v14, v3
	v_subb_co_u32_e64 v8, s[14:15], 0, v4, s[14:15]
	s_waitcnt vmcnt(0)
	v_add_co_u32_e64 v5, s[14:15], v7, v5
	v_addc_co_u32_e64 v6, s[14:15], v8, v6, s[14:15]
	ds_write_b64 v21, v[5:6]
.LBB49_45:
	s_or_b64 exec, exec, s[16:17]
	v_cmp_gt_u32_e64 s[14:15], s33, v0
	s_waitcnt lgkmcnt(0)
	s_barrier
	s_and_saveexec_b64 s[18:19], s[14:15]
	s_cbranch_execz .LBB49_47
; %bb.46:
	ds_read_u8 v7, v0 offset:2048
	v_mov_b32_e32 v8, s39
	s_waitcnt lgkmcnt(0)
	v_lshrrev_b32_sdwa v5, s48, v7 dst_sel:DWORD dst_unused:UNUSED_PAD src0_sel:DWORD src1_sel:BYTE_0
	v_and_b32_e32 v5, s52, v5
	v_lshlrev_b32_e32 v5, 3, v5
	ds_read_b64 v[5:6], v5
	v_xor_b32_e32 v7, 0x80, v7
	s_waitcnt lgkmcnt(0)
	v_add_co_u32_e64 v5, s[16:17], s38, v5
	v_addc_co_u32_e64 v6, s[16:17], v8, v6, s[16:17]
	v_add_co_u32_e64 v5, s[16:17], v5, v0
	v_addc_co_u32_e64 v6, s[16:17], 0, v6, s[16:17]
	global_store_byte v[5:6], v7, off
.LBB49_47:
	s_or_b64 exec, exec, s[18:19]
	v_or_b32_e32 v25, 0x200, v0
	v_cmp_gt_u32_e64 s[16:17], s33, v25
	s_and_saveexec_b64 s[20:21], s[16:17]
	s_cbranch_execz .LBB49_49
; %bb.48:
	ds_read_u8 v7, v0 offset:2560
	v_mov_b32_e32 v8, s39
	s_waitcnt lgkmcnt(0)
	v_lshrrev_b32_sdwa v5, s48, v7 dst_sel:DWORD dst_unused:UNUSED_PAD src0_sel:DWORD src1_sel:BYTE_0
	v_and_b32_e32 v5, s52, v5
	v_lshlrev_b32_e32 v5, 3, v5
	ds_read_b64 v[5:6], v5
	v_xor_b32_e32 v7, 0x80, v7
	s_waitcnt lgkmcnt(0)
	v_add_co_u32_e64 v5, s[18:19], s38, v5
	v_addc_co_u32_e64 v6, s[18:19], v8, v6, s[18:19]
	v_add_co_u32_e64 v5, s[18:19], v5, v0
	v_addc_co_u32_e64 v6, s[18:19], 0, v6, s[18:19]
	global_store_byte v[5:6], v7, off offset:512
.LBB49_49:
	s_or_b64 exec, exec, s[20:21]
	v_or_b32_e32 v26, 0x400, v0
	v_cmp_gt_u32_e64 s[18:19], s33, v26
	s_and_saveexec_b64 s[22:23], s[18:19]
	s_cbranch_execz .LBB49_51
; %bb.50:
	ds_read_u8 v7, v0 offset:3072
	v_mov_b32_e32 v8, s39
	s_waitcnt lgkmcnt(0)
	v_lshrrev_b32_sdwa v5, s48, v7 dst_sel:DWORD dst_unused:UNUSED_PAD src0_sel:DWORD src1_sel:BYTE_0
	v_and_b32_e32 v5, s52, v5
	v_lshlrev_b32_e32 v5, 3, v5
	ds_read_b64 v[5:6], v5
	v_xor_b32_e32 v7, 0x80, v7
	s_waitcnt lgkmcnt(0)
	v_add_co_u32_e64 v5, s[20:21], s38, v5
	v_addc_co_u32_e64 v6, s[20:21], v8, v6, s[20:21]
	v_add_co_u32_e64 v5, s[20:21], v5, v0
	v_addc_co_u32_e64 v6, s[20:21], 0, v6, s[20:21]
	global_store_byte v[5:6], v7, off offset:1024
.LBB49_51:
	;; [unrolled: 21-line block ×5, first 2 shown]
	s_or_b64 exec, exec, s[50:51]
	s_lshl_b64 s[28:29], s[30:31], 3
	s_add_u32 s28, s40, s28
	s_addc_u32 s29, s41, s29
	v_lshlrev_b32_e32 v5, 3, v12
	v_mov_b32_e32 v6, s29
	v_add_co_u32_e64 v5, s[28:29], s28, v5
	v_addc_co_u32_e64 v6, s[28:29], 0, v6, s[28:29]
	v_lshlrev_b32_e32 v7, 3, v11
	v_add_co_u32_e64 v17, s[28:29], v5, v7
	v_addc_co_u32_e64 v18, s[28:29], 0, v6, s[28:29]
                                        ; implicit-def: $vgpr5_vgpr6
	s_and_saveexec_b64 s[28:29], vcc
	s_xor_b64 s[28:29], exec, s[28:29]
	s_cbranch_execz .LBB49_63
; %bb.58:
	global_load_dwordx2 v[5:6], v[17:18], off
	s_or_b64 exec, exec, s[28:29]
                                        ; implicit-def: $vgpr7_vgpr8
	s_and_saveexec_b64 s[28:29], s[0:1]
	s_cbranch_execnz .LBB49_64
.LBB49_59:
	s_or_b64 exec, exec, s[28:29]
                                        ; implicit-def: $vgpr9_vgpr10
	s_and_saveexec_b64 s[0:1], s[2:3]
	s_cbranch_execz .LBB49_65
.LBB49_60:
	global_load_dwordx2 v[9:10], v[17:18], off offset:1024
	s_or_b64 exec, exec, s[0:1]
                                        ; implicit-def: $vgpr11_vgpr12
	s_and_saveexec_b64 s[0:1], s[26:27]
	s_cbranch_execnz .LBB49_66
.LBB49_61:
	s_or_b64 exec, exec, s[0:1]
                                        ; implicit-def: $vgpr13_vgpr14
	s_and_saveexec_b64 s[0:1], s[8:9]
	s_cbranch_execz .LBB49_67
.LBB49_62:
	global_load_dwordx2 v[13:14], v[17:18], off offset:2048
	s_or_b64 exec, exec, s[0:1]
                                        ; implicit-def: $vgpr15_vgpr16
	s_and_saveexec_b64 s[0:1], s[10:11]
	s_cbranch_execnz .LBB49_68
	s_branch .LBB49_69
.LBB49_63:
	s_or_b64 exec, exec, s[28:29]
                                        ; implicit-def: $vgpr7_vgpr8
	s_and_saveexec_b64 s[28:29], s[0:1]
	s_cbranch_execz .LBB49_59
.LBB49_64:
	global_load_dwordx2 v[7:8], v[17:18], off offset:512
	s_or_b64 exec, exec, s[28:29]
                                        ; implicit-def: $vgpr9_vgpr10
	s_and_saveexec_b64 s[0:1], s[2:3]
	s_cbranch_execnz .LBB49_60
.LBB49_65:
	s_or_b64 exec, exec, s[0:1]
                                        ; implicit-def: $vgpr11_vgpr12
	s_and_saveexec_b64 s[0:1], s[26:27]
	s_cbranch_execz .LBB49_61
.LBB49_66:
	global_load_dwordx2 v[11:12], v[17:18], off offset:1536
	s_or_b64 exec, exec, s[0:1]
                                        ; implicit-def: $vgpr13_vgpr14
	s_and_saveexec_b64 s[0:1], s[8:9]
	s_cbranch_execnz .LBB49_62
.LBB49_67:
	s_or_b64 exec, exec, s[0:1]
                                        ; implicit-def: $vgpr15_vgpr16
	s_and_saveexec_b64 s[0:1], s[10:11]
	s_cbranch_execz .LBB49_69
.LBB49_68:
	global_load_dwordx2 v[15:16], v[17:18], off offset:2560
.LBB49_69:
	s_or_b64 exec, exec, s[0:1]
	v_mov_b32_e32 v34, 0
	v_mov_b32_e32 v36, 0
	s_and_saveexec_b64 s[0:1], s[14:15]
	s_cbranch_execz .LBB49_71
; %bb.70:
	ds_read_u8 v17, v0 offset:2048
	s_waitcnt lgkmcnt(0)
	v_lshrrev_b32_e32 v17, s48, v17
	v_and_b32_e32 v36, s52, v17
.LBB49_71:
	s_or_b64 exec, exec, s[0:1]
	s_and_saveexec_b64 s[0:1], s[16:17]
	s_cbranch_execz .LBB49_73
; %bb.72:
	ds_read_u8 v17, v0 offset:2560
	s_waitcnt lgkmcnt(0)
	v_lshrrev_b32_e32 v17, s48, v17
	v_and_b32_e32 v34, s52, v17
.LBB49_73:
	s_or_b64 exec, exec, s[0:1]
	v_mov_b32_e32 v18, 0
	v_mov_b32_e32 v35, 0
	s_and_saveexec_b64 s[0:1], s[18:19]
	s_cbranch_execz .LBB49_75
; %bb.74:
	ds_read_u8 v17, v0 offset:3072
	s_waitcnt lgkmcnt(0)
	v_lshrrev_b32_e32 v17, s48, v17
	v_and_b32_e32 v35, s52, v17
.LBB49_75:
	s_or_b64 exec, exec, s[0:1]
	s_and_saveexec_b64 s[0:1], s[20:21]
	s_cbranch_execz .LBB49_77
; %bb.76:
	ds_read_u8 v17, v0 offset:3584
	s_waitcnt lgkmcnt(0)
	v_lshrrev_b32_e32 v17, s48, v17
	v_and_b32_e32 v18, s52, v17
.LBB49_77:
	;; [unrolled: 20-line block ×3, first 2 shown]
	s_or_b64 exec, exec, s[0:1]
	v_lshlrev_b32_e32 v29, 3, v29
	s_waitcnt vmcnt(0)
	s_barrier
	ds_write_b64 v29, v[5:6] offset:2048
	v_lshlrev_b32_e32 v5, 3, v28
	ds_write_b64 v5, v[7:8] offset:2048
	v_lshlrev_b32_e32 v5, 3, v27
	;; [unrolled: 2-line block ×5, first 2 shown]
	ds_write_b64 v5, v[15:16] offset:2048
	s_waitcnt lgkmcnt(0)
	s_barrier
	s_and_saveexec_b64 s[0:1], s[14:15]
	s_cbranch_execz .LBB49_87
; %bb.82:
	v_lshlrev_b32_e32 v5, 3, v36
	ds_read_b64 v[5:6], v5
	ds_read_b64 v[7:8], v21 offset:2048
	v_mov_b32_e32 v9, s43
	s_waitcnt lgkmcnt(1)
	v_lshlrev_b64 v[5:6], 3, v[5:6]
	v_add_co_u32_e32 v5, vcc, s42, v5
	v_addc_co_u32_e32 v6, vcc, v9, v6, vcc
	v_add_co_u32_e32 v5, vcc, v5, v21
	v_addc_co_u32_e32 v6, vcc, 0, v6, vcc
	s_waitcnt lgkmcnt(0)
	global_store_dwordx2 v[5:6], v[7:8], off
	s_or_b64 exec, exec, s[0:1]
	s_and_saveexec_b64 s[0:1], s[16:17]
	s_cbranch_execnz .LBB49_88
.LBB49_83:
	s_or_b64 exec, exec, s[0:1]
	s_and_saveexec_b64 s[0:1], s[18:19]
	s_cbranch_execz .LBB49_89
.LBB49_84:
	v_lshlrev_b32_e32 v5, 3, v35
	ds_read_b64 v[5:6], v5
	ds_read_b64 v[7:8], v21 offset:10240
	v_mov_b32_e32 v9, s43
	s_waitcnt lgkmcnt(1)
	v_lshlrev_b64 v[5:6], 3, v[5:6]
	v_add_co_u32_e32 v5, vcc, s42, v5
	v_addc_co_u32_e32 v6, vcc, v9, v6, vcc
	v_lshlrev_b32_e32 v9, 3, v26
	v_add_co_u32_e32 v5, vcc, v5, v9
	v_addc_co_u32_e32 v6, vcc, 0, v6, vcc
	s_waitcnt lgkmcnt(0)
	global_store_dwordx2 v[5:6], v[7:8], off
	s_or_b64 exec, exec, s[0:1]
	s_and_saveexec_b64 s[0:1], s[20:21]
	s_cbranch_execnz .LBB49_90
.LBB49_85:
	s_or_b64 exec, exec, s[0:1]
	s_and_saveexec_b64 s[0:1], s[22:23]
	s_cbranch_execz .LBB49_91
.LBB49_86:
	v_lshlrev_b32_e32 v5, 3, v33
	ds_read_b64 v[5:6], v5
	ds_read_b64 v[7:8], v21 offset:18432
	v_mov_b32_e32 v9, s43
	s_waitcnt lgkmcnt(1)
	v_lshlrev_b64 v[5:6], 3, v[5:6]
	v_add_co_u32_e32 v5, vcc, s42, v5
	v_addc_co_u32_e32 v6, vcc, v9, v6, vcc
	v_lshlrev_b32_e32 v9, 3, v31
	v_add_co_u32_e32 v5, vcc, v5, v9
	v_addc_co_u32_e32 v6, vcc, 0, v6, vcc
	s_waitcnt lgkmcnt(0)
	global_store_dwordx2 v[5:6], v[7:8], off
	s_or_b64 exec, exec, s[0:1]
	s_and_saveexec_b64 s[0:1], s[24:25]
	s_cbranch_execnz .LBB49_92
	s_branch .LBB49_93
.LBB49_87:
	s_or_b64 exec, exec, s[0:1]
	s_and_saveexec_b64 s[0:1], s[16:17]
	s_cbranch_execz .LBB49_83
.LBB49_88:
	v_lshlrev_b32_e32 v5, 3, v34
	ds_read_b64 v[5:6], v5
	ds_read_b64 v[7:8], v21 offset:6144
	v_mov_b32_e32 v9, s43
	s_waitcnt lgkmcnt(1)
	v_lshlrev_b64 v[5:6], 3, v[5:6]
	v_add_co_u32_e32 v5, vcc, s42, v5
	v_addc_co_u32_e32 v6, vcc, v9, v6, vcc
	v_lshlrev_b32_e32 v9, 3, v25
	v_add_co_u32_e32 v5, vcc, v5, v9
	v_addc_co_u32_e32 v6, vcc, 0, v6, vcc
	s_waitcnt lgkmcnt(0)
	global_store_dwordx2 v[5:6], v[7:8], off
	s_or_b64 exec, exec, s[0:1]
	s_and_saveexec_b64 s[0:1], s[18:19]
	s_cbranch_execnz .LBB49_84
.LBB49_89:
	s_or_b64 exec, exec, s[0:1]
	s_and_saveexec_b64 s[0:1], s[20:21]
	s_cbranch_execz .LBB49_85
.LBB49_90:
	v_lshlrev_b32_e32 v5, 3, v18
	ds_read_b64 v[5:6], v5
	ds_read_b64 v[7:8], v21 offset:14336
	v_mov_b32_e32 v9, s43
	s_waitcnt lgkmcnt(1)
	v_lshlrev_b64 v[5:6], 3, v[5:6]
	v_add_co_u32_e32 v5, vcc, s42, v5
	v_addc_co_u32_e32 v6, vcc, v9, v6, vcc
	v_lshlrev_b32_e32 v9, 3, v30
	v_add_co_u32_e32 v5, vcc, v5, v9
	v_addc_co_u32_e32 v6, vcc, 0, v6, vcc
	s_waitcnt lgkmcnt(0)
	global_store_dwordx2 v[5:6], v[7:8], off
	s_or_b64 exec, exec, s[0:1]
	s_and_saveexec_b64 s[0:1], s[22:23]
	s_cbranch_execnz .LBB49_86
.LBB49_91:
	s_or_b64 exec, exec, s[0:1]
	s_and_saveexec_b64 s[0:1], s[24:25]
	s_cbranch_execz .LBB49_93
.LBB49_92:
	v_lshlrev_b32_e32 v5, 3, v17
	ds_read_b64 v[5:6], v5
	ds_read_b64 v[7:8], v21 offset:22528
	v_mov_b32_e32 v9, s43
	s_waitcnt lgkmcnt(1)
	v_lshlrev_b64 v[5:6], 3, v[5:6]
	v_add_co_u32_e32 v5, vcc, s42, v5
	v_addc_co_u32_e32 v6, vcc, v9, v6, vcc
	v_lshlrev_b32_e32 v9, 3, v32
	v_add_co_u32_e32 v5, vcc, v5, v9
	v_addc_co_u32_e32 v6, vcc, 0, v6, vcc
	s_waitcnt lgkmcnt(0)
	global_store_dwordx2 v[5:6], v[7:8], off
.LBB49_93:
	s_or_b64 exec, exec, s[0:1]
	s_add_i32 s7, s7, -1
	s_cmp_eq_u32 s6, s7
	s_cselect_b64 s[0:1], -1, 0
	s_xor_b64 s[2:3], s[12:13], -1
	s_and_b64 s[2:3], s[2:3], s[0:1]
	s_and_saveexec_b64 s[0:1], s[2:3]
	s_cbranch_execz .LBB49_95
; %bb.94:
	ds_read_b64 v[5:6], v21
	v_add_co_u32_e32 v3, vcc, v3, v20
	v_addc_co_u32_e32 v4, vcc, 0, v4, vcc
	s_waitcnt lgkmcnt(0)
	v_add_co_u32_e32 v3, vcc, v3, v5
	v_addc_co_u32_e32 v4, vcc, v4, v6, vcc
	global_store_dwordx2 v21, v[3:4], s[46:47]
.LBB49_95:
	s_or_b64 exec, exec, s[0:1]
	s_mov_b64 s[0:1], 0
.LBB49_96:
	s_and_b64 vcc, exec, s[0:1]
	s_cbranch_vccz .LBB49_131
; %bb.97:
	s_add_u32 s0, s36, s30
	s_addc_u32 s1, s37, 0
	v_mbcnt_hi_u32_b32 v10, -1, v19
	v_and_b32_e32 v7, 0x1c0, v0
	v_mov_b32_e32 v3, s1
	v_add_co_u32_e32 v4, vcc, s0, v10
	v_mul_u32_u24_e32 v9, 6, v7
	v_addc_co_u32_e32 v3, vcc, 0, v3, vcc
	v_add_co_u32_e32 v4, vcc, v4, v9
	v_addc_co_u32_e32 v5, vcc, 0, v3, vcc
	global_load_ubyte v8, v[4:5], off
	s_load_dword s0, s[4:5], 0x5c
	s_load_dword s7, s[4:5], 0x50
	s_add_u32 s1, s4, 0x50
	s_addc_u32 s2, s5, 0
	v_mov_b32_e32 v3, 0
	s_waitcnt lgkmcnt(0)
	s_lshr_b32 s3, s0, 16
	s_cmp_lt_u32 s6, s7
	s_cselect_b32 s0, 12, 18
	s_add_u32 s0, s1, s0
	s_addc_u32 s1, s2, 0
	global_load_ushort v12, v3, s[0:1]
	v_mul_u32_u24_e32 v6, 20, v0
	ds_write2_b32 v6, v3, v3 offset0:8 offset1:9
	ds_write2_b32 v6, v3, v3 offset0:10 offset1:11
	ds_write_b32 v6, v3 offset:48
	global_load_ubyte v11, v[4:5], off offset:64
	global_load_ubyte v15, v[4:5], off offset:128
	;; [unrolled: 1-line block ×5, first 2 shown]
	s_lshl_b32 s0, -1, s49
	v_mad_u32_u24 v1, v2, s3, v1
	s_not_b32 s12, s0
	s_mov_b32 s31, 0
	s_waitcnt vmcnt(0) lgkmcnt(0)
	s_barrier
	; wave barrier
	v_xor_b32_e32 v5, 0x80, v8
	v_lshrrev_b32_e32 v2, s48, v5
	v_and_b32_e32 v8, s12, v2
	v_and_b32_e32 v2, 1, v8
	v_add_co_u32_e32 v14, vcc, -1, v2
	v_lshlrev_b32_e32 v4, 30, v8
	v_addc_co_u32_e64 v16, s[0:1], 0, -1, vcc
	v_cmp_ne_u32_e32 vcc, 0, v2
	v_cmp_gt_i64_e64 s[0:1], 0, v[3:4]
	v_not_b32_e32 v18, v4
	v_lshlrev_b32_e32 v4, 29, v8
	v_mad_u64_u32 v[1:2], s[2:3], v1, v12, v[0:1]
	v_xor_b32_e32 v2, vcc_hi, v16
	v_xor_b32_e32 v12, vcc_lo, v14
	v_ashrrev_i32_e32 v14, 31, v18
	v_cmp_gt_i64_e32 vcc, 0, v[3:4]
	v_not_b32_e32 v16, v4
	v_lshlrev_b32_e32 v4, 28, v8
	v_and_b32_e32 v2, exec_hi, v2
	v_and_b32_e32 v12, exec_lo, v12
	v_xor_b32_e32 v18, s1, v14
	v_xor_b32_e32 v14, s0, v14
	v_ashrrev_i32_e32 v16, 31, v16
	v_cmp_gt_i64_e64 s[0:1], 0, v[3:4]
	v_not_b32_e32 v19, v4
	v_lshlrev_b32_e32 v4, 27, v8
	v_and_b32_e32 v2, v2, v18
	v_and_b32_e32 v12, v12, v14
	v_xor_b32_e32 v14, vcc_hi, v16
	v_xor_b32_e32 v16, vcc_lo, v16
	v_ashrrev_i32_e32 v18, 31, v19
	v_cmp_gt_i64_e32 vcc, 0, v[3:4]
	v_not_b32_e32 v19, v4
	v_lshlrev_b32_e32 v4, 26, v8
	v_and_b32_e32 v2, v2, v14
	v_and_b32_e32 v12, v12, v16
	v_xor_b32_e32 v14, s1, v18
	v_xor_b32_e32 v16, s0, v18
	v_ashrrev_i32_e32 v18, 31, v19
	v_cmp_gt_i64_e64 s[0:1], 0, v[3:4]
	v_not_b32_e32 v4, v4
	v_lshrrev_b32_e32 v1, 4, v1
	v_and_b32_e32 v2, v2, v14
	v_and_b32_e32 v12, v12, v16
	v_xor_b32_e32 v14, vcc_hi, v18
	v_xor_b32_e32 v16, vcc_lo, v18
	v_ashrrev_i32_e32 v4, 31, v4
	v_and_b32_e32 v18, 0xffffffc, v1
	v_and_b32_e32 v1, v2, v14
	v_and_b32_e32 v2, v12, v16
	v_xor_b32_e32 v12, s1, v4
	v_xor_b32_e32 v4, s0, v4
	v_and_b32_e32 v2, v2, v4
	v_lshlrev_b32_e32 v4, 25, v8
	v_cmp_gt_i64_e32 vcc, 0, v[3:4]
	v_not_b32_e32 v4, v4
	v_ashrrev_i32_e32 v4, 31, v4
	v_and_b32_e32 v1, v1, v12
	v_xor_b32_e32 v12, vcc_hi, v4
	v_xor_b32_e32 v4, vcc_lo, v4
	v_and_b32_e32 v1, v1, v12
	v_and_b32_e32 v12, v2, v4
	v_lshlrev_b32_e32 v4, 24, v8
	v_cmp_gt_i64_e32 vcc, 0, v[3:4]
	v_not_b32_e32 v2, v4
	v_ashrrev_i32_e32 v2, 31, v2
	v_mul_u32_u24_e32 v13, 36, v8
	v_xor_b32_e32 v4, vcc_hi, v2
	v_xor_b32_e32 v8, vcc_lo, v2
	v_and_b32_e32 v2, v1, v4
	v_and_b32_e32 v1, v12, v8
	v_mbcnt_lo_u32_b32 v4, v1, 0
	v_mbcnt_hi_u32_b32 v8, v2, v4
	v_cmp_ne_u64_e32 vcc, 0, v[1:2]
	v_cmp_eq_u32_e64 s[0:1], 0, v8
	s_and_b64 s[2:3], vcc, s[0:1]
	v_add_u32_e32 v13, v18, v13
	s_and_saveexec_b64 s[0:1], s[2:3]
; %bb.98:
	v_bcnt_u32_b32 v1, v1, 0
	v_bcnt_u32_b32 v1, v2, v1
	ds_write_b32 v13, v1 offset:32
; %bb.99:
	s_or_b64 exec, exec, s[0:1]
	v_xor_b32_e32 v11, 0xffffff80, v11
	v_lshrrev_b32_sdwa v1, s48, v11 dst_sel:DWORD dst_unused:UNUSED_PAD src0_sel:DWORD src1_sel:BYTE_0
	v_and_b32_e32 v1, s12, v1
	v_mad_u32_u24 v2, v1, 36, v18
	; wave barrier
	ds_read_b32 v12, v2 offset:32
	v_and_b32_e32 v2, 1, v1
	v_add_co_u32_e32 v4, vcc, -1, v2
	v_addc_co_u32_e64 v14, s[0:1], 0, -1, vcc
	v_cmp_ne_u32_e32 vcc, 0, v2
	v_xor_b32_e32 v4, vcc_lo, v4
	v_xor_b32_e32 v2, vcc_hi, v14
	v_and_b32_e32 v14, exec_lo, v4
	v_lshlrev_b32_e32 v4, 30, v1
	v_cmp_gt_i64_e32 vcc, 0, v[3:4]
	v_not_b32_e32 v4, v4
	v_ashrrev_i32_e32 v4, 31, v4
	v_xor_b32_e32 v19, vcc_hi, v4
	v_xor_b32_e32 v4, vcc_lo, v4
	v_and_b32_e32 v14, v14, v4
	v_lshlrev_b32_e32 v4, 29, v1
	v_cmp_gt_i64_e32 vcc, 0, v[3:4]
	v_not_b32_e32 v4, v4
	v_and_b32_e32 v2, exec_hi, v2
	v_ashrrev_i32_e32 v4, 31, v4
	v_and_b32_e32 v2, v2, v19
	v_xor_b32_e32 v19, vcc_hi, v4
	v_xor_b32_e32 v4, vcc_lo, v4
	v_and_b32_e32 v14, v14, v4
	v_lshlrev_b32_e32 v4, 28, v1
	v_cmp_gt_i64_e32 vcc, 0, v[3:4]
	v_not_b32_e32 v4, v4
	v_ashrrev_i32_e32 v4, 31, v4
	v_and_b32_e32 v2, v2, v19
	v_xor_b32_e32 v19, vcc_hi, v4
	v_xor_b32_e32 v4, vcc_lo, v4
	v_and_b32_e32 v14, v14, v4
	v_lshlrev_b32_e32 v4, 27, v1
	v_cmp_gt_i64_e32 vcc, 0, v[3:4]
	v_not_b32_e32 v4, v4
	;; [unrolled: 8-line block ×4, first 2 shown]
	v_ashrrev_i32_e32 v4, 31, v4
	v_and_b32_e32 v2, v2, v19
	v_xor_b32_e32 v19, vcc_hi, v4
	v_xor_b32_e32 v4, vcc_lo, v4
	v_and_b32_e32 v14, v14, v4
	v_lshlrev_b32_e32 v4, 24, v1
	v_mul_u32_u24_e32 v16, 36, v1
	v_cmp_gt_i64_e32 vcc, 0, v[3:4]
	v_not_b32_e32 v1, v4
	v_ashrrev_i32_e32 v1, 31, v1
	v_xor_b32_e32 v3, vcc_hi, v1
	v_xor_b32_e32 v1, vcc_lo, v1
	v_and_b32_e32 v2, v2, v19
	v_and_b32_e32 v1, v14, v1
	;; [unrolled: 1-line block ×3, first 2 shown]
	v_mbcnt_lo_u32_b32 v3, v1, 0
	v_mbcnt_hi_u32_b32 v14, v2, v3
	v_cmp_ne_u64_e32 vcc, 0, v[1:2]
	v_cmp_eq_u32_e64 s[0:1], 0, v14
	s_and_b64 s[2:3], vcc, s[0:1]
	v_add_u32_e32 v19, v18, v16
	; wave barrier
	s_and_saveexec_b64 s[0:1], s[2:3]
	s_cbranch_execz .LBB49_101
; %bb.100:
	v_bcnt_u32_b32 v1, v1, 0
	v_bcnt_u32_b32 v1, v2, v1
	s_waitcnt lgkmcnt(0)
	v_add_u32_e32 v1, v12, v1
	ds_write_b32 v19, v1 offset:32
.LBB49_101:
	s_or_b64 exec, exec, s[0:1]
	v_xor_b32_e32 v15, 0xffffff80, v15
	v_lshrrev_b32_sdwa v1, s48, v15 dst_sel:DWORD dst_unused:UNUSED_PAD src0_sel:DWORD src1_sel:BYTE_0
	v_and_b32_e32 v3, s12, v1
	v_and_b32_e32 v2, 1, v3
	v_add_co_u32_e32 v20, vcc, -1, v2
	v_addc_co_u32_e64 v22, s[0:1], 0, -1, vcc
	v_cmp_ne_u32_e32 vcc, 0, v2
	v_mad_u32_u24 v1, v3, 36, v18
	v_xor_b32_e32 v2, vcc_hi, v22
	; wave barrier
	ds_read_b32 v16, v1 offset:32
	v_mov_b32_e32 v1, 0
	v_and_b32_e32 v22, exec_hi, v2
	v_lshlrev_b32_e32 v2, 30, v3
	v_xor_b32_e32 v20, vcc_lo, v20
	v_cmp_gt_i64_e32 vcc, 0, v[1:2]
	v_not_b32_e32 v2, v2
	v_ashrrev_i32_e32 v2, 31, v2
	v_and_b32_e32 v20, exec_lo, v20
	v_xor_b32_e32 v24, vcc_hi, v2
	v_xor_b32_e32 v2, vcc_lo, v2
	v_and_b32_e32 v20, v20, v2
	v_lshlrev_b32_e32 v2, 29, v3
	v_cmp_gt_i64_e32 vcc, 0, v[1:2]
	v_not_b32_e32 v2, v2
	v_ashrrev_i32_e32 v2, 31, v2
	v_and_b32_e32 v22, v22, v24
	v_xor_b32_e32 v24, vcc_hi, v2
	v_xor_b32_e32 v2, vcc_lo, v2
	v_and_b32_e32 v20, v20, v2
	v_lshlrev_b32_e32 v2, 28, v3
	v_cmp_gt_i64_e32 vcc, 0, v[1:2]
	v_not_b32_e32 v2, v2
	v_ashrrev_i32_e32 v2, 31, v2
	v_and_b32_e32 v22, v22, v24
	;; [unrolled: 8-line block ×5, first 2 shown]
	v_xor_b32_e32 v24, vcc_hi, v2
	v_xor_b32_e32 v2, vcc_lo, v2
	v_and_b32_e32 v20, v20, v2
	v_lshlrev_b32_e32 v2, 24, v3
	v_cmp_gt_i64_e32 vcc, 0, v[1:2]
	v_not_b32_e32 v2, v2
	v_ashrrev_i32_e32 v2, 31, v2
	v_mul_u32_u24_e32 v4, 36, v3
	v_xor_b32_e32 v3, vcc_hi, v2
	v_xor_b32_e32 v2, vcc_lo, v2
	v_and_b32_e32 v22, v22, v24
	v_and_b32_e32 v2, v20, v2
	;; [unrolled: 1-line block ×3, first 2 shown]
	v_mbcnt_lo_u32_b32 v20, v2, 0
	v_mbcnt_hi_u32_b32 v20, v3, v20
	v_cmp_ne_u64_e32 vcc, 0, v[2:3]
	v_cmp_eq_u32_e64 s[0:1], 0, v20
	s_and_b64 s[2:3], vcc, s[0:1]
	v_add_u32_e32 v24, v18, v4
	; wave barrier
	s_and_saveexec_b64 s[0:1], s[2:3]
	s_cbranch_execz .LBB49_103
; %bb.102:
	v_bcnt_u32_b32 v2, v2, 0
	v_bcnt_u32_b32 v2, v3, v2
	s_waitcnt lgkmcnt(0)
	v_add_u32_e32 v2, v16, v2
	ds_write_b32 v24, v2 offset:32
.LBB49_103:
	s_or_b64 exec, exec, s[0:1]
	v_xor_b32_e32 v21, 0xffffff80, v21
	v_lshrrev_b32_sdwa v2, s48, v21 dst_sel:DWORD dst_unused:UNUSED_PAD src0_sel:DWORD src1_sel:BYTE_0
	v_and_b32_e32 v3, s12, v2
	v_mad_u32_u24 v2, v3, 36, v18
	; wave barrier
	ds_read_b32 v22, v2 offset:32
	v_and_b32_e32 v2, 1, v3
	v_add_co_u32_e32 v25, vcc, -1, v2
	v_addc_co_u32_e64 v26, s[0:1], 0, -1, vcc
	v_cmp_ne_u32_e32 vcc, 0, v2
	v_xor_b32_e32 v2, vcc_hi, v26
	v_and_b32_e32 v26, exec_hi, v2
	v_lshlrev_b32_e32 v2, 30, v3
	v_xor_b32_e32 v25, vcc_lo, v25
	v_cmp_gt_i64_e32 vcc, 0, v[1:2]
	v_not_b32_e32 v2, v2
	v_ashrrev_i32_e32 v2, 31, v2
	v_and_b32_e32 v25, exec_lo, v25
	v_xor_b32_e32 v27, vcc_hi, v2
	v_xor_b32_e32 v2, vcc_lo, v2
	v_and_b32_e32 v25, v25, v2
	v_lshlrev_b32_e32 v2, 29, v3
	v_cmp_gt_i64_e32 vcc, 0, v[1:2]
	v_not_b32_e32 v2, v2
	v_ashrrev_i32_e32 v2, 31, v2
	v_and_b32_e32 v26, v26, v27
	v_xor_b32_e32 v27, vcc_hi, v2
	v_xor_b32_e32 v2, vcc_lo, v2
	v_and_b32_e32 v25, v25, v2
	v_lshlrev_b32_e32 v2, 28, v3
	v_cmp_gt_i64_e32 vcc, 0, v[1:2]
	v_not_b32_e32 v2, v2
	v_ashrrev_i32_e32 v2, 31, v2
	v_and_b32_e32 v26, v26, v27
	;; [unrolled: 8-line block ×5, first 2 shown]
	v_xor_b32_e32 v27, vcc_hi, v2
	v_xor_b32_e32 v2, vcc_lo, v2
	v_and_b32_e32 v25, v25, v2
	v_lshlrev_b32_e32 v2, 24, v3
	v_cmp_gt_i64_e32 vcc, 0, v[1:2]
	v_not_b32_e32 v1, v2
	v_ashrrev_i32_e32 v1, 31, v1
	v_xor_b32_e32 v2, vcc_hi, v1
	v_xor_b32_e32 v1, vcc_lo, v1
	v_and_b32_e32 v26, v26, v27
	v_and_b32_e32 v1, v25, v1
	v_mul_u32_u24_e32 v4, 36, v3
	v_and_b32_e32 v2, v26, v2
	v_mbcnt_lo_u32_b32 v3, v1, 0
	v_mbcnt_hi_u32_b32 v25, v2, v3
	v_cmp_ne_u64_e32 vcc, 0, v[1:2]
	v_cmp_eq_u32_e64 s[0:1], 0, v25
	s_and_b64 s[2:3], vcc, s[0:1]
	v_add_u32_e32 v27, v18, v4
	; wave barrier
	s_and_saveexec_b64 s[0:1], s[2:3]
	s_cbranch_execz .LBB49_105
; %bb.104:
	v_bcnt_u32_b32 v1, v1, 0
	v_bcnt_u32_b32 v1, v2, v1
	s_waitcnt lgkmcnt(0)
	v_add_u32_e32 v1, v22, v1
	ds_write_b32 v27, v1 offset:32
.LBB49_105:
	s_or_b64 exec, exec, s[0:1]
	v_xor_b32_e32 v23, 0xffffff80, v23
	v_lshrrev_b32_sdwa v1, s48, v23 dst_sel:DWORD dst_unused:UNUSED_PAD src0_sel:DWORD src1_sel:BYTE_0
	v_and_b32_e32 v3, s12, v1
	v_and_b32_e32 v2, 1, v3
	v_add_co_u32_e32 v28, vcc, -1, v2
	v_addc_co_u32_e64 v29, s[0:1], 0, -1, vcc
	v_cmp_ne_u32_e32 vcc, 0, v2
	v_mad_u32_u24 v1, v3, 36, v18
	v_xor_b32_e32 v2, vcc_hi, v29
	; wave barrier
	ds_read_b32 v26, v1 offset:32
	v_mov_b32_e32 v1, 0
	v_and_b32_e32 v29, exec_hi, v2
	v_lshlrev_b32_e32 v2, 30, v3
	v_xor_b32_e32 v28, vcc_lo, v28
	v_cmp_gt_i64_e32 vcc, 0, v[1:2]
	v_not_b32_e32 v2, v2
	v_ashrrev_i32_e32 v2, 31, v2
	v_and_b32_e32 v28, exec_lo, v28
	v_xor_b32_e32 v30, vcc_hi, v2
	v_xor_b32_e32 v2, vcc_lo, v2
	v_and_b32_e32 v28, v28, v2
	v_lshlrev_b32_e32 v2, 29, v3
	v_cmp_gt_i64_e32 vcc, 0, v[1:2]
	v_not_b32_e32 v2, v2
	v_ashrrev_i32_e32 v2, 31, v2
	v_and_b32_e32 v29, v29, v30
	v_xor_b32_e32 v30, vcc_hi, v2
	v_xor_b32_e32 v2, vcc_lo, v2
	v_and_b32_e32 v28, v28, v2
	v_lshlrev_b32_e32 v2, 28, v3
	v_cmp_gt_i64_e32 vcc, 0, v[1:2]
	v_not_b32_e32 v2, v2
	v_ashrrev_i32_e32 v2, 31, v2
	v_and_b32_e32 v29, v29, v30
	;; [unrolled: 8-line block ×5, first 2 shown]
	v_xor_b32_e32 v30, vcc_hi, v2
	v_xor_b32_e32 v2, vcc_lo, v2
	v_and_b32_e32 v28, v28, v2
	v_lshlrev_b32_e32 v2, 24, v3
	v_cmp_gt_i64_e32 vcc, 0, v[1:2]
	v_not_b32_e32 v2, v2
	v_ashrrev_i32_e32 v2, 31, v2
	v_mul_u32_u24_e32 v4, 36, v3
	v_xor_b32_e32 v3, vcc_hi, v2
	v_xor_b32_e32 v2, vcc_lo, v2
	v_and_b32_e32 v29, v29, v30
	v_and_b32_e32 v2, v28, v2
	;; [unrolled: 1-line block ×3, first 2 shown]
	v_mbcnt_lo_u32_b32 v28, v2, 0
	v_mbcnt_hi_u32_b32 v28, v3, v28
	v_cmp_ne_u64_e32 vcc, 0, v[2:3]
	v_cmp_eq_u32_e64 s[0:1], 0, v28
	s_and_b64 s[2:3], vcc, s[0:1]
	v_add_u32_e32 v31, v18, v4
	; wave barrier
	s_and_saveexec_b64 s[0:1], s[2:3]
	s_cbranch_execz .LBB49_107
; %bb.106:
	v_bcnt_u32_b32 v2, v2, 0
	v_bcnt_u32_b32 v2, v3, v2
	s_waitcnt lgkmcnt(0)
	v_add_u32_e32 v2, v26, v2
	ds_write_b32 v31, v2 offset:32
.LBB49_107:
	s_or_b64 exec, exec, s[0:1]
	v_xor_b32_e32 v29, 0xffffff80, v17
	v_lshrrev_b32_sdwa v2, s48, v29 dst_sel:DWORD dst_unused:UNUSED_PAD src0_sel:DWORD src1_sel:BYTE_0
	v_and_b32_e32 v3, s12, v2
	v_mad_u32_u24 v2, v3, 36, v18
	; wave barrier
	ds_read_b32 v30, v2 offset:32
	v_and_b32_e32 v2, 1, v3
	v_add_co_u32_e32 v17, vcc, -1, v2
	v_addc_co_u32_e64 v32, s[0:1], 0, -1, vcc
	v_cmp_ne_u32_e32 vcc, 0, v2
	v_xor_b32_e32 v2, vcc_hi, v32
	v_and_b32_e32 v32, exec_hi, v2
	v_lshlrev_b32_e32 v2, 30, v3
	v_xor_b32_e32 v17, vcc_lo, v17
	v_cmp_gt_i64_e32 vcc, 0, v[1:2]
	v_not_b32_e32 v2, v2
	v_ashrrev_i32_e32 v2, 31, v2
	v_and_b32_e32 v17, exec_lo, v17
	v_xor_b32_e32 v33, vcc_hi, v2
	v_xor_b32_e32 v2, vcc_lo, v2
	v_and_b32_e32 v17, v17, v2
	v_lshlrev_b32_e32 v2, 29, v3
	v_cmp_gt_i64_e32 vcc, 0, v[1:2]
	v_not_b32_e32 v2, v2
	v_ashrrev_i32_e32 v2, 31, v2
	v_and_b32_e32 v32, v32, v33
	v_xor_b32_e32 v33, vcc_hi, v2
	v_xor_b32_e32 v2, vcc_lo, v2
	v_and_b32_e32 v17, v17, v2
	v_lshlrev_b32_e32 v2, 28, v3
	v_cmp_gt_i64_e32 vcc, 0, v[1:2]
	v_not_b32_e32 v2, v2
	v_ashrrev_i32_e32 v2, 31, v2
	v_and_b32_e32 v32, v32, v33
	;; [unrolled: 8-line block ×5, first 2 shown]
	v_xor_b32_e32 v33, vcc_hi, v2
	v_xor_b32_e32 v2, vcc_lo, v2
	v_and_b32_e32 v17, v17, v2
	v_lshlrev_b32_e32 v2, 24, v3
	v_cmp_gt_i64_e32 vcc, 0, v[1:2]
	v_not_b32_e32 v1, v2
	v_ashrrev_i32_e32 v1, 31, v1
	v_xor_b32_e32 v2, vcc_hi, v1
	v_xor_b32_e32 v1, vcc_lo, v1
	v_and_b32_e32 v32, v32, v33
	v_and_b32_e32 v1, v17, v1
	v_mul_u32_u24_e32 v4, 36, v3
	v_and_b32_e32 v2, v32, v2
	v_mbcnt_lo_u32_b32 v3, v1, 0
	v_mbcnt_hi_u32_b32 v32, v2, v3
	v_cmp_ne_u64_e32 vcc, 0, v[1:2]
	v_cmp_eq_u32_e64 s[0:1], 0, v32
	s_and_b64 s[2:3], vcc, s[0:1]
	v_add_u32_e32 v17, v18, v4
	; wave barrier
	s_and_saveexec_b64 s[0:1], s[2:3]
	s_cbranch_execz .LBB49_109
; %bb.108:
	v_bcnt_u32_b32 v1, v1, 0
	v_bcnt_u32_b32 v1, v2, v1
	s_waitcnt lgkmcnt(0)
	v_add_u32_e32 v1, v30, v1
	ds_write_b32 v17, v1 offset:32
.LBB49_109:
	s_or_b64 exec, exec, s[0:1]
	; wave barrier
	s_waitcnt lgkmcnt(0)
	s_barrier
	ds_read2_b32 v[3:4], v6 offset0:8 offset1:9
	ds_read2_b32 v[1:2], v6 offset0:10 offset1:11
	ds_read_b32 v18, v6 offset:48
	v_min_u32_e32 v7, 0x1c0, v7
	v_or_b32_e32 v7, 63, v7
	s_waitcnt lgkmcnt(1)
	v_add3_u32 v33, v4, v3, v1
	s_waitcnt lgkmcnt(0)
	v_add3_u32 v18, v33, v2, v18
	v_and_b32_e32 v33, 15, v10
	v_cmp_ne_u32_e32 vcc, 0, v33
	v_mov_b32_dpp v34, v18 row_shr:1 row_mask:0xf bank_mask:0xf
	v_cndmask_b32_e32 v34, 0, v34, vcc
	v_add_u32_e32 v18, v34, v18
	v_cmp_lt_u32_e32 vcc, 1, v33
	s_nop 0
	v_mov_b32_dpp v34, v18 row_shr:2 row_mask:0xf bank_mask:0xf
	v_cndmask_b32_e32 v34, 0, v34, vcc
	v_add_u32_e32 v18, v18, v34
	v_cmp_lt_u32_e32 vcc, 3, v33
	s_nop 0
	;; [unrolled: 5-line block ×3, first 2 shown]
	v_mov_b32_dpp v34, v18 row_shr:8 row_mask:0xf bank_mask:0xf
	v_cndmask_b32_e32 v33, 0, v34, vcc
	v_add_u32_e32 v18, v18, v33
	v_bfe_i32 v34, v10, 4, 1
	v_cmp_lt_u32_e32 vcc, 31, v10
	v_mov_b32_dpp v33, v18 row_bcast:15 row_mask:0xf bank_mask:0xf
	v_and_b32_e32 v33, v34, v33
	v_add_u32_e32 v18, v18, v33
	s_nop 1
	v_mov_b32_dpp v33, v18 row_bcast:31 row_mask:0xf bank_mask:0xf
	v_cndmask_b32_e32 v33, 0, v33, vcc
	v_add_u32_e32 v18, v18, v33
	v_lshrrev_b32_e32 v33, 6, v0
	v_cmp_eq_u32_e32 vcc, v0, v7
	s_and_saveexec_b64 s[0:1], vcc
; %bb.110:
	v_lshlrev_b32_e32 v7, 2, v33
	ds_write_b32 v7, v18
; %bb.111:
	s_or_b64 exec, exec, s[0:1]
	v_cmp_gt_u32_e32 vcc, 8, v0
	s_waitcnt lgkmcnt(0)
	s_barrier
	s_and_saveexec_b64 s[0:1], vcc
	s_cbranch_execz .LBB49_113
; %bb.112:
	v_lshlrev_b32_e32 v7, 2, v0
	ds_read_b32 v34, v7
	v_and_b32_e32 v35, 7, v10
	v_cmp_ne_u32_e32 vcc, 0, v35
	s_waitcnt lgkmcnt(0)
	v_mov_b32_dpp v36, v34 row_shr:1 row_mask:0xf bank_mask:0xf
	v_cndmask_b32_e32 v36, 0, v36, vcc
	v_add_u32_e32 v34, v36, v34
	v_cmp_lt_u32_e32 vcc, 1, v35
	s_nop 0
	v_mov_b32_dpp v36, v34 row_shr:2 row_mask:0xf bank_mask:0xf
	v_cndmask_b32_e32 v36, 0, v36, vcc
	v_add_u32_e32 v34, v34, v36
	v_cmp_lt_u32_e32 vcc, 3, v35
	s_nop 0
	v_mov_b32_dpp v36, v34 row_shr:4 row_mask:0xf bank_mask:0xf
	v_cndmask_b32_e32 v35, 0, v36, vcc
	v_add_u32_e32 v34, v34, v35
	ds_write_b32 v7, v34
.LBB49_113:
	s_or_b64 exec, exec, s[0:1]
	v_cmp_lt_u32_e32 vcc, 63, v0
	v_mov_b32_e32 v7, 0
	s_waitcnt lgkmcnt(0)
	s_barrier
	s_and_saveexec_b64 s[0:1], vcc
; %bb.114:
	v_lshl_add_u32 v7, v33, 2, -4
	ds_read_b32 v7, v7
; %bb.115:
	s_or_b64 exec, exec, s[0:1]
	v_add_u32_e32 v33, -1, v10
	v_and_b32_e32 v34, 64, v10
	v_cmp_lt_i32_e32 vcc, v33, v34
	v_cndmask_b32_e32 v33, v33, v10, vcc
	s_waitcnt lgkmcnt(0)
	v_add_u32_e32 v18, v7, v18
	v_lshlrev_b32_e32 v33, 2, v33
	ds_bpermute_b32 v18, v33, v18
	v_cmp_eq_u32_e32 vcc, 0, v10
	s_movk_i32 s0, 0xff
	s_movk_i32 s2, 0x100
	s_waitcnt lgkmcnt(0)
	v_cndmask_b32_e32 v7, v18, v7, vcc
	v_cmp_ne_u32_e32 vcc, 0, v0
	v_cndmask_b32_e32 v7, 0, v7, vcc
	v_add_u32_e32 v3, v7, v3
	v_add_u32_e32 v4, v3, v4
	;; [unrolled: 1-line block ×4, first 2 shown]
	ds_write2_b32 v6, v7, v3 offset0:8 offset1:9
	ds_write2_b32 v6, v4, v1 offset0:10 offset1:11
	ds_write_b32 v6, v2 offset:48
	s_waitcnt lgkmcnt(0)
	s_barrier
	ds_read_b32 v3, v13 offset:32
	ds_read_b32 v4, v19 offset:32
	;; [unrolled: 1-line block ×6, first 2 shown]
	v_mov_b32_e32 v1, 0
	v_cmp_lt_u32_e32 vcc, s0, v0
	v_mov_b32_e32 v2, 0
	v_cmp_gt_u32_e64 s[0:1], s2, v0
                                        ; implicit-def: $vgpr13
	s_and_saveexec_b64 s[4:5], s[0:1]
	s_cbranch_execz .LBB49_119
; %bb.116:
	v_mul_u32_u24_e32 v1, 36, v0
	ds_read_b32 v1, v1 offset:32
	v_add_u32_e32 v13, 1, v0
	v_cmp_ne_u32_e64 s[2:3], s2, v13
	v_mov_b32_e32 v2, 0xc00
	s_and_saveexec_b64 s[8:9], s[2:3]
; %bb.117:
	v_mul_u32_u24_e32 v2, 36, v13
	ds_read_b32 v2, v2 offset:32
; %bb.118:
	s_or_b64 exec, exec, s[8:9]
	s_waitcnt lgkmcnt(0)
	v_sub_u32_e32 v13, v2, v1
	v_mov_b32_e32 v2, 0
.LBB49_119:
	s_or_b64 exec, exec, s[4:5]
	s_waitcnt lgkmcnt(5)
	v_add_u32_e32 v19, v3, v8
	s_waitcnt lgkmcnt(4)
	v_add3_u32 v18, v14, v12, v4
	s_waitcnt lgkmcnt(3)
	v_add3_u32 v17, v20, v16, v6
	;; [unrolled: 2-line block ×5, first 2 shown]
	s_barrier
	ds_write_b8 v19, v5 offset:2048
	ds_write_b8 v18, v11 offset:2048
	;; [unrolled: 1-line block ×6, first 2 shown]
	v_mov_b32_e32 v4, 0
	v_lshlrev_b32_e32 v11, 3, v0
	s_waitcnt lgkmcnt(0)
	s_barrier
	s_and_saveexec_b64 s[2:3], s[0:1]
	s_cbranch_execz .LBB49_129
; %bb.120:
	v_lshl_add_u32 v3, s6, 8, v0
	v_lshlrev_b64 v[5:6], 2, v[3:4]
	v_mov_b32_e32 v15, s35
	v_add_co_u32_e64 v5, s[0:1], s34, v5
	v_addc_co_u32_e64 v6, s[0:1], v15, v6, s[0:1]
	v_or_b32_e32 v3, 2.0, v13
	s_mov_b64 s[4:5], 0
	s_brev_b32 s13, -4
	s_mov_b32 s14, s6
	v_mov_b32_e32 v20, 0
	global_store_dword v[5:6], v3, off
                                        ; implicit-def: $sgpr0_sgpr1
	s_branch .LBB49_123
.LBB49_121:                             ;   in Loop: Header=BB49_123 Depth=1
	s_or_b64 exec, exec, s[10:11]
.LBB49_122:                             ;   in Loop: Header=BB49_123 Depth=1
	s_or_b64 exec, exec, s[8:9]
	v_and_b32_e32 v7, 0x3fffffff, v3
	v_add_u32_e32 v20, v7, v20
	v_cmp_gt_i32_e64 s[0:1], -2.0, v3
	s_and_b64 s[8:9], exec, s[0:1]
	s_or_b64 s[4:5], s[8:9], s[4:5]
	s_andn2_b64 exec, exec, s[4:5]
	s_cbranch_execz .LBB49_128
.LBB49_123:                             ; =>This Loop Header: Depth=1
                                        ;     Child Loop BB49_126 Depth 2
	s_or_b64 s[0:1], s[0:1], exec
	s_cmp_eq_u32 s14, 0
	s_cbranch_scc1 .LBB49_127
; %bb.124:                              ;   in Loop: Header=BB49_123 Depth=1
	s_add_i32 s14, s14, -1
	v_lshl_or_b32 v3, s14, 8, v0
	v_lshlrev_b64 v[7:8], 2, v[3:4]
	v_add_co_u32_e64 v7, s[0:1], s34, v7
	v_addc_co_u32_e64 v8, s[0:1], v15, v8, s[0:1]
	global_load_dword v3, v[7:8], off glc
	s_waitcnt vmcnt(0)
	v_cmp_gt_u32_e64 s[0:1], 2.0, v3
	s_and_saveexec_b64 s[8:9], s[0:1]
	s_cbranch_execz .LBB49_122
; %bb.125:                              ;   in Loop: Header=BB49_123 Depth=1
	s_mov_b64 s[10:11], 0
.LBB49_126:                             ;   Parent Loop BB49_123 Depth=1
                                        ; =>  This Inner Loop Header: Depth=2
	global_load_dword v3, v[7:8], off glc
	s_waitcnt vmcnt(0)
	v_cmp_lt_u32_e64 s[0:1], s13, v3
	s_or_b64 s[10:11], s[0:1], s[10:11]
	s_andn2_b64 exec, exec, s[10:11]
	s_cbranch_execnz .LBB49_126
	s_branch .LBB49_121
.LBB49_127:                             ;   in Loop: Header=BB49_123 Depth=1
                                        ; implicit-def: $sgpr14
	s_and_b64 s[8:9], exec, s[0:1]
	s_or_b64 s[4:5], s[8:9], s[4:5]
	s_andn2_b64 exec, exec, s[4:5]
	s_cbranch_execnz .LBB49_123
.LBB49_128:
	s_or_b64 exec, exec, s[4:5]
	v_add_u32_e32 v3, v20, v13
	v_or_b32_e32 v3, 0x80000000, v3
	global_store_dword v[5:6], v3, off
	global_load_dwordx2 v[3:4], v11, s[44:45]
	v_sub_co_u32_e64 v5, s[0:1], v20, v1
	v_subb_co_u32_e64 v6, s[0:1], 0, v2, s[0:1]
	s_waitcnt vmcnt(0)
	v_add_co_u32_e64 v3, s[0:1], v5, v3
	v_addc_co_u32_e64 v4, s[0:1], v6, v4, s[0:1]
	ds_write_b64 v11, v[3:4]
.LBB49_129:
	s_or_b64 exec, exec, s[2:3]
	s_waitcnt lgkmcnt(0)
	s_barrier
	ds_read_u8 v15, v0 offset:4096
	ds_read_u8 v26, v0 offset:3072
	;; [unrolled: 1-line block ×5, first 2 shown]
	s_waitcnt lgkmcnt(4)
	v_lshrrev_b32_sdwa v3, s48, v15 dst_sel:DWORD dst_unused:UNUSED_PAD src0_sel:DWORD src1_sel:BYTE_0
	v_and_b32_e32 v3, s12, v3
	v_lshlrev_b32_e32 v29, 3, v3
	s_waitcnt lgkmcnt(1)
	v_lshrrev_b32_sdwa v3, s48, v28 dst_sel:DWORD dst_unused:UNUSED_PAD src0_sel:DWORD src1_sel:BYTE_0
	v_and_b32_e32 v3, s12, v3
	v_lshlrev_b32_e32 v30, 3, v3
	ds_read_u8 v31, v0 offset:2560
	ds_read_b64 v[3:4], v29
	ds_read_b64 v[5:6], v30
	s_waitcnt lgkmcnt(3)
	v_lshrrev_b32_sdwa v8, s48, v7 dst_sel:DWORD dst_unused:UNUSED_PAD src0_sel:DWORD src1_sel:BYTE_0
	v_xor_b32_e32 v32, 0x80, v7
	s_waitcnt lgkmcnt(2)
	v_lshrrev_b32_sdwa v7, s48, v31 dst_sel:DWORD dst_unused:UNUSED_PAD src0_sel:DWORD src1_sel:BYTE_0
	v_and_b32_e32 v7, s12, v7
	v_lshlrev_b32_e32 v35, 3, v7
	v_lshrrev_b32_sdwa v7, s48, v26 dst_sel:DWORD dst_unused:UNUSED_PAD src0_sel:DWORD src1_sel:BYTE_0
	v_and_b32_e32 v7, s12, v7
	v_and_b32_e32 v8, s12, v8
	v_lshlrev_b32_e32 v36, 3, v7
	v_lshrrev_b32_sdwa v7, s48, v27 dst_sel:DWORD dst_unused:UNUSED_PAD src0_sel:DWORD src1_sel:BYTE_0
	v_lshlrev_b32_e32 v33, 3, v8
	v_and_b32_e32 v7, s12, v7
	v_lshlrev_b32_e32 v37, 3, v7
	ds_read_b64 v[7:8], v33
	ds_read_b64 v[20:21], v35
	ds_read_b64 v[22:23], v36
	ds_read_b64 v[24:25], v37
	v_mov_b32_e32 v34, s39
	s_waitcnt lgkmcnt(3)
	v_add_co_u32_e64 v7, s[0:1], s38, v7
	v_addc_co_u32_e64 v8, s[0:1], v34, v8, s[0:1]
	v_add_co_u32_e64 v7, s[0:1], v7, v0
	v_addc_co_u32_e64 v8, s[0:1], 0, v8, s[0:1]
	global_store_byte v[7:8], v32, off
	v_mov_b32_e32 v7, s39
	s_waitcnt lgkmcnt(2)
	v_add_co_u32_e64 v8, s[0:1], s38, v20
	v_addc_co_u32_e64 v20, s[0:1], v7, v21, s[0:1]
	v_add_co_u32_e64 v7, s[0:1], v8, v0
	v_xor_b32_e32 v31, 0x80, v31
	v_addc_co_u32_e64 v8, s[0:1], 0, v20, s[0:1]
	global_store_byte v[7:8], v31, off offset:512
	v_mov_b32_e32 v7, s39
	s_waitcnt lgkmcnt(1)
	v_add_co_u32_e64 v8, s[0:1], s38, v22
	v_addc_co_u32_e64 v21, s[0:1], v7, v23, s[0:1]
	v_add_co_u32_e64 v7, s[0:1], v8, v0
	v_xor_b32_e32 v20, 0x80, v26
	v_addc_co_u32_e64 v8, s[0:1], 0, v21, s[0:1]
	global_store_byte v[7:8], v20, off offset:1024
	;; [unrolled: 8-line block ×3, first 2 shown]
	v_mov_b32_e32 v8, s39
	v_add_co_u32_e64 v3, s[0:1], s38, v3
	v_addc_co_u32_e64 v4, s[0:1], v8, v4, s[0:1]
	v_add_co_u32_e64 v3, s[0:1], v3, v0
	v_xor_b32_e32 v7, 0x80, v15
	v_addc_co_u32_e64 v4, s[0:1], 0, v4, s[0:1]
	global_store_byte v[3:4], v7, off offset:2048
	v_mov_b32_e32 v3, s39
	v_add_co_u32_e64 v4, s[0:1], s38, v5
	v_addc_co_u32_e64 v5, s[0:1], v3, v6, s[0:1]
	v_add_co_u32_e64 v3, s[0:1], v4, v0
	v_addc_co_u32_e64 v4, s[0:1], 0, v5, s[0:1]
	s_lshl_b64 s[0:1], s[30:31], 3
	v_xor_b32_e32 v7, 0x80, v28
	s_add_u32 s0, s40, s0
	global_store_byte v[3:4], v7, off offset:2560
	s_addc_u32 s1, s41, s1
	v_lshlrev_b32_e32 v3, 3, v10
	v_mov_b32_e32 v4, s1
	v_add_co_u32_e64 v3, s[0:1], s0, v3
	v_addc_co_u32_e64 v4, s[0:1], 0, v4, s[0:1]
	v_lshlrev_b32_e32 v5, 3, v9
	v_add_co_u32_e64 v3, s[0:1], v3, v5
	v_addc_co_u32_e64 v4, s[0:1], 0, v4, s[0:1]
	global_load_dwordx2 v[5:6], v[3:4], off
	global_load_dwordx2 v[7:8], v[3:4], off offset:512
	global_load_dwordx2 v[9:10], v[3:4], off offset:1024
	;; [unrolled: 1-line block ×5, first 2 shown]
	v_lshlrev_b32_e32 v3, 3, v19
	s_waitcnt vmcnt(0)
	s_barrier
	v_mad_u32_u24 v0, v0, 7, v0
	s_add_i32 s7, s7, -1
	s_cmp_eq_u32 s6, s7
	ds_write_b64 v3, v[5:6] offset:2048
	v_lshlrev_b32_e32 v3, 3, v18
	ds_write_b64 v3, v[7:8] offset:2048
	v_lshlrev_b32_e32 v3, 3, v17
	;; [unrolled: 2-line block ×5, first 2 shown]
	ds_write_b64 v3, v[24:25] offset:2048
	s_waitcnt lgkmcnt(0)
	s_barrier
	ds_read_b64 v[7:8], v33
	ds_read2st64_b64 v[3:6], v0 offset0:4 offset1:12
	ds_read_b64 v[9:10], v35
	ds_read_b64 v[14:15], v36
	ds_read_b64 v[16:17], v37
	s_waitcnt lgkmcnt(4)
	v_lshlrev_b64 v[7:8], 3, v[7:8]
	v_mov_b32_e32 v12, s43
	v_add_co_u32_e64 v7, s[0:1], s42, v7
	v_addc_co_u32_e64 v8, s[0:1], v12, v8, s[0:1]
	v_add_co_u32_e64 v7, s[0:1], v7, v11
	v_addc_co_u32_e64 v8, s[0:1], 0, v8, s[0:1]
	s_waitcnt lgkmcnt(3)
	global_store_dwordx2 v[7:8], v[3:4], off
	s_waitcnt lgkmcnt(2)
	v_lshlrev_b64 v[3:4], 3, v[9:10]
	v_mov_b32_e32 v7, s43
	v_add_co_u32_e64 v3, s[0:1], s42, v3
	v_addc_co_u32_e64 v4, s[0:1], v7, v4, s[0:1]
	v_or_b32_e32 v7, 0x1000, v11
	v_add_co_u32_e64 v3, s[0:1], v3, v7
	v_addc_co_u32_e64 v4, s[0:1], 0, v4, s[0:1]
	s_waitcnt lgkmcnt(1)
	v_lshlrev_b64 v[7:8], 3, v[14:15]
	global_store_dwordx2 v[3:4], v[5:6], off
	ds_read2st64_b64 v[3:6], v0 offset0:20 offset1:28
	v_mov_b32_e32 v9, s43
	v_add_co_u32_e64 v7, s[0:1], s42, v7
	v_addc_co_u32_e64 v8, s[0:1], v9, v8, s[0:1]
	v_or_b32_e32 v9, 0x2000, v11
	v_add_co_u32_e64 v7, s[0:1], v7, v9
	v_addc_co_u32_e64 v8, s[0:1], 0, v8, s[0:1]
	s_waitcnt lgkmcnt(0)
	global_store_dwordx2 v[7:8], v[3:4], off
	v_lshlrev_b64 v[3:4], 3, v[16:17]
	v_mov_b32_e32 v7, s43
	v_add_co_u32_e64 v3, s[0:1], s42, v3
	v_addc_co_u32_e64 v4, s[0:1], v7, v4, s[0:1]
	ds_read_b64 v[7:8], v29
	v_or_b32_e32 v9, 0x3000, v11
	v_add_co_u32_e64 v3, s[0:1], v3, v9
	v_addc_co_u32_e64 v4, s[0:1], 0, v4, s[0:1]
	global_store_dwordx2 v[3:4], v[5:6], off
	s_waitcnt lgkmcnt(0)
	v_lshlrev_b64 v[7:8], 3, v[7:8]
	ds_read2st64_b64 v[3:6], v0 offset0:36 offset1:44
	ds_read_b64 v[9:10], v30
	v_mov_b32_e32 v0, s43
	v_add_co_u32_e64 v7, s[0:1], s42, v7
	v_addc_co_u32_e64 v0, s[0:1], v0, v8, s[0:1]
	v_or_b32_e32 v8, 0x4000, v11
	v_add_co_u32_e64 v7, s[0:1], v7, v8
	v_addc_co_u32_e64 v8, s[0:1], 0, v0, s[0:1]
	s_waitcnt lgkmcnt(1)
	global_store_dwordx2 v[7:8], v[3:4], off
	s_waitcnt lgkmcnt(0)
	v_lshlrev_b64 v[3:4], 3, v[9:10]
	v_mov_b32_e32 v0, s43
	v_add_co_u32_e64 v3, s[0:1], s42, v3
	v_addc_co_u32_e64 v0, s[0:1], v0, v4, s[0:1]
	v_or_b32_e32 v4, 0x5000, v11
	v_add_co_u32_e64 v3, s[0:1], v3, v4
	v_addc_co_u32_e64 v4, s[0:1], 0, v0, s[0:1]
	s_cselect_b64 s[0:1], -1, 0
	s_xor_b64 s[2:3], vcc, -1
	s_and_b64 s[0:1], s[2:3], s[0:1]
	global_store_dwordx2 v[3:4], v[5:6], off
	s_and_saveexec_b64 s[2:3], s[0:1]
	s_cbranch_execz .LBB49_131
; %bb.130:
	ds_read_b64 v[3:4], v11
	v_add_co_u32_e32 v0, vcc, v1, v13
	v_addc_co_u32_e32 v1, vcc, 0, v2, vcc
	s_waitcnt lgkmcnt(0)
	v_add_co_u32_e32 v0, vcc, v0, v3
	v_addc_co_u32_e32 v1, vcc, v1, v4, vcc
	global_store_dwordx2 v11, v[0:1], s[46:47]
.LBB49_131:
	s_endpgm
	.section	.rodata,"a",@progbits
	.p2align	6, 0x0
	.amdhsa_kernel _ZN7rocprim17ROCPRIM_304000_NS6detail25onesweep_iteration_kernelINS1_34wrapped_radix_sort_onesweep_configINS0_14default_configEaN2at4cuda3cub6detail10OpaqueTypeILi8EEEEELb0EPaSC_PSA_SD_mNS0_19identity_decomposerEEEvT1_T2_T3_T4_jPT5_SK_PNS1_23onesweep_lookback_stateET6_jjj
		.amdhsa_group_segment_fixed_size 26624
		.amdhsa_private_segment_fixed_size 0
		.amdhsa_kernarg_size 336
		.amdhsa_user_sgpr_count 6
		.amdhsa_user_sgpr_private_segment_buffer 1
		.amdhsa_user_sgpr_dispatch_ptr 0
		.amdhsa_user_sgpr_queue_ptr 0
		.amdhsa_user_sgpr_kernarg_segment_ptr 1
		.amdhsa_user_sgpr_dispatch_id 0
		.amdhsa_user_sgpr_flat_scratch_init 0
		.amdhsa_user_sgpr_private_segment_size 0
		.amdhsa_uses_dynamic_stack 0
		.amdhsa_system_sgpr_private_segment_wavefront_offset 0
		.amdhsa_system_sgpr_workgroup_id_x 1
		.amdhsa_system_sgpr_workgroup_id_y 0
		.amdhsa_system_sgpr_workgroup_id_z 0
		.amdhsa_system_sgpr_workgroup_info 0
		.amdhsa_system_vgpr_workitem_id 2
		.amdhsa_next_free_vgpr 49
		.amdhsa_next_free_sgpr 98
		.amdhsa_reserve_vcc 1
		.amdhsa_reserve_flat_scratch 0
		.amdhsa_float_round_mode_32 0
		.amdhsa_float_round_mode_16_64 0
		.amdhsa_float_denorm_mode_32 3
		.amdhsa_float_denorm_mode_16_64 3
		.amdhsa_dx10_clamp 1
		.amdhsa_ieee_mode 1
		.amdhsa_fp16_overflow 0
		.amdhsa_exception_fp_ieee_invalid_op 0
		.amdhsa_exception_fp_denorm_src 0
		.amdhsa_exception_fp_ieee_div_zero 0
		.amdhsa_exception_fp_ieee_overflow 0
		.amdhsa_exception_fp_ieee_underflow 0
		.amdhsa_exception_fp_ieee_inexact 0
		.amdhsa_exception_int_div_zero 0
	.end_amdhsa_kernel
	.section	.text._ZN7rocprim17ROCPRIM_304000_NS6detail25onesweep_iteration_kernelINS1_34wrapped_radix_sort_onesweep_configINS0_14default_configEaN2at4cuda3cub6detail10OpaqueTypeILi8EEEEELb0EPaSC_PSA_SD_mNS0_19identity_decomposerEEEvT1_T2_T3_T4_jPT5_SK_PNS1_23onesweep_lookback_stateET6_jjj,"axG",@progbits,_ZN7rocprim17ROCPRIM_304000_NS6detail25onesweep_iteration_kernelINS1_34wrapped_radix_sort_onesweep_configINS0_14default_configEaN2at4cuda3cub6detail10OpaqueTypeILi8EEEEELb0EPaSC_PSA_SD_mNS0_19identity_decomposerEEEvT1_T2_T3_T4_jPT5_SK_PNS1_23onesweep_lookback_stateET6_jjj,comdat
.Lfunc_end49:
	.size	_ZN7rocprim17ROCPRIM_304000_NS6detail25onesweep_iteration_kernelINS1_34wrapped_radix_sort_onesweep_configINS0_14default_configEaN2at4cuda3cub6detail10OpaqueTypeILi8EEEEELb0EPaSC_PSA_SD_mNS0_19identity_decomposerEEEvT1_T2_T3_T4_jPT5_SK_PNS1_23onesweep_lookback_stateET6_jjj, .Lfunc_end49-_ZN7rocprim17ROCPRIM_304000_NS6detail25onesweep_iteration_kernelINS1_34wrapped_radix_sort_onesweep_configINS0_14default_configEaN2at4cuda3cub6detail10OpaqueTypeILi8EEEEELb0EPaSC_PSA_SD_mNS0_19identity_decomposerEEEvT1_T2_T3_T4_jPT5_SK_PNS1_23onesweep_lookback_stateET6_jjj
                                        ; -- End function
	.set _ZN7rocprim17ROCPRIM_304000_NS6detail25onesweep_iteration_kernelINS1_34wrapped_radix_sort_onesweep_configINS0_14default_configEaN2at4cuda3cub6detail10OpaqueTypeILi8EEEEELb0EPaSC_PSA_SD_mNS0_19identity_decomposerEEEvT1_T2_T3_T4_jPT5_SK_PNS1_23onesweep_lookback_stateET6_jjj.num_vgpr, 40
	.set _ZN7rocprim17ROCPRIM_304000_NS6detail25onesweep_iteration_kernelINS1_34wrapped_radix_sort_onesweep_configINS0_14default_configEaN2at4cuda3cub6detail10OpaqueTypeILi8EEEEELb0EPaSC_PSA_SD_mNS0_19identity_decomposerEEEvT1_T2_T3_T4_jPT5_SK_PNS1_23onesweep_lookback_stateET6_jjj.num_agpr, 0
	.set _ZN7rocprim17ROCPRIM_304000_NS6detail25onesweep_iteration_kernelINS1_34wrapped_radix_sort_onesweep_configINS0_14default_configEaN2at4cuda3cub6detail10OpaqueTypeILi8EEEEELb0EPaSC_PSA_SD_mNS0_19identity_decomposerEEEvT1_T2_T3_T4_jPT5_SK_PNS1_23onesweep_lookback_stateET6_jjj.numbered_sgpr, 53
	.set _ZN7rocprim17ROCPRIM_304000_NS6detail25onesweep_iteration_kernelINS1_34wrapped_radix_sort_onesweep_configINS0_14default_configEaN2at4cuda3cub6detail10OpaqueTypeILi8EEEEELb0EPaSC_PSA_SD_mNS0_19identity_decomposerEEEvT1_T2_T3_T4_jPT5_SK_PNS1_23onesweep_lookback_stateET6_jjj.num_named_barrier, 0
	.set _ZN7rocprim17ROCPRIM_304000_NS6detail25onesweep_iteration_kernelINS1_34wrapped_radix_sort_onesweep_configINS0_14default_configEaN2at4cuda3cub6detail10OpaqueTypeILi8EEEEELb0EPaSC_PSA_SD_mNS0_19identity_decomposerEEEvT1_T2_T3_T4_jPT5_SK_PNS1_23onesweep_lookback_stateET6_jjj.private_seg_size, 0
	.set _ZN7rocprim17ROCPRIM_304000_NS6detail25onesweep_iteration_kernelINS1_34wrapped_radix_sort_onesweep_configINS0_14default_configEaN2at4cuda3cub6detail10OpaqueTypeILi8EEEEELb0EPaSC_PSA_SD_mNS0_19identity_decomposerEEEvT1_T2_T3_T4_jPT5_SK_PNS1_23onesweep_lookback_stateET6_jjj.uses_vcc, 1
	.set _ZN7rocprim17ROCPRIM_304000_NS6detail25onesweep_iteration_kernelINS1_34wrapped_radix_sort_onesweep_configINS0_14default_configEaN2at4cuda3cub6detail10OpaqueTypeILi8EEEEELb0EPaSC_PSA_SD_mNS0_19identity_decomposerEEEvT1_T2_T3_T4_jPT5_SK_PNS1_23onesweep_lookback_stateET6_jjj.uses_flat_scratch, 0
	.set _ZN7rocprim17ROCPRIM_304000_NS6detail25onesweep_iteration_kernelINS1_34wrapped_radix_sort_onesweep_configINS0_14default_configEaN2at4cuda3cub6detail10OpaqueTypeILi8EEEEELb0EPaSC_PSA_SD_mNS0_19identity_decomposerEEEvT1_T2_T3_T4_jPT5_SK_PNS1_23onesweep_lookback_stateET6_jjj.has_dyn_sized_stack, 0
	.set _ZN7rocprim17ROCPRIM_304000_NS6detail25onesweep_iteration_kernelINS1_34wrapped_radix_sort_onesweep_configINS0_14default_configEaN2at4cuda3cub6detail10OpaqueTypeILi8EEEEELb0EPaSC_PSA_SD_mNS0_19identity_decomposerEEEvT1_T2_T3_T4_jPT5_SK_PNS1_23onesweep_lookback_stateET6_jjj.has_recursion, 0
	.set _ZN7rocprim17ROCPRIM_304000_NS6detail25onesweep_iteration_kernelINS1_34wrapped_radix_sort_onesweep_configINS0_14default_configEaN2at4cuda3cub6detail10OpaqueTypeILi8EEEEELb0EPaSC_PSA_SD_mNS0_19identity_decomposerEEEvT1_T2_T3_T4_jPT5_SK_PNS1_23onesweep_lookback_stateET6_jjj.has_indirect_call, 0
	.section	.AMDGPU.csdata,"",@progbits
; Kernel info:
; codeLenInByte = 11084
; TotalNumSgprs: 57
; NumVgprs: 40
; ScratchSize: 0
; MemoryBound: 0
; FloatMode: 240
; IeeeMode: 1
; LDSByteSize: 26624 bytes/workgroup (compile time only)
; SGPRBlocks: 12
; VGPRBlocks: 12
; NumSGPRsForWavesPerEU: 102
; NumVGPRsForWavesPerEU: 49
; Occupancy: 4
; WaveLimiterHint : 1
; COMPUTE_PGM_RSRC2:SCRATCH_EN: 0
; COMPUTE_PGM_RSRC2:USER_SGPR: 6
; COMPUTE_PGM_RSRC2:TRAP_HANDLER: 0
; COMPUTE_PGM_RSRC2:TGID_X_EN: 1
; COMPUTE_PGM_RSRC2:TGID_Y_EN: 0
; COMPUTE_PGM_RSRC2:TGID_Z_EN: 0
; COMPUTE_PGM_RSRC2:TIDIG_COMP_CNT: 2
	.section	.text._ZN7rocprim17ROCPRIM_304000_NS6detail28radix_sort_block_sort_kernelINS1_36wrapped_radix_sort_block_sort_configINS0_13kernel_configILj256ELj4ELj4294967295EEEsN2at4cuda3cub6detail10OpaqueTypeILi8EEEEELb1EPKsPsPKSB_PSB_NS0_19identity_decomposerEEEvT1_T2_T3_T4_jT5_jj,"axG",@progbits,_ZN7rocprim17ROCPRIM_304000_NS6detail28radix_sort_block_sort_kernelINS1_36wrapped_radix_sort_block_sort_configINS0_13kernel_configILj256ELj4ELj4294967295EEEsN2at4cuda3cub6detail10OpaqueTypeILi8EEEEELb1EPKsPsPKSB_PSB_NS0_19identity_decomposerEEEvT1_T2_T3_T4_jT5_jj,comdat
	.protected	_ZN7rocprim17ROCPRIM_304000_NS6detail28radix_sort_block_sort_kernelINS1_36wrapped_radix_sort_block_sort_configINS0_13kernel_configILj256ELj4ELj4294967295EEEsN2at4cuda3cub6detail10OpaqueTypeILi8EEEEELb1EPKsPsPKSB_PSB_NS0_19identity_decomposerEEEvT1_T2_T3_T4_jT5_jj ; -- Begin function _ZN7rocprim17ROCPRIM_304000_NS6detail28radix_sort_block_sort_kernelINS1_36wrapped_radix_sort_block_sort_configINS0_13kernel_configILj256ELj4ELj4294967295EEEsN2at4cuda3cub6detail10OpaqueTypeILi8EEEEELb1EPKsPsPKSB_PSB_NS0_19identity_decomposerEEEvT1_T2_T3_T4_jT5_jj
	.globl	_ZN7rocprim17ROCPRIM_304000_NS6detail28radix_sort_block_sort_kernelINS1_36wrapped_radix_sort_block_sort_configINS0_13kernel_configILj256ELj4ELj4294967295EEEsN2at4cuda3cub6detail10OpaqueTypeILi8EEEEELb1EPKsPsPKSB_PSB_NS0_19identity_decomposerEEEvT1_T2_T3_T4_jT5_jj
	.p2align	8
	.type	_ZN7rocprim17ROCPRIM_304000_NS6detail28radix_sort_block_sort_kernelINS1_36wrapped_radix_sort_block_sort_configINS0_13kernel_configILj256ELj4ELj4294967295EEEsN2at4cuda3cub6detail10OpaqueTypeILi8EEEEELb1EPKsPsPKSB_PSB_NS0_19identity_decomposerEEEvT1_T2_T3_T4_jT5_jj,@function
_ZN7rocprim17ROCPRIM_304000_NS6detail28radix_sort_block_sort_kernelINS1_36wrapped_radix_sort_block_sort_configINS0_13kernel_configILj256ELj4ELj4294967295EEEsN2at4cuda3cub6detail10OpaqueTypeILi8EEEEELb1EPKsPsPKSB_PSB_NS0_19identity_decomposerEEEvT1_T2_T3_T4_jT5_jj: ; @_ZN7rocprim17ROCPRIM_304000_NS6detail28radix_sort_block_sort_kernelINS1_36wrapped_radix_sort_block_sort_configINS0_13kernel_configILj256ELj4ELj4294967295EEEsN2at4cuda3cub6detail10OpaqueTypeILi8EEEEELb1EPKsPsPKSB_PSB_NS0_19identity_decomposerEEEvT1_T2_T3_T4_jT5_jj
; %bb.0:
	s_load_dword s2, s[4:5], 0x20
	s_load_dwordx8 s[36:43], s[4:5], 0x0
	s_lshl_b32 s28, s6, 10
	s_mov_b32 s29, 0
	v_mbcnt_lo_u32_b32 v3, -1, 0
	s_waitcnt lgkmcnt(0)
	s_lshr_b32 s0, s2, 10
	s_cmp_lg_u32 s6, s0
	s_cselect_b64 s[30:31], -1, 0
	s_lshl_b64 s[34:35], s[28:29], 1
	s_add_u32 s1, s36, s34
	v_mbcnt_hi_u32_b32 v9, -1, v3
	s_addc_u32 s3, s37, s35
	v_lshlrev_b32_e32 v10, 2, v0
	v_lshlrev_b32_e32 v3, 1, v9
	v_and_b32_e32 v11, 0x300, v10
	v_mov_b32_e32 v4, s3
	v_add_co_u32_e32 v3, vcc, s1, v3
	v_addc_co_u32_e32 v4, vcc, 0, v4, vcc
	v_lshlrev_b32_e32 v5, 1, v11
	v_add_co_u32_e32 v7, vcc, v3, v5
	s_cmp_eq_u32 s6, s0
	v_addc_co_u32_e32 v8, vcc, 0, v4, vcc
	v_lshlrev_b32_e32 v16, 3, v9
	v_lshlrev_b32_e32 v15, 3, v11
	v_add_u32_e32 v12, v9, v11
	s_cbranch_scc1 .LBB50_2
; %bb.1:
	s_lshl_b64 s[0:1], s[28:29], 3
	s_add_u32 s0, s40, s0
	s_addc_u32 s1, s41, s1
	v_mov_b32_e32 v3, s1
	v_add_co_u32_e32 v4, vcc, s0, v16
	v_addc_co_u32_e32 v3, vcc, 0, v3, vcc
	v_add_co_u32_e32 v5, vcc, v4, v15
	v_addc_co_u32_e32 v6, vcc, 0, v3, vcc
	global_load_ushort v13, v[7:8], off
	global_load_ushort v14, v[7:8], off offset:128
	global_load_ushort v17, v[7:8], off offset:256
	;; [unrolled: 1-line block ×3, first 2 shown]
	global_load_dwordx2 v[3:4], v[5:6], off
	global_load_dwordx2 v[18:19], v[5:6], off offset:512
	global_load_dwordx2 v[20:21], v[5:6], off offset:1024
	;; [unrolled: 1-line block ×3, first 2 shown]
	s_mov_b32 s0, 0x5040100
	s_waitcnt vmcnt(6)
	v_perm_b32 v5, v14, v13, s0
	s_waitcnt vmcnt(4)
	v_perm_b32 v6, v24, v17, s0
	v_add_u32_e32 v17, v9, v11
	v_add_u32_e32 v11, 64, v17
	;; [unrolled: 1-line block ×4, first 2 shown]
	s_sub_i32 s33, s2, s28
	s_cbranch_execz .LBB50_3
	s_branch .LBB50_17
.LBB50_2:
                                        ; implicit-def: $vgpr5_vgpr6
                                        ; implicit-def: $vgpr3_vgpr4
                                        ; implicit-def: $vgpr18_vgpr19
                                        ; implicit-def: $vgpr20_vgpr21
                                        ; implicit-def: $vgpr22_vgpr23
                                        ; implicit-def: $vgpr17
                                        ; implicit-def: $vgpr11
                                        ; implicit-def: $vgpr13
                                        ; implicit-def: $vgpr14
	s_sub_i32 s33, s2, s28
.LBB50_3:
	v_mov_b32_e32 v5, 0x80008000
	v_cmp_gt_u32_e32 vcc, s33, v12
	v_mov_b32_e32 v6, v5
	s_and_saveexec_b64 s[0:1], vcc
	s_cbranch_execz .LBB50_5
; %bb.4:
	global_load_ushort v3, v[7:8], off
	s_movk_i32 s2, 0x8000
	s_waitcnt vmcnt(4)
	v_mov_b32_e32 v4, 0x5040100
	s_waitcnt vmcnt(0)
	v_perm_b32 v3, s2, v3, v4
	v_mov_b32_e32 v4, v5
	v_mov_b32_e32 v6, v4
	v_mov_b32_e32 v5, v3
.LBB50_5:
	s_or_b64 exec, exec, s[0:1]
	v_add_u32_e32 v11, 64, v12
	v_cmp_gt_u32_e64 s[0:1], s33, v11
	s_and_saveexec_b64 s[2:3], s[0:1]
	s_cbranch_execz .LBB50_7
; %bb.6:
	global_load_ushort v3, v[7:8], off offset:128
	s_mov_b32 s6, 0x5040100
	s_waitcnt vmcnt(0)
	v_perm_b32 v5, v3, v5, s6
.LBB50_7:
	s_or_b64 exec, exec, s[2:3]
	v_add_u32_e32 v13, 0x80, v12
	v_cmp_gt_u32_e64 s[2:3], s33, v13
	s_and_saveexec_b64 s[6:7], s[2:3]
	s_cbranch_execz .LBB50_9
; %bb.8:
	global_load_ushort v3, v[7:8], off offset:256
	s_mov_b32 s8, 0xffff
	s_waitcnt vmcnt(0)
	v_bfi_b32 v6, s8, v3, v6
.LBB50_9:
	s_or_b64 exec, exec, s[6:7]
	v_add_u32_e32 v14, 0xc0, v12
	v_cmp_gt_u32_e64 s[6:7], s33, v14
	s_and_saveexec_b64 s[8:9], s[6:7]
	s_cbranch_execz .LBB50_11
; %bb.10:
	global_load_ushort v3, v[7:8], off offset:384
	s_mov_b32 s10, 0x5040100
	s_waitcnt vmcnt(0)
	v_perm_b32 v6, v3, v6, s10
.LBB50_11:
	s_or_b64 exec, exec, s[8:9]
	s_lshl_b64 s[8:9], s[28:29], 3
	s_add_u32 s8, s40, s8
	s_addc_u32 s9, s41, s9
	s_waitcnt vmcnt(3)
	v_mov_b32_e32 v3, s9
	v_add_co_u32_e64 v4, s[8:9], s8, v16
	v_addc_co_u32_e64 v3, s[8:9], 0, v3, s[8:9]
	v_add_co_u32_e64 v7, s[8:9], v4, v15
	v_addc_co_u32_e64 v8, s[8:9], 0, v3, s[8:9]
                                        ; implicit-def: $vgpr3_vgpr4
	s_and_saveexec_b64 s[8:9], vcc
	s_cbranch_execnz .LBB50_54
; %bb.12:
	s_or_b64 exec, exec, s[8:9]
                                        ; implicit-def: $vgpr18_vgpr19
	s_and_saveexec_b64 s[8:9], s[0:1]
	s_cbranch_execnz .LBB50_55
.LBB50_13:
	s_or_b64 exec, exec, s[8:9]
                                        ; implicit-def: $vgpr20_vgpr21
	s_and_saveexec_b64 s[0:1], s[2:3]
	s_cbranch_execnz .LBB50_56
.LBB50_14:
	s_or_b64 exec, exec, s[0:1]
                                        ; implicit-def: $vgpr22_vgpr23
	s_and_saveexec_b64 s[0:1], s[6:7]
	s_cbranch_execz .LBB50_16
.LBB50_15:
	global_load_dwordx2 v[22:23], v[7:8], off offset:1536
.LBB50_16:
	s_or_b64 exec, exec, s[0:1]
	v_mov_b32_e32 v17, v12
.LBB50_17:
	s_load_dwordx2 s[36:37], s[4:5], 0x28
	s_load_dword s0, s[4:5], 0x3c
	s_movk_i32 s2, 0x7fff
	v_xor_b32_e32 v7, 0x7fff, v6
	v_xor_b32_sdwa v6, v6, s2 dst_sel:DWORD dst_unused:UNUSED_PAD src0_sel:WORD_1 src1_sel:DWORD
	v_and_b32_e32 v8, 64, v9
	s_waitcnt lgkmcnt(0)
	s_lshr_b32 s1, s0, 16
	s_and_b32 s0, s0, 0xffff
	v_mad_u32_u24 v1, v2, s1, v1
	v_mad_u64_u32 v[1:2], s[0:1], v1, s0, v[0:1]
	v_xor_b32_e32 v2, 0x7fff, v5
	v_xor_b32_sdwa v5, v5, s2 dst_sel:DWORD dst_unused:UNUSED_PAD src0_sel:WORD_1 src1_sel:DWORD
	v_lshrrev_b32_e32 v1, 4, v1
	v_and_b32_e32 v26, 0xffffffc, v1
	v_and_b32_e32 v1, 15, v9
	v_cmp_eq_u32_e64 s[0:1], 0, v1
	v_cmp_lt_u32_e64 s[2:3], 1, v1
	v_cmp_lt_u32_e64 s[4:5], 3, v1
	;; [unrolled: 1-line block ×3, first 2 shown]
	v_and_b32_e32 v1, 16, v9
	v_cmp_eq_u32_e64 s[8:9], 0, v1
	v_or_b32_e32 v1, 63, v0
	v_cmp_eq_u32_e64 s[12:13], v0, v1
	v_subrev_co_u32_e64 v1, s[18:19], 1, v9
	v_cmp_lt_i32_e32 vcc, v1, v8
	v_and_b32_e32 v8, 3, v9
	v_lshlrev_b32_e32 v25, 2, v10
	v_cmp_lt_u32_e64 s[10:11], 31, v9
	v_cndmask_b32_e32 v1, v1, v9, vcc
	v_cmp_eq_u32_e64 s[22:23], 0, v8
	v_cmp_lt_u32_e64 s[24:25], 1, v8
	v_lshlrev_b32_e32 v31, 1, v11
	v_mul_lo_u32 v8, v17, 6
	v_mul_lo_u32 v9, v11, 6
	;; [unrolled: 1-line block ×4, first 2 shown]
	s_mov_b32 s26, 0
	v_lshlrev_b32_e32 v27, 2, v1
	v_lshrrev_b32_e32 v1, 4, v0
	s_mov_b32 s44, s26
	v_and_b32_e32 v28, 12, v1
	v_mul_i32_i24_e32 v1, -12, v0
	v_lshlrev_b32_e32 v30, 1, v17
	v_lshlrev_b32_e32 v32, 1, v13
	v_lshlrev_b32_e32 v33, 1, v14
	s_mov_b32 s41, 0x5040100
	s_mov_b32 s27, s26
	;; [unrolled: 1-line block ×3, first 2 shown]
	v_mov_b32_e32 v13, s26
	v_mov_b32_e32 v15, s44
	s_add_i32 s40, s37, s36
	v_cmp_gt_u32_e64 s[14:15], 4, v0
	v_cmp_lt_u32_e64 s[16:17], 63, v0
	v_cmp_eq_u32_e64 s[20:21], 0, v0
	v_add_u32_e32 v29, -4, v28
	v_perm_b32 v40, v5, v2, s41
	v_perm_b32 v49, v6, v7, s41
	v_mov_b32_e32 v14, s27
	v_mov_b32_e32 v16, s45
	;; [unrolled: 1-line block ×3, first 2 shown]
	v_add_u32_e32 v34, v25, v1
	v_add_u32_e32 v35, v30, v8
	;; [unrolled: 1-line block ×5, first 2 shown]
	s_branch .LBB50_19
.LBB50_18:                              ;   in Loop: Header=BB50_19 Depth=1
	s_andn2_b64 vcc, exec, s[26:27]
	s_cbranch_vccz .LBB50_35
.LBB50_19:                              ; =>This Inner Loop Header: Depth=1
	s_min_u32 s26, s37, 8
	s_lshl_b32 s26, -1, s26
	s_not_b32 s44, s26
	v_lshrrev_b32_sdwa v1, s36, v40 dst_sel:DWORD dst_unused:UNUSED_PAD src0_sel:DWORD src1_sel:WORD_0
	v_and_b32_e32 v1, s44, v1
	s_waitcnt vmcnt(0)
	v_mov_b32_e32 v12, v4
	v_and_b32_e32 v2, 1, v1
	v_mov_b32_e32 v11, v3
	v_mov_b32_e32 v9, v18
	v_add_co_u32_e32 v4, vcc, -1, v2
	v_mov_b32_e32 v10, v19
	v_addc_co_u32_e64 v18, s[26:27], 0, -1, vcc
	v_cmp_ne_u32_e32 vcc, 0, v2
	v_xor_b32_e32 v2, vcc_hi, v18
	v_lshlrev_b32_e32 v18, 30, v1
	v_xor_b32_e32 v4, vcc_lo, v4
	v_cmp_gt_i64_e32 vcc, 0, v[17:18]
	v_not_b32_e32 v18, v18
	v_ashrrev_i32_e32 v18, 31, v18
	v_and_b32_e32 v4, exec_lo, v4
	v_xor_b32_e32 v19, vcc_hi, v18
	v_xor_b32_e32 v18, vcc_lo, v18
	v_and_b32_e32 v4, v4, v18
	v_lshlrev_b32_e32 v18, 29, v1
	v_cmp_gt_i64_e32 vcc, 0, v[17:18]
	v_not_b32_e32 v18, v18
	v_and_b32_e32 v2, exec_hi, v2
	v_ashrrev_i32_e32 v18, 31, v18
	v_and_b32_e32 v2, v2, v19
	v_xor_b32_e32 v19, vcc_hi, v18
	v_xor_b32_e32 v18, vcc_lo, v18
	v_and_b32_e32 v4, v4, v18
	v_lshlrev_b32_e32 v18, 28, v1
	v_cmp_gt_i64_e32 vcc, 0, v[17:18]
	v_not_b32_e32 v18, v18
	v_ashrrev_i32_e32 v18, 31, v18
	v_and_b32_e32 v2, v2, v19
	v_xor_b32_e32 v19, vcc_hi, v18
	v_xor_b32_e32 v18, vcc_lo, v18
	v_and_b32_e32 v4, v4, v18
	v_lshlrev_b32_e32 v18, 27, v1
	v_cmp_gt_i64_e32 vcc, 0, v[17:18]
	v_not_b32_e32 v18, v18
	;; [unrolled: 8-line block ×4, first 2 shown]
	v_ashrrev_i32_e32 v18, 31, v18
	v_and_b32_e32 v2, v2, v19
	v_xor_b32_e32 v19, vcc_hi, v18
	v_xor_b32_e32 v18, vcc_lo, v18
	v_and_b32_e32 v4, v4, v18
	v_lshlrev_b32_e32 v18, 24, v1
	v_lshlrev_b32_e32 v3, 4, v1
	v_cmp_gt_i64_e32 vcc, 0, v[17:18]
	v_not_b32_e32 v1, v18
	v_ashrrev_i32_e32 v1, 31, v1
	v_xor_b32_e32 v18, vcc_hi, v1
	v_xor_b32_e32 v1, vcc_lo, v1
	v_and_b32_e32 v2, v2, v19
	v_and_b32_e32 v1, v4, v1
	;; [unrolled: 1-line block ×3, first 2 shown]
	v_mbcnt_lo_u32_b32 v4, v1, 0
	v_mbcnt_hi_u32_b32 v19, v2, v4
	v_cmp_ne_u64_e32 vcc, 0, v[1:2]
	v_mov_b32_e32 v7, v20
	v_mov_b32_e32 v5, v22
	v_cmp_eq_u32_e64 s[26:27], 0, v19
	v_mov_b32_e32 v39, v49
	v_mov_b32_e32 v8, v21
	;; [unrolled: 1-line block ×3, first 2 shown]
	s_and_b64 s[46:47], vcc, s[26:27]
	v_add_u32_e32 v20, v26, v3
	ds_write2_b64 v25, v[13:14], v[15:16] offset0:2 offset1:3
	s_waitcnt lgkmcnt(0)
	s_barrier
	; wave barrier
	s_and_saveexec_b64 s[26:27], s[46:47]
; %bb.20:                               ;   in Loop: Header=BB50_19 Depth=1
	v_bcnt_u32_b32 v1, v1, 0
	v_bcnt_u32_b32 v1, v2, v1
	ds_write_b32 v20, v1 offset:16
; %bb.21:                               ;   in Loop: Header=BB50_19 Depth=1
	s_or_b64 exec, exec, s[26:27]
	v_lshrrev_b32_e32 v41, 16, v40
	v_lshrrev_b32_e32 v1, s36, v41
	v_and_b32_e32 v1, s44, v1
	v_lshlrev_b32_e32 v2, 4, v1
	v_add_u32_e32 v22, v26, v2
	v_and_b32_e32 v2, 1, v1
	v_add_co_u32_e32 v3, vcc, -1, v2
	v_addc_co_u32_e64 v4, s[26:27], 0, -1, vcc
	v_cmp_ne_u32_e32 vcc, 0, v2
	v_lshlrev_b32_e32 v18, 30, v1
	v_xor_b32_e32 v2, vcc_hi, v4
	v_xor_b32_e32 v3, vcc_lo, v3
	v_cmp_gt_i64_e32 vcc, 0, v[17:18]
	v_not_b32_e32 v4, v18
	v_ashrrev_i32_e32 v4, 31, v4
	v_and_b32_e32 v2, exec_hi, v2
	v_xor_b32_e32 v18, vcc_hi, v4
	v_and_b32_e32 v3, exec_lo, v3
	v_xor_b32_e32 v4, vcc_lo, v4
	v_and_b32_e32 v2, v2, v18
	v_lshlrev_b32_e32 v18, 29, v1
	v_and_b32_e32 v3, v3, v4
	v_cmp_gt_i64_e32 vcc, 0, v[17:18]
	v_not_b32_e32 v4, v18
	v_ashrrev_i32_e32 v4, 31, v4
	v_xor_b32_e32 v18, vcc_hi, v4
	v_xor_b32_e32 v4, vcc_lo, v4
	v_and_b32_e32 v2, v2, v18
	v_lshlrev_b32_e32 v18, 28, v1
	v_and_b32_e32 v3, v3, v4
	v_cmp_gt_i64_e32 vcc, 0, v[17:18]
	v_not_b32_e32 v4, v18
	v_ashrrev_i32_e32 v4, 31, v4
	v_xor_b32_e32 v18, vcc_hi, v4
	;; [unrolled: 8-line block ×5, first 2 shown]
	v_and_b32_e32 v2, v2, v18
	v_lshlrev_b32_e32 v18, 24, v1
	v_xor_b32_e32 v4, vcc_lo, v4
	v_cmp_gt_i64_e32 vcc, 0, v[17:18]
	v_not_b32_e32 v1, v18
	v_ashrrev_i32_e32 v1, 31, v1
	v_and_b32_e32 v3, v3, v4
	v_xor_b32_e32 v4, vcc_hi, v1
	v_xor_b32_e32 v1, vcc_lo, v1
	; wave barrier
	ds_read_b32 v21, v22 offset:16
	v_and_b32_e32 v1, v3, v1
	v_and_b32_e32 v2, v2, v4
	v_mbcnt_lo_u32_b32 v3, v1, 0
	v_mbcnt_hi_u32_b32 v23, v2, v3
	v_cmp_ne_u64_e32 vcc, 0, v[1:2]
	v_cmp_eq_u32_e64 s[26:27], 0, v23
	s_and_b64 s[46:47], vcc, s[26:27]
	; wave barrier
	s_and_saveexec_b64 s[26:27], s[46:47]
	s_cbranch_execz .LBB50_23
; %bb.22:                               ;   in Loop: Header=BB50_19 Depth=1
	v_bcnt_u32_b32 v1, v1, 0
	v_bcnt_u32_b32 v1, v2, v1
	s_waitcnt lgkmcnt(0)
	v_add_u32_e32 v1, v21, v1
	ds_write_b32 v22, v1 offset:16
.LBB50_23:                              ;   in Loop: Header=BB50_19 Depth=1
	s_or_b64 exec, exec, s[26:27]
	v_lshrrev_b32_sdwa v1, s36, v39 dst_sel:DWORD dst_unused:UNUSED_PAD src0_sel:DWORD src1_sel:WORD_0
	v_and_b32_e32 v1, s44, v1
	v_lshlrev_b32_e32 v2, 4, v1
	v_add_u32_e32 v43, v26, v2
	v_and_b32_e32 v2, 1, v1
	v_add_co_u32_e32 v3, vcc, -1, v2
	v_addc_co_u32_e64 v4, s[26:27], 0, -1, vcc
	v_cmp_ne_u32_e32 vcc, 0, v2
	v_lshlrev_b32_e32 v18, 30, v1
	v_xor_b32_e32 v2, vcc_hi, v4
	v_xor_b32_e32 v3, vcc_lo, v3
	v_cmp_gt_i64_e32 vcc, 0, v[17:18]
	v_not_b32_e32 v4, v18
	v_ashrrev_i32_e32 v4, 31, v4
	v_and_b32_e32 v2, exec_hi, v2
	v_xor_b32_e32 v18, vcc_hi, v4
	v_and_b32_e32 v3, exec_lo, v3
	v_xor_b32_e32 v4, vcc_lo, v4
	v_and_b32_e32 v2, v2, v18
	v_lshlrev_b32_e32 v18, 29, v1
	v_and_b32_e32 v3, v3, v4
	v_cmp_gt_i64_e32 vcc, 0, v[17:18]
	v_not_b32_e32 v4, v18
	v_ashrrev_i32_e32 v4, 31, v4
	v_xor_b32_e32 v18, vcc_hi, v4
	v_xor_b32_e32 v4, vcc_lo, v4
	v_and_b32_e32 v2, v2, v18
	v_lshlrev_b32_e32 v18, 28, v1
	v_and_b32_e32 v3, v3, v4
	v_cmp_gt_i64_e32 vcc, 0, v[17:18]
	v_not_b32_e32 v4, v18
	v_ashrrev_i32_e32 v4, 31, v4
	v_xor_b32_e32 v18, vcc_hi, v4
	;; [unrolled: 8-line block ×5, first 2 shown]
	v_and_b32_e32 v2, v2, v18
	v_lshlrev_b32_e32 v18, 24, v1
	v_xor_b32_e32 v4, vcc_lo, v4
	v_cmp_gt_i64_e32 vcc, 0, v[17:18]
	v_not_b32_e32 v1, v18
	v_ashrrev_i32_e32 v1, 31, v1
	v_and_b32_e32 v3, v3, v4
	v_xor_b32_e32 v4, vcc_hi, v1
	v_xor_b32_e32 v1, vcc_lo, v1
	; wave barrier
	ds_read_b32 v24, v43 offset:16
	v_and_b32_e32 v1, v3, v1
	v_and_b32_e32 v2, v2, v4
	v_mbcnt_lo_u32_b32 v3, v1, 0
	v_mbcnt_hi_u32_b32 v44, v2, v3
	v_cmp_ne_u64_e32 vcc, 0, v[1:2]
	v_cmp_eq_u32_e64 s[26:27], 0, v44
	s_and_b64 s[46:47], vcc, s[26:27]
	; wave barrier
	s_and_saveexec_b64 s[26:27], s[46:47]
	s_cbranch_execz .LBB50_25
; %bb.24:                               ;   in Loop: Header=BB50_19 Depth=1
	v_bcnt_u32_b32 v1, v1, 0
	v_bcnt_u32_b32 v1, v2, v1
	s_waitcnt lgkmcnt(0)
	v_add_u32_e32 v1, v24, v1
	ds_write_b32 v43, v1 offset:16
.LBB50_25:                              ;   in Loop: Header=BB50_19 Depth=1
	s_or_b64 exec, exec, s[26:27]
	v_lshrrev_b32_e32 v42, 16, v39
	v_lshrrev_b32_e32 v1, s36, v42
	v_and_b32_e32 v1, s44, v1
	v_lshlrev_b32_e32 v2, 4, v1
	v_add_u32_e32 v46, v26, v2
	v_and_b32_e32 v2, 1, v1
	v_add_co_u32_e32 v3, vcc, -1, v2
	v_addc_co_u32_e64 v4, s[26:27], 0, -1, vcc
	v_cmp_ne_u32_e32 vcc, 0, v2
	v_lshlrev_b32_e32 v18, 30, v1
	v_xor_b32_e32 v2, vcc_hi, v4
	v_xor_b32_e32 v3, vcc_lo, v3
	v_cmp_gt_i64_e32 vcc, 0, v[17:18]
	v_not_b32_e32 v4, v18
	v_ashrrev_i32_e32 v4, 31, v4
	v_and_b32_e32 v2, exec_hi, v2
	v_xor_b32_e32 v18, vcc_hi, v4
	v_and_b32_e32 v3, exec_lo, v3
	v_xor_b32_e32 v4, vcc_lo, v4
	v_and_b32_e32 v2, v2, v18
	v_lshlrev_b32_e32 v18, 29, v1
	v_and_b32_e32 v3, v3, v4
	v_cmp_gt_i64_e32 vcc, 0, v[17:18]
	v_not_b32_e32 v4, v18
	v_ashrrev_i32_e32 v4, 31, v4
	v_xor_b32_e32 v18, vcc_hi, v4
	v_xor_b32_e32 v4, vcc_lo, v4
	v_and_b32_e32 v2, v2, v18
	v_lshlrev_b32_e32 v18, 28, v1
	v_and_b32_e32 v3, v3, v4
	v_cmp_gt_i64_e32 vcc, 0, v[17:18]
	v_not_b32_e32 v4, v18
	v_ashrrev_i32_e32 v4, 31, v4
	v_xor_b32_e32 v18, vcc_hi, v4
	;; [unrolled: 8-line block ×5, first 2 shown]
	v_and_b32_e32 v2, v2, v18
	v_lshlrev_b32_e32 v18, 24, v1
	v_xor_b32_e32 v4, vcc_lo, v4
	v_cmp_gt_i64_e32 vcc, 0, v[17:18]
	v_not_b32_e32 v1, v18
	v_ashrrev_i32_e32 v1, 31, v1
	v_and_b32_e32 v3, v3, v4
	v_xor_b32_e32 v4, vcc_hi, v1
	v_xor_b32_e32 v1, vcc_lo, v1
	; wave barrier
	ds_read_b32 v45, v46 offset:16
	v_and_b32_e32 v1, v3, v1
	v_and_b32_e32 v2, v2, v4
	v_mbcnt_lo_u32_b32 v3, v1, 0
	v_mbcnt_hi_u32_b32 v18, v2, v3
	v_cmp_ne_u64_e32 vcc, 0, v[1:2]
	v_cmp_eq_u32_e64 s[26:27], 0, v18
	s_and_b64 s[44:45], vcc, s[26:27]
	; wave barrier
	s_and_saveexec_b64 s[26:27], s[44:45]
	s_cbranch_execz .LBB50_27
; %bb.26:                               ;   in Loop: Header=BB50_19 Depth=1
	v_bcnt_u32_b32 v1, v1, 0
	v_bcnt_u32_b32 v1, v2, v1
	s_waitcnt lgkmcnt(0)
	v_add_u32_e32 v1, v45, v1
	ds_write_b32 v46, v1 offset:16
.LBB50_27:                              ;   in Loop: Header=BB50_19 Depth=1
	s_or_b64 exec, exec, s[26:27]
	; wave barrier
	s_waitcnt lgkmcnt(0)
	s_barrier
	ds_read2_b64 v[1:4], v25 offset0:2 offset1:3
	s_waitcnt lgkmcnt(0)
	v_add_u32_e32 v47, v2, v1
	v_add3_u32 v4, v47, v3, v4
	s_nop 1
	v_mov_b32_dpp v47, v4 row_shr:1 row_mask:0xf bank_mask:0xf
	v_cndmask_b32_e64 v47, v47, 0, s[0:1]
	v_add_u32_e32 v4, v47, v4
	s_nop 1
	v_mov_b32_dpp v47, v4 row_shr:2 row_mask:0xf bank_mask:0xf
	v_cndmask_b32_e64 v47, 0, v47, s[2:3]
	v_add_u32_e32 v4, v4, v47
	;; [unrolled: 4-line block ×4, first 2 shown]
	s_nop 1
	v_mov_b32_dpp v47, v4 row_bcast:15 row_mask:0xf bank_mask:0xf
	v_cndmask_b32_e64 v47, v47, 0, s[8:9]
	v_add_u32_e32 v4, v4, v47
	s_nop 1
	v_mov_b32_dpp v47, v4 row_bcast:31 row_mask:0xf bank_mask:0xf
	v_cndmask_b32_e64 v47, 0, v47, s[10:11]
	v_add_u32_e32 v4, v4, v47
	s_and_saveexec_b64 s[26:27], s[12:13]
; %bb.28:                               ;   in Loop: Header=BB50_19 Depth=1
	ds_write_b32 v28, v4
; %bb.29:                               ;   in Loop: Header=BB50_19 Depth=1
	s_or_b64 exec, exec, s[26:27]
	s_waitcnt lgkmcnt(0)
	s_barrier
	s_and_saveexec_b64 s[26:27], s[14:15]
	s_cbranch_execz .LBB50_31
; %bb.30:                               ;   in Loop: Header=BB50_19 Depth=1
	ds_read_b32 v47, v34
	s_waitcnt lgkmcnt(0)
	s_nop 0
	v_mov_b32_dpp v48, v47 row_shr:1 row_mask:0xf bank_mask:0xf
	v_cndmask_b32_e64 v48, v48, 0, s[22:23]
	v_add_u32_e32 v47, v48, v47
	s_nop 1
	v_mov_b32_dpp v48, v47 row_shr:2 row_mask:0xf bank_mask:0xf
	v_cndmask_b32_e64 v48, 0, v48, s[24:25]
	v_add_u32_e32 v47, v47, v48
	ds_write_b32 v34, v47
.LBB50_31:                              ;   in Loop: Header=BB50_19 Depth=1
	s_or_b64 exec, exec, s[26:27]
	v_mov_b32_e32 v47, 0
	s_waitcnt lgkmcnt(0)
	s_barrier
	s_and_saveexec_b64 s[26:27], s[16:17]
; %bb.32:                               ;   in Loop: Header=BB50_19 Depth=1
	ds_read_b32 v47, v29
; %bb.33:                               ;   in Loop: Header=BB50_19 Depth=1
	s_or_b64 exec, exec, s[26:27]
	s_waitcnt lgkmcnt(0)
	v_add_u32_e32 v4, v47, v4
	ds_bpermute_b32 v4, v27, v4
	s_add_i32 s36, s36, 8
	s_cmp_ge_u32 s36, s40
	s_mov_b64 s[26:27], -1
                                        ; implicit-def: $vgpr49
	s_waitcnt lgkmcnt(0)
	v_cndmask_b32_e64 v4, v4, v47, s[18:19]
	v_cndmask_b32_e64 v47, v4, 0, s[20:21]
	v_add_u32_e32 v48, v47, v1
	v_add_u32_e32 v1, v48, v2
	;; [unrolled: 1-line block ×3, first 2 shown]
	ds_write2_b64 v25, v[47:48], v[1:2] offset0:2 offset1:3
	s_waitcnt lgkmcnt(0)
	s_barrier
	ds_read_b32 v1, v20 offset:16
	ds_read_b32 v2, v22 offset:16
	;; [unrolled: 1-line block ×4, first 2 shown]
	v_mov_b32_e32 v48, v40
	s_waitcnt lgkmcnt(3)
	v_add_u32_e32 v1, v1, v19
	v_mul_lo_u32 v47, v1, 6
	s_waitcnt lgkmcnt(2)
	v_add3_u32 v46, v23, v21, v2
	s_waitcnt lgkmcnt(1)
	v_add3_u32 v44, v44, v24, v3
	;; [unrolled: 2-line block ×3, first 2 shown]
	v_lshlrev_b32_e32 v45, 1, v1
	v_lshlrev_b32_e32 v2, 1, v46
	;; [unrolled: 1-line block ×4, first 2 shown]
                                        ; implicit-def: $vgpr3_vgpr4
                                        ; implicit-def: $vgpr18_vgpr19
                                        ; implicit-def: $vgpr20_vgpr21
                                        ; implicit-def: $vgpr22_vgpr23
	s_cbranch_scc1 .LBB50_18
; %bb.34:                               ;   in Loop: Header=BB50_19 Depth=1
	v_mad_u64_u32 v[3:4], s[26:27], v46, 6, v[2:3]
	v_mad_u64_u32 v[18:19], s[26:27], v44, 6, v[24:25]
	v_add_u32_e32 v21, v45, v47
	v_mad_u64_u32 v[19:20], s[26:27], v43, 6, v[1:2]
	s_barrier
	ds_write_b16 v45, v40
	ds_write_b16 v2, v41
	;; [unrolled: 1-line block ×4, first 2 shown]
	s_waitcnt lgkmcnt(0)
	s_barrier
	ds_read_u16 v40, v30
	ds_read_u16 v49, v31
	ds_read_u16 v50, v32
	ds_read_u16 v51, v33
	s_waitcnt lgkmcnt(0)
	s_barrier
	ds_write_b64 v21, v[11:12]
	ds_write_b64 v3, v[9:10]
	;; [unrolled: 1-line block ×4, first 2 shown]
	s_waitcnt lgkmcnt(0)
	s_barrier
	ds_read_b64 v[3:4], v35
	ds_read_b64 v[18:19], v36
	;; [unrolled: 1-line block ×4, first 2 shown]
	v_perm_b32 v40, v49, v40, s41
	v_perm_b32 v49, v51, v50, s41
	s_add_i32 s37, s37, -8
	s_mov_b64 s[26:27], 0
	s_waitcnt lgkmcnt(0)
	s_barrier
	s_branch .LBB50_18
.LBB50_35:
	s_barrier
	ds_write_b16 v45, v48
	ds_write_b16 v2, v41
	;; [unrolled: 1-line block ×4, first 2 shown]
	v_mad_u64_u32 v[2:3], s[0:1], v46, 6, v[2:3]
	v_lshlrev_b32_e32 v16, 1, v0
	v_mad_u64_u32 v[3:4], s[0:1], v44, 6, v[24:25]
	s_waitcnt lgkmcnt(0)
	s_barrier
	ds_read_u16 v15, v16
	ds_read_u16 v17, v16 offset:512
	ds_read_u16 v18, v16 offset:1024
	;; [unrolled: 1-line block ×3, first 2 shown]
	v_add_u32_e32 v20, v45, v47
	v_mad_u64_u32 v[13:14], s[0:1], v43, 6, v[1:2]
	v_mad_u32_u24 v1, v0, 6, v16
	s_waitcnt lgkmcnt(0)
	s_barrier
	ds_write_b64 v20, v[11:12]
	ds_write_b64 v2, v[9:10]
	;; [unrolled: 1-line block ×4, first 2 shown]
	s_waitcnt lgkmcnt(0)
	s_barrier
	ds_read2st64_b64 v[5:8], v1 offset1:4
	ds_read2st64_b64 v[1:4], v1 offset0:8 offset1:12
	s_add_u32 s0, s38, s34
	s_addc_u32 s1, s39, s35
	v_mov_b32_e32 v10, s1
	v_add_co_u32_e32 v9, vcc, s0, v16
	v_addc_co_u32_e32 v10, vcc, 0, v10, vcc
	v_xor_b32_e32 v15, 0x7fff, v15
	v_xor_b32_e32 v14, 0x7fff, v17
	;; [unrolled: 1-line block ×4, first 2 shown]
	s_andn2_b64 vcc, exec, s[30:31]
	v_lshlrev_b32_e32 v11, 3, v0
	s_cbranch_vccnz .LBB50_37
; %bb.36:
	s_lshl_b64 s[0:1], s[28:29], 3
	s_add_u32 s0, s42, s0
	s_addc_u32 s1, s43, s1
	v_mov_b32_e32 v16, s1
	v_add_co_u32_e32 v17, vcc, s0, v11
	v_addc_co_u32_e32 v18, vcc, 0, v16, vcc
	v_add_co_u32_e32 v16, vcc, 0x1000, v17
	global_store_short v[9:10], v15, off
	global_store_short v[9:10], v14, off offset:512
	global_store_short v[9:10], v13, off offset:1024
	;; [unrolled: 1-line block ×3, first 2 shown]
	s_waitcnt lgkmcnt(1)
	global_store_dwordx2 v11, v[5:6], s[0:1]
	global_store_dwordx2 v11, v[7:8], s[0:1] offset:2048
	v_addc_co_u32_e32 v17, vcc, 0, v18, vcc
	s_mov_b64 s[6:7], -1
	s_waitcnt lgkmcnt(0)
	global_store_dwordx2 v[16:17], v[1:2], off
	s_cbranch_execz .LBB50_38
	s_branch .LBB50_51
.LBB50_37:
	s_mov_b64 s[6:7], 0
.LBB50_38:
	v_cmp_gt_u32_e32 vcc, s33, v0
	s_and_saveexec_b64 s[0:1], vcc
	s_cbranch_execz .LBB50_40
; %bb.39:
	global_store_short v[9:10], v15, off
.LBB50_40:
	s_or_b64 exec, exec, s[0:1]
	v_or_b32_e32 v15, 0x100, v0
	v_cmp_gt_u32_e64 s[0:1], s33, v15
	s_and_saveexec_b64 s[2:3], s[0:1]
	s_cbranch_execz .LBB50_42
; %bb.41:
	global_store_short v[9:10], v14, off offset:512
.LBB50_42:
	s_or_b64 exec, exec, s[2:3]
	v_or_b32_e32 v14, 0x200, v0
	v_cmp_gt_u32_e64 s[2:3], s33, v14
	s_and_saveexec_b64 s[4:5], s[2:3]
	s_cbranch_execz .LBB50_44
; %bb.43:
	global_store_short v[9:10], v13, off offset:1024
.LBB50_44:
	;; [unrolled: 8-line block ×3, first 2 shown]
	s_or_b64 exec, exec, s[4:5]
	s_lshl_b64 s[4:5], s[28:29], 3
	s_add_u32 s4, s42, s4
	s_addc_u32 s5, s43, s5
	v_mov_b32_e32 v0, s5
	v_add_co_u32_e64 v9, s[4:5], s4, v11
	v_addc_co_u32_e64 v10, s[4:5], 0, v0, s[4:5]
	s_and_saveexec_b64 s[4:5], vcc
	s_cbranch_execnz .LBB50_57
; %bb.47:
	s_or_b64 exec, exec, s[4:5]
	s_and_saveexec_b64 s[4:5], s[0:1]
	s_cbranch_execnz .LBB50_58
.LBB50_48:
	s_or_b64 exec, exec, s[4:5]
	s_and_saveexec_b64 s[0:1], s[2:3]
	s_cbranch_execz .LBB50_50
.LBB50_49:
	s_waitcnt lgkmcnt(1)
	v_add_co_u32_e32 v5, vcc, 0x1000, v9
	v_addc_co_u32_e32 v6, vcc, 0, v10, vcc
	s_waitcnt lgkmcnt(0)
	global_store_dwordx2 v[5:6], v[1:2], off
.LBB50_50:
	s_or_b64 exec, exec, s[0:1]
.LBB50_51:
	s_and_saveexec_b64 s[0:1], s[6:7]
	s_cbranch_execnz .LBB50_53
; %bb.52:
	s_endpgm
.LBB50_53:
	s_lshl_b64 s[0:1], s[28:29], 3
	s_add_u32 s0, s42, s0
	s_addc_u32 s1, s43, s1
	v_mov_b32_e32 v0, s1
	s_waitcnt lgkmcnt(0)
	v_add_co_u32_e32 v1, vcc, s0, v11
	v_addc_co_u32_e32 v2, vcc, 0, v0, vcc
	v_add_co_u32_e32 v0, vcc, 0x1000, v1
	v_addc_co_u32_e32 v1, vcc, 0, v2, vcc
	global_store_dwordx2 v[0:1], v[3:4], off offset:2048
	s_endpgm
.LBB50_54:
	global_load_dwordx2 v[3:4], v[7:8], off
	s_or_b64 exec, exec, s[8:9]
                                        ; implicit-def: $vgpr18_vgpr19
	s_and_saveexec_b64 s[8:9], s[0:1]
	s_cbranch_execz .LBB50_13
.LBB50_55:
	global_load_dwordx2 v[18:19], v[7:8], off offset:512
	s_or_b64 exec, exec, s[8:9]
                                        ; implicit-def: $vgpr20_vgpr21
	s_and_saveexec_b64 s[0:1], s[2:3]
	s_cbranch_execz .LBB50_14
.LBB50_56:
	global_load_dwordx2 v[20:21], v[7:8], off offset:1024
	s_or_b64 exec, exec, s[0:1]
                                        ; implicit-def: $vgpr22_vgpr23
	s_and_saveexec_b64 s[0:1], s[6:7]
	s_cbranch_execnz .LBB50_15
	s_branch .LBB50_16
.LBB50_57:
	s_waitcnt lgkmcnt(1)
	global_store_dwordx2 v[9:10], v[5:6], off
	s_or_b64 exec, exec, s[4:5]
	s_and_saveexec_b64 s[4:5], s[0:1]
	s_cbranch_execz .LBB50_48
.LBB50_58:
	s_waitcnt lgkmcnt(1)
	global_store_dwordx2 v[9:10], v[7:8], off offset:2048
	s_or_b64 exec, exec, s[4:5]
	s_and_saveexec_b64 s[0:1], s[2:3]
	s_cbranch_execnz .LBB50_49
	s_branch .LBB50_50
	.section	.rodata,"a",@progbits
	.p2align	6, 0x0
	.amdhsa_kernel _ZN7rocprim17ROCPRIM_304000_NS6detail28radix_sort_block_sort_kernelINS1_36wrapped_radix_sort_block_sort_configINS0_13kernel_configILj256ELj4ELj4294967295EEEsN2at4cuda3cub6detail10OpaqueTypeILi8EEEEELb1EPKsPsPKSB_PSB_NS0_19identity_decomposerEEEvT1_T2_T3_T4_jT5_jj
		.amdhsa_group_segment_fixed_size 8192
		.amdhsa_private_segment_fixed_size 0
		.amdhsa_kernarg_size 304
		.amdhsa_user_sgpr_count 6
		.amdhsa_user_sgpr_private_segment_buffer 1
		.amdhsa_user_sgpr_dispatch_ptr 0
		.amdhsa_user_sgpr_queue_ptr 0
		.amdhsa_user_sgpr_kernarg_segment_ptr 1
		.amdhsa_user_sgpr_dispatch_id 0
		.amdhsa_user_sgpr_flat_scratch_init 0
		.amdhsa_user_sgpr_private_segment_size 0
		.amdhsa_uses_dynamic_stack 0
		.amdhsa_system_sgpr_private_segment_wavefront_offset 0
		.amdhsa_system_sgpr_workgroup_id_x 1
		.amdhsa_system_sgpr_workgroup_id_y 0
		.amdhsa_system_sgpr_workgroup_id_z 0
		.amdhsa_system_sgpr_workgroup_info 0
		.amdhsa_system_vgpr_workitem_id 2
		.amdhsa_next_free_vgpr 52
		.amdhsa_next_free_sgpr 61
		.amdhsa_reserve_vcc 1
		.amdhsa_reserve_flat_scratch 0
		.amdhsa_float_round_mode_32 0
		.amdhsa_float_round_mode_16_64 0
		.amdhsa_float_denorm_mode_32 3
		.amdhsa_float_denorm_mode_16_64 3
		.amdhsa_dx10_clamp 1
		.amdhsa_ieee_mode 1
		.amdhsa_fp16_overflow 0
		.amdhsa_exception_fp_ieee_invalid_op 0
		.amdhsa_exception_fp_denorm_src 0
		.amdhsa_exception_fp_ieee_div_zero 0
		.amdhsa_exception_fp_ieee_overflow 0
		.amdhsa_exception_fp_ieee_underflow 0
		.amdhsa_exception_fp_ieee_inexact 0
		.amdhsa_exception_int_div_zero 0
	.end_amdhsa_kernel
	.section	.text._ZN7rocprim17ROCPRIM_304000_NS6detail28radix_sort_block_sort_kernelINS1_36wrapped_radix_sort_block_sort_configINS0_13kernel_configILj256ELj4ELj4294967295EEEsN2at4cuda3cub6detail10OpaqueTypeILi8EEEEELb1EPKsPsPKSB_PSB_NS0_19identity_decomposerEEEvT1_T2_T3_T4_jT5_jj,"axG",@progbits,_ZN7rocprim17ROCPRIM_304000_NS6detail28radix_sort_block_sort_kernelINS1_36wrapped_radix_sort_block_sort_configINS0_13kernel_configILj256ELj4ELj4294967295EEEsN2at4cuda3cub6detail10OpaqueTypeILi8EEEEELb1EPKsPsPKSB_PSB_NS0_19identity_decomposerEEEvT1_T2_T3_T4_jT5_jj,comdat
.Lfunc_end50:
	.size	_ZN7rocprim17ROCPRIM_304000_NS6detail28radix_sort_block_sort_kernelINS1_36wrapped_radix_sort_block_sort_configINS0_13kernel_configILj256ELj4ELj4294967295EEEsN2at4cuda3cub6detail10OpaqueTypeILi8EEEEELb1EPKsPsPKSB_PSB_NS0_19identity_decomposerEEEvT1_T2_T3_T4_jT5_jj, .Lfunc_end50-_ZN7rocprim17ROCPRIM_304000_NS6detail28radix_sort_block_sort_kernelINS1_36wrapped_radix_sort_block_sort_configINS0_13kernel_configILj256ELj4ELj4294967295EEEsN2at4cuda3cub6detail10OpaqueTypeILi8EEEEELb1EPKsPsPKSB_PSB_NS0_19identity_decomposerEEEvT1_T2_T3_T4_jT5_jj
                                        ; -- End function
	.set _ZN7rocprim17ROCPRIM_304000_NS6detail28radix_sort_block_sort_kernelINS1_36wrapped_radix_sort_block_sort_configINS0_13kernel_configILj256ELj4ELj4294967295EEEsN2at4cuda3cub6detail10OpaqueTypeILi8EEEEELb1EPKsPsPKSB_PSB_NS0_19identity_decomposerEEEvT1_T2_T3_T4_jT5_jj.num_vgpr, 52
	.set _ZN7rocprim17ROCPRIM_304000_NS6detail28radix_sort_block_sort_kernelINS1_36wrapped_radix_sort_block_sort_configINS0_13kernel_configILj256ELj4ELj4294967295EEEsN2at4cuda3cub6detail10OpaqueTypeILi8EEEEELb1EPKsPsPKSB_PSB_NS0_19identity_decomposerEEEvT1_T2_T3_T4_jT5_jj.num_agpr, 0
	.set _ZN7rocprim17ROCPRIM_304000_NS6detail28radix_sort_block_sort_kernelINS1_36wrapped_radix_sort_block_sort_configINS0_13kernel_configILj256ELj4ELj4294967295EEEsN2at4cuda3cub6detail10OpaqueTypeILi8EEEEELb1EPKsPsPKSB_PSB_NS0_19identity_decomposerEEEvT1_T2_T3_T4_jT5_jj.numbered_sgpr, 48
	.set _ZN7rocprim17ROCPRIM_304000_NS6detail28radix_sort_block_sort_kernelINS1_36wrapped_radix_sort_block_sort_configINS0_13kernel_configILj256ELj4ELj4294967295EEEsN2at4cuda3cub6detail10OpaqueTypeILi8EEEEELb1EPKsPsPKSB_PSB_NS0_19identity_decomposerEEEvT1_T2_T3_T4_jT5_jj.num_named_barrier, 0
	.set _ZN7rocprim17ROCPRIM_304000_NS6detail28radix_sort_block_sort_kernelINS1_36wrapped_radix_sort_block_sort_configINS0_13kernel_configILj256ELj4ELj4294967295EEEsN2at4cuda3cub6detail10OpaqueTypeILi8EEEEELb1EPKsPsPKSB_PSB_NS0_19identity_decomposerEEEvT1_T2_T3_T4_jT5_jj.private_seg_size, 0
	.set _ZN7rocprim17ROCPRIM_304000_NS6detail28radix_sort_block_sort_kernelINS1_36wrapped_radix_sort_block_sort_configINS0_13kernel_configILj256ELj4ELj4294967295EEEsN2at4cuda3cub6detail10OpaqueTypeILi8EEEEELb1EPKsPsPKSB_PSB_NS0_19identity_decomposerEEEvT1_T2_T3_T4_jT5_jj.uses_vcc, 1
	.set _ZN7rocprim17ROCPRIM_304000_NS6detail28radix_sort_block_sort_kernelINS1_36wrapped_radix_sort_block_sort_configINS0_13kernel_configILj256ELj4ELj4294967295EEEsN2at4cuda3cub6detail10OpaqueTypeILi8EEEEELb1EPKsPsPKSB_PSB_NS0_19identity_decomposerEEEvT1_T2_T3_T4_jT5_jj.uses_flat_scratch, 0
	.set _ZN7rocprim17ROCPRIM_304000_NS6detail28radix_sort_block_sort_kernelINS1_36wrapped_radix_sort_block_sort_configINS0_13kernel_configILj256ELj4ELj4294967295EEEsN2at4cuda3cub6detail10OpaqueTypeILi8EEEEELb1EPKsPsPKSB_PSB_NS0_19identity_decomposerEEEvT1_T2_T3_T4_jT5_jj.has_dyn_sized_stack, 0
	.set _ZN7rocprim17ROCPRIM_304000_NS6detail28radix_sort_block_sort_kernelINS1_36wrapped_radix_sort_block_sort_configINS0_13kernel_configILj256ELj4ELj4294967295EEEsN2at4cuda3cub6detail10OpaqueTypeILi8EEEEELb1EPKsPsPKSB_PSB_NS0_19identity_decomposerEEEvT1_T2_T3_T4_jT5_jj.has_recursion, 0
	.set _ZN7rocprim17ROCPRIM_304000_NS6detail28radix_sort_block_sort_kernelINS1_36wrapped_radix_sort_block_sort_configINS0_13kernel_configILj256ELj4ELj4294967295EEEsN2at4cuda3cub6detail10OpaqueTypeILi8EEEEELb1EPKsPsPKSB_PSB_NS0_19identity_decomposerEEEvT1_T2_T3_T4_jT5_jj.has_indirect_call, 0
	.section	.AMDGPU.csdata,"",@progbits
; Kernel info:
; codeLenInByte = 4028
; TotalNumSgprs: 52
; NumVgprs: 52
; ScratchSize: 0
; MemoryBound: 0
; FloatMode: 240
; IeeeMode: 1
; LDSByteSize: 8192 bytes/workgroup (compile time only)
; SGPRBlocks: 8
; VGPRBlocks: 12
; NumSGPRsForWavesPerEU: 65
; NumVGPRsForWavesPerEU: 52
; Occupancy: 4
; WaveLimiterHint : 1
; COMPUTE_PGM_RSRC2:SCRATCH_EN: 0
; COMPUTE_PGM_RSRC2:USER_SGPR: 6
; COMPUTE_PGM_RSRC2:TRAP_HANDLER: 0
; COMPUTE_PGM_RSRC2:TGID_X_EN: 1
; COMPUTE_PGM_RSRC2:TGID_Y_EN: 0
; COMPUTE_PGM_RSRC2:TGID_Z_EN: 0
; COMPUTE_PGM_RSRC2:TIDIG_COMP_CNT: 2
	.section	.text._ZN7rocprim17ROCPRIM_304000_NS6detail39device_merge_sort_compile_time_verifierINS1_36wrapped_merge_sort_block_sort_configINS1_28merge_sort_block_sort_configILj256ELj4ELNS0_20block_sort_algorithmE0EEEsN2at4cuda3cub6detail10OpaqueTypeILi8EEEEENS1_37wrapped_merge_sort_block_merge_configINS0_14default_configEsSC_EEEEvv,"axG",@progbits,_ZN7rocprim17ROCPRIM_304000_NS6detail39device_merge_sort_compile_time_verifierINS1_36wrapped_merge_sort_block_sort_configINS1_28merge_sort_block_sort_configILj256ELj4ELNS0_20block_sort_algorithmE0EEEsN2at4cuda3cub6detail10OpaqueTypeILi8EEEEENS1_37wrapped_merge_sort_block_merge_configINS0_14default_configEsSC_EEEEvv,comdat
	.protected	_ZN7rocprim17ROCPRIM_304000_NS6detail39device_merge_sort_compile_time_verifierINS1_36wrapped_merge_sort_block_sort_configINS1_28merge_sort_block_sort_configILj256ELj4ELNS0_20block_sort_algorithmE0EEEsN2at4cuda3cub6detail10OpaqueTypeILi8EEEEENS1_37wrapped_merge_sort_block_merge_configINS0_14default_configEsSC_EEEEvv ; -- Begin function _ZN7rocprim17ROCPRIM_304000_NS6detail39device_merge_sort_compile_time_verifierINS1_36wrapped_merge_sort_block_sort_configINS1_28merge_sort_block_sort_configILj256ELj4ELNS0_20block_sort_algorithmE0EEEsN2at4cuda3cub6detail10OpaqueTypeILi8EEEEENS1_37wrapped_merge_sort_block_merge_configINS0_14default_configEsSC_EEEEvv
	.globl	_ZN7rocprim17ROCPRIM_304000_NS6detail39device_merge_sort_compile_time_verifierINS1_36wrapped_merge_sort_block_sort_configINS1_28merge_sort_block_sort_configILj256ELj4ELNS0_20block_sort_algorithmE0EEEsN2at4cuda3cub6detail10OpaqueTypeILi8EEEEENS1_37wrapped_merge_sort_block_merge_configINS0_14default_configEsSC_EEEEvv
	.p2align	8
	.type	_ZN7rocprim17ROCPRIM_304000_NS6detail39device_merge_sort_compile_time_verifierINS1_36wrapped_merge_sort_block_sort_configINS1_28merge_sort_block_sort_configILj256ELj4ELNS0_20block_sort_algorithmE0EEEsN2at4cuda3cub6detail10OpaqueTypeILi8EEEEENS1_37wrapped_merge_sort_block_merge_configINS0_14default_configEsSC_EEEEvv,@function
_ZN7rocprim17ROCPRIM_304000_NS6detail39device_merge_sort_compile_time_verifierINS1_36wrapped_merge_sort_block_sort_configINS1_28merge_sort_block_sort_configILj256ELj4ELNS0_20block_sort_algorithmE0EEEsN2at4cuda3cub6detail10OpaqueTypeILi8EEEEENS1_37wrapped_merge_sort_block_merge_configINS0_14default_configEsSC_EEEEvv: ; @_ZN7rocprim17ROCPRIM_304000_NS6detail39device_merge_sort_compile_time_verifierINS1_36wrapped_merge_sort_block_sort_configINS1_28merge_sort_block_sort_configILj256ELj4ELNS0_20block_sort_algorithmE0EEEsN2at4cuda3cub6detail10OpaqueTypeILi8EEEEENS1_37wrapped_merge_sort_block_merge_configINS0_14default_configEsSC_EEEEvv
; %bb.0:
	s_endpgm
	.section	.rodata,"a",@progbits
	.p2align	6, 0x0
	.amdhsa_kernel _ZN7rocprim17ROCPRIM_304000_NS6detail39device_merge_sort_compile_time_verifierINS1_36wrapped_merge_sort_block_sort_configINS1_28merge_sort_block_sort_configILj256ELj4ELNS0_20block_sort_algorithmE0EEEsN2at4cuda3cub6detail10OpaqueTypeILi8EEEEENS1_37wrapped_merge_sort_block_merge_configINS0_14default_configEsSC_EEEEvv
		.amdhsa_group_segment_fixed_size 0
		.amdhsa_private_segment_fixed_size 0
		.amdhsa_kernarg_size 0
		.amdhsa_user_sgpr_count 4
		.amdhsa_user_sgpr_private_segment_buffer 1
		.amdhsa_user_sgpr_dispatch_ptr 0
		.amdhsa_user_sgpr_queue_ptr 0
		.amdhsa_user_sgpr_kernarg_segment_ptr 0
		.amdhsa_user_sgpr_dispatch_id 0
		.amdhsa_user_sgpr_flat_scratch_init 0
		.amdhsa_user_sgpr_private_segment_size 0
		.amdhsa_uses_dynamic_stack 0
		.amdhsa_system_sgpr_private_segment_wavefront_offset 0
		.amdhsa_system_sgpr_workgroup_id_x 1
		.amdhsa_system_sgpr_workgroup_id_y 0
		.amdhsa_system_sgpr_workgroup_id_z 0
		.amdhsa_system_sgpr_workgroup_info 0
		.amdhsa_system_vgpr_workitem_id 0
		.amdhsa_next_free_vgpr 1
		.amdhsa_next_free_sgpr 0
		.amdhsa_reserve_vcc 0
		.amdhsa_reserve_flat_scratch 0
		.amdhsa_float_round_mode_32 0
		.amdhsa_float_round_mode_16_64 0
		.amdhsa_float_denorm_mode_32 3
		.amdhsa_float_denorm_mode_16_64 3
		.amdhsa_dx10_clamp 1
		.amdhsa_ieee_mode 1
		.amdhsa_fp16_overflow 0
		.amdhsa_exception_fp_ieee_invalid_op 0
		.amdhsa_exception_fp_denorm_src 0
		.amdhsa_exception_fp_ieee_div_zero 0
		.amdhsa_exception_fp_ieee_overflow 0
		.amdhsa_exception_fp_ieee_underflow 0
		.amdhsa_exception_fp_ieee_inexact 0
		.amdhsa_exception_int_div_zero 0
	.end_amdhsa_kernel
	.section	.text._ZN7rocprim17ROCPRIM_304000_NS6detail39device_merge_sort_compile_time_verifierINS1_36wrapped_merge_sort_block_sort_configINS1_28merge_sort_block_sort_configILj256ELj4ELNS0_20block_sort_algorithmE0EEEsN2at4cuda3cub6detail10OpaqueTypeILi8EEEEENS1_37wrapped_merge_sort_block_merge_configINS0_14default_configEsSC_EEEEvv,"axG",@progbits,_ZN7rocprim17ROCPRIM_304000_NS6detail39device_merge_sort_compile_time_verifierINS1_36wrapped_merge_sort_block_sort_configINS1_28merge_sort_block_sort_configILj256ELj4ELNS0_20block_sort_algorithmE0EEEsN2at4cuda3cub6detail10OpaqueTypeILi8EEEEENS1_37wrapped_merge_sort_block_merge_configINS0_14default_configEsSC_EEEEvv,comdat
.Lfunc_end51:
	.size	_ZN7rocprim17ROCPRIM_304000_NS6detail39device_merge_sort_compile_time_verifierINS1_36wrapped_merge_sort_block_sort_configINS1_28merge_sort_block_sort_configILj256ELj4ELNS0_20block_sort_algorithmE0EEEsN2at4cuda3cub6detail10OpaqueTypeILi8EEEEENS1_37wrapped_merge_sort_block_merge_configINS0_14default_configEsSC_EEEEvv, .Lfunc_end51-_ZN7rocprim17ROCPRIM_304000_NS6detail39device_merge_sort_compile_time_verifierINS1_36wrapped_merge_sort_block_sort_configINS1_28merge_sort_block_sort_configILj256ELj4ELNS0_20block_sort_algorithmE0EEEsN2at4cuda3cub6detail10OpaqueTypeILi8EEEEENS1_37wrapped_merge_sort_block_merge_configINS0_14default_configEsSC_EEEEvv
                                        ; -- End function
	.set _ZN7rocprim17ROCPRIM_304000_NS6detail39device_merge_sort_compile_time_verifierINS1_36wrapped_merge_sort_block_sort_configINS1_28merge_sort_block_sort_configILj256ELj4ELNS0_20block_sort_algorithmE0EEEsN2at4cuda3cub6detail10OpaqueTypeILi8EEEEENS1_37wrapped_merge_sort_block_merge_configINS0_14default_configEsSC_EEEEvv.num_vgpr, 0
	.set _ZN7rocprim17ROCPRIM_304000_NS6detail39device_merge_sort_compile_time_verifierINS1_36wrapped_merge_sort_block_sort_configINS1_28merge_sort_block_sort_configILj256ELj4ELNS0_20block_sort_algorithmE0EEEsN2at4cuda3cub6detail10OpaqueTypeILi8EEEEENS1_37wrapped_merge_sort_block_merge_configINS0_14default_configEsSC_EEEEvv.num_agpr, 0
	.set _ZN7rocprim17ROCPRIM_304000_NS6detail39device_merge_sort_compile_time_verifierINS1_36wrapped_merge_sort_block_sort_configINS1_28merge_sort_block_sort_configILj256ELj4ELNS0_20block_sort_algorithmE0EEEsN2at4cuda3cub6detail10OpaqueTypeILi8EEEEENS1_37wrapped_merge_sort_block_merge_configINS0_14default_configEsSC_EEEEvv.numbered_sgpr, 0
	.set _ZN7rocprim17ROCPRIM_304000_NS6detail39device_merge_sort_compile_time_verifierINS1_36wrapped_merge_sort_block_sort_configINS1_28merge_sort_block_sort_configILj256ELj4ELNS0_20block_sort_algorithmE0EEEsN2at4cuda3cub6detail10OpaqueTypeILi8EEEEENS1_37wrapped_merge_sort_block_merge_configINS0_14default_configEsSC_EEEEvv.num_named_barrier, 0
	.set _ZN7rocprim17ROCPRIM_304000_NS6detail39device_merge_sort_compile_time_verifierINS1_36wrapped_merge_sort_block_sort_configINS1_28merge_sort_block_sort_configILj256ELj4ELNS0_20block_sort_algorithmE0EEEsN2at4cuda3cub6detail10OpaqueTypeILi8EEEEENS1_37wrapped_merge_sort_block_merge_configINS0_14default_configEsSC_EEEEvv.private_seg_size, 0
	.set _ZN7rocprim17ROCPRIM_304000_NS6detail39device_merge_sort_compile_time_verifierINS1_36wrapped_merge_sort_block_sort_configINS1_28merge_sort_block_sort_configILj256ELj4ELNS0_20block_sort_algorithmE0EEEsN2at4cuda3cub6detail10OpaqueTypeILi8EEEEENS1_37wrapped_merge_sort_block_merge_configINS0_14default_configEsSC_EEEEvv.uses_vcc, 0
	.set _ZN7rocprim17ROCPRIM_304000_NS6detail39device_merge_sort_compile_time_verifierINS1_36wrapped_merge_sort_block_sort_configINS1_28merge_sort_block_sort_configILj256ELj4ELNS0_20block_sort_algorithmE0EEEsN2at4cuda3cub6detail10OpaqueTypeILi8EEEEENS1_37wrapped_merge_sort_block_merge_configINS0_14default_configEsSC_EEEEvv.uses_flat_scratch, 0
	.set _ZN7rocprim17ROCPRIM_304000_NS6detail39device_merge_sort_compile_time_verifierINS1_36wrapped_merge_sort_block_sort_configINS1_28merge_sort_block_sort_configILj256ELj4ELNS0_20block_sort_algorithmE0EEEsN2at4cuda3cub6detail10OpaqueTypeILi8EEEEENS1_37wrapped_merge_sort_block_merge_configINS0_14default_configEsSC_EEEEvv.has_dyn_sized_stack, 0
	.set _ZN7rocprim17ROCPRIM_304000_NS6detail39device_merge_sort_compile_time_verifierINS1_36wrapped_merge_sort_block_sort_configINS1_28merge_sort_block_sort_configILj256ELj4ELNS0_20block_sort_algorithmE0EEEsN2at4cuda3cub6detail10OpaqueTypeILi8EEEEENS1_37wrapped_merge_sort_block_merge_configINS0_14default_configEsSC_EEEEvv.has_recursion, 0
	.set _ZN7rocprim17ROCPRIM_304000_NS6detail39device_merge_sort_compile_time_verifierINS1_36wrapped_merge_sort_block_sort_configINS1_28merge_sort_block_sort_configILj256ELj4ELNS0_20block_sort_algorithmE0EEEsN2at4cuda3cub6detail10OpaqueTypeILi8EEEEENS1_37wrapped_merge_sort_block_merge_configINS0_14default_configEsSC_EEEEvv.has_indirect_call, 0
	.section	.AMDGPU.csdata,"",@progbits
; Kernel info:
; codeLenInByte = 4
; TotalNumSgprs: 4
; NumVgprs: 0
; ScratchSize: 0
; MemoryBound: 0
; FloatMode: 240
; IeeeMode: 1
; LDSByteSize: 0 bytes/workgroup (compile time only)
; SGPRBlocks: 0
; VGPRBlocks: 0
; NumSGPRsForWavesPerEU: 4
; NumVGPRsForWavesPerEU: 1
; Occupancy: 10
; WaveLimiterHint : 0
; COMPUTE_PGM_RSRC2:SCRATCH_EN: 0
; COMPUTE_PGM_RSRC2:USER_SGPR: 4
; COMPUTE_PGM_RSRC2:TRAP_HANDLER: 0
; COMPUTE_PGM_RSRC2:TGID_X_EN: 1
; COMPUTE_PGM_RSRC2:TGID_Y_EN: 0
; COMPUTE_PGM_RSRC2:TGID_Z_EN: 0
; COMPUTE_PGM_RSRC2:TIDIG_COMP_CNT: 0
	.section	.text._ZN7rocprim17ROCPRIM_304000_NS6detail45device_block_merge_mergepath_partition_kernelINS1_37wrapped_merge_sort_block_merge_configINS0_14default_configEsN2at4cuda3cub6detail10OpaqueTypeILi8EEEEEPsjNS1_19radix_merge_compareILb1ELb0EsNS0_19identity_decomposerEEEEEvT0_T1_jPSH_T2_SH_,"axG",@progbits,_ZN7rocprim17ROCPRIM_304000_NS6detail45device_block_merge_mergepath_partition_kernelINS1_37wrapped_merge_sort_block_merge_configINS0_14default_configEsN2at4cuda3cub6detail10OpaqueTypeILi8EEEEEPsjNS1_19radix_merge_compareILb1ELb0EsNS0_19identity_decomposerEEEEEvT0_T1_jPSH_T2_SH_,comdat
	.protected	_ZN7rocprim17ROCPRIM_304000_NS6detail45device_block_merge_mergepath_partition_kernelINS1_37wrapped_merge_sort_block_merge_configINS0_14default_configEsN2at4cuda3cub6detail10OpaqueTypeILi8EEEEEPsjNS1_19radix_merge_compareILb1ELb0EsNS0_19identity_decomposerEEEEEvT0_T1_jPSH_T2_SH_ ; -- Begin function _ZN7rocprim17ROCPRIM_304000_NS6detail45device_block_merge_mergepath_partition_kernelINS1_37wrapped_merge_sort_block_merge_configINS0_14default_configEsN2at4cuda3cub6detail10OpaqueTypeILi8EEEEEPsjNS1_19radix_merge_compareILb1ELb0EsNS0_19identity_decomposerEEEEEvT0_T1_jPSH_T2_SH_
	.globl	_ZN7rocprim17ROCPRIM_304000_NS6detail45device_block_merge_mergepath_partition_kernelINS1_37wrapped_merge_sort_block_merge_configINS0_14default_configEsN2at4cuda3cub6detail10OpaqueTypeILi8EEEEEPsjNS1_19radix_merge_compareILb1ELb0EsNS0_19identity_decomposerEEEEEvT0_T1_jPSH_T2_SH_
	.p2align	8
	.type	_ZN7rocprim17ROCPRIM_304000_NS6detail45device_block_merge_mergepath_partition_kernelINS1_37wrapped_merge_sort_block_merge_configINS0_14default_configEsN2at4cuda3cub6detail10OpaqueTypeILi8EEEEEPsjNS1_19radix_merge_compareILb1ELb0EsNS0_19identity_decomposerEEEEEvT0_T1_jPSH_T2_SH_,@function
_ZN7rocprim17ROCPRIM_304000_NS6detail45device_block_merge_mergepath_partition_kernelINS1_37wrapped_merge_sort_block_merge_configINS0_14default_configEsN2at4cuda3cub6detail10OpaqueTypeILi8EEEEEPsjNS1_19radix_merge_compareILb1ELb0EsNS0_19identity_decomposerEEEEEvT0_T1_jPSH_T2_SH_: ; @_ZN7rocprim17ROCPRIM_304000_NS6detail45device_block_merge_mergepath_partition_kernelINS1_37wrapped_merge_sort_block_merge_configINS0_14default_configEsN2at4cuda3cub6detail10OpaqueTypeILi8EEEEEPsjNS1_19radix_merge_compareILb1ELb0EsNS0_19identity_decomposerEEEEEvT0_T1_jPSH_T2_SH_
; %bb.0:
	s_load_dwordx2 s[0:1], s[4:5], 0x8
	v_lshl_or_b32 v0, s6, 7, v0
	s_waitcnt lgkmcnt(0)
	v_cmp_gt_u32_e32 vcc, s1, v0
	s_and_saveexec_b64 s[2:3], vcc
	s_cbranch_execz .LBB52_6
; %bb.1:
	s_load_dword s1, s[4:5], 0x1c
	s_waitcnt lgkmcnt(0)
	s_lshr_b32 s2, s1, 9
	s_and_b32 s2, s2, 0x7ffffe
	s_add_i32 s3, s2, -1
	s_sub_i32 s2, 0, s2
	v_and_b32_e32 v1, s2, v0
	v_lshlrev_b32_e32 v3, 10, v1
	v_min_u32_e32 v1, s0, v3
	v_add_u32_e32 v3, s1, v3
	v_min_u32_e32 v3, s0, v3
	v_add_u32_e32 v4, s1, v3
	v_and_b32_e32 v2, s3, v0
	v_min_u32_e32 v4, s0, v4
	v_lshlrev_b32_e32 v2, 10, v2
	v_sub_u32_e32 v5, v4, v1
	v_min_u32_e32 v6, v5, v2
	v_sub_u32_e32 v2, v3, v1
	v_sub_u32_e32 v4, v4, v3
	v_sub_u32_e64 v5, v6, v4 clamp
	v_min_u32_e32 v7, v6, v2
	v_cmp_lt_u32_e32 vcc, v5, v7
	s_and_saveexec_b64 s[0:1], vcc
	s_cbranch_execz .LBB52_5
; %bb.2:
	s_load_dwordx2 s[2:3], s[4:5], 0x0
	v_mov_b32_e32 v4, 0
	v_mov_b32_e32 v2, v4
	v_lshlrev_b64 v[8:9], 1, v[1:2]
	s_waitcnt lgkmcnt(0)
	v_mov_b32_e32 v11, s3
	v_add_co_u32_e32 v2, vcc, s2, v8
	v_addc_co_u32_e32 v8, vcc, v11, v9, vcc
	v_lshlrev_b64 v[9:10], 1, v[3:4]
	v_add_co_u32_e32 v9, vcc, s2, v9
	v_addc_co_u32_e32 v10, vcc, v11, v10, vcc
	s_mov_b64 s[2:3], 0
.LBB52_3:                               ; =>This Inner Loop Header: Depth=1
	v_add_u32_e32 v3, v7, v5
	v_and_b32_e32 v11, -2, v3
	v_lshrrev_b32_e32 v13, 1, v3
	v_add_co_u32_e32 v11, vcc, v2, v11
	v_xad_u32 v3, v13, -1, v6
	v_addc_co_u32_e32 v12, vcc, 0, v8, vcc
	global_load_ushort v14, v[11:12], off
	v_lshlrev_b64 v[11:12], 1, v[3:4]
	v_add_co_u32_e32 v11, vcc, v9, v11
	v_addc_co_u32_e32 v12, vcc, v10, v12, vcc
	global_load_ushort v3, v[11:12], off
	v_add_u32_e32 v11, 1, v13
	s_waitcnt vmcnt(0)
	v_cmp_gt_i16_e32 vcc, v3, v14
	v_cndmask_b32_e32 v7, v7, v13, vcc
	v_cndmask_b32_e32 v5, v11, v5, vcc
	v_cmp_ge_u32_e32 vcc, v5, v7
	s_or_b64 s[2:3], vcc, s[2:3]
	s_andn2_b64 exec, exec, s[2:3]
	s_cbranch_execnz .LBB52_3
; %bb.4:
	s_or_b64 exec, exec, s[2:3]
.LBB52_5:
	s_or_b64 exec, exec, s[0:1]
	s_load_dwordx2 s[0:1], s[4:5], 0x10
	v_add_u32_e32 v2, v5, v1
	v_mov_b32_e32 v1, 0
	v_lshlrev_b64 v[0:1], 2, v[0:1]
	s_waitcnt lgkmcnt(0)
	v_mov_b32_e32 v3, s1
	v_add_co_u32_e32 v0, vcc, s0, v0
	v_addc_co_u32_e32 v1, vcc, v3, v1, vcc
	global_store_dword v[0:1], v2, off
.LBB52_6:
	s_endpgm
	.section	.rodata,"a",@progbits
	.p2align	6, 0x0
	.amdhsa_kernel _ZN7rocprim17ROCPRIM_304000_NS6detail45device_block_merge_mergepath_partition_kernelINS1_37wrapped_merge_sort_block_merge_configINS0_14default_configEsN2at4cuda3cub6detail10OpaqueTypeILi8EEEEEPsjNS1_19radix_merge_compareILb1ELb0EsNS0_19identity_decomposerEEEEEvT0_T1_jPSH_T2_SH_
		.amdhsa_group_segment_fixed_size 0
		.amdhsa_private_segment_fixed_size 0
		.amdhsa_kernarg_size 32
		.amdhsa_user_sgpr_count 6
		.amdhsa_user_sgpr_private_segment_buffer 1
		.amdhsa_user_sgpr_dispatch_ptr 0
		.amdhsa_user_sgpr_queue_ptr 0
		.amdhsa_user_sgpr_kernarg_segment_ptr 1
		.amdhsa_user_sgpr_dispatch_id 0
		.amdhsa_user_sgpr_flat_scratch_init 0
		.amdhsa_user_sgpr_private_segment_size 0
		.amdhsa_uses_dynamic_stack 0
		.amdhsa_system_sgpr_private_segment_wavefront_offset 0
		.amdhsa_system_sgpr_workgroup_id_x 1
		.amdhsa_system_sgpr_workgroup_id_y 0
		.amdhsa_system_sgpr_workgroup_id_z 0
		.amdhsa_system_sgpr_workgroup_info 0
		.amdhsa_system_vgpr_workitem_id 0
		.amdhsa_next_free_vgpr 15
		.amdhsa_next_free_sgpr 7
		.amdhsa_reserve_vcc 1
		.amdhsa_reserve_flat_scratch 0
		.amdhsa_float_round_mode_32 0
		.amdhsa_float_round_mode_16_64 0
		.amdhsa_float_denorm_mode_32 3
		.amdhsa_float_denorm_mode_16_64 3
		.amdhsa_dx10_clamp 1
		.amdhsa_ieee_mode 1
		.amdhsa_fp16_overflow 0
		.amdhsa_exception_fp_ieee_invalid_op 0
		.amdhsa_exception_fp_denorm_src 0
		.amdhsa_exception_fp_ieee_div_zero 0
		.amdhsa_exception_fp_ieee_overflow 0
		.amdhsa_exception_fp_ieee_underflow 0
		.amdhsa_exception_fp_ieee_inexact 0
		.amdhsa_exception_int_div_zero 0
	.end_amdhsa_kernel
	.section	.text._ZN7rocprim17ROCPRIM_304000_NS6detail45device_block_merge_mergepath_partition_kernelINS1_37wrapped_merge_sort_block_merge_configINS0_14default_configEsN2at4cuda3cub6detail10OpaqueTypeILi8EEEEEPsjNS1_19radix_merge_compareILb1ELb0EsNS0_19identity_decomposerEEEEEvT0_T1_jPSH_T2_SH_,"axG",@progbits,_ZN7rocprim17ROCPRIM_304000_NS6detail45device_block_merge_mergepath_partition_kernelINS1_37wrapped_merge_sort_block_merge_configINS0_14default_configEsN2at4cuda3cub6detail10OpaqueTypeILi8EEEEEPsjNS1_19radix_merge_compareILb1ELb0EsNS0_19identity_decomposerEEEEEvT0_T1_jPSH_T2_SH_,comdat
.Lfunc_end52:
	.size	_ZN7rocprim17ROCPRIM_304000_NS6detail45device_block_merge_mergepath_partition_kernelINS1_37wrapped_merge_sort_block_merge_configINS0_14default_configEsN2at4cuda3cub6detail10OpaqueTypeILi8EEEEEPsjNS1_19radix_merge_compareILb1ELb0EsNS0_19identity_decomposerEEEEEvT0_T1_jPSH_T2_SH_, .Lfunc_end52-_ZN7rocprim17ROCPRIM_304000_NS6detail45device_block_merge_mergepath_partition_kernelINS1_37wrapped_merge_sort_block_merge_configINS0_14default_configEsN2at4cuda3cub6detail10OpaqueTypeILi8EEEEEPsjNS1_19radix_merge_compareILb1ELb0EsNS0_19identity_decomposerEEEEEvT0_T1_jPSH_T2_SH_
                                        ; -- End function
	.set _ZN7rocprim17ROCPRIM_304000_NS6detail45device_block_merge_mergepath_partition_kernelINS1_37wrapped_merge_sort_block_merge_configINS0_14default_configEsN2at4cuda3cub6detail10OpaqueTypeILi8EEEEEPsjNS1_19radix_merge_compareILb1ELb0EsNS0_19identity_decomposerEEEEEvT0_T1_jPSH_T2_SH_.num_vgpr, 15
	.set _ZN7rocprim17ROCPRIM_304000_NS6detail45device_block_merge_mergepath_partition_kernelINS1_37wrapped_merge_sort_block_merge_configINS0_14default_configEsN2at4cuda3cub6detail10OpaqueTypeILi8EEEEEPsjNS1_19radix_merge_compareILb1ELb0EsNS0_19identity_decomposerEEEEEvT0_T1_jPSH_T2_SH_.num_agpr, 0
	.set _ZN7rocprim17ROCPRIM_304000_NS6detail45device_block_merge_mergepath_partition_kernelINS1_37wrapped_merge_sort_block_merge_configINS0_14default_configEsN2at4cuda3cub6detail10OpaqueTypeILi8EEEEEPsjNS1_19radix_merge_compareILb1ELb0EsNS0_19identity_decomposerEEEEEvT0_T1_jPSH_T2_SH_.numbered_sgpr, 7
	.set _ZN7rocprim17ROCPRIM_304000_NS6detail45device_block_merge_mergepath_partition_kernelINS1_37wrapped_merge_sort_block_merge_configINS0_14default_configEsN2at4cuda3cub6detail10OpaqueTypeILi8EEEEEPsjNS1_19radix_merge_compareILb1ELb0EsNS0_19identity_decomposerEEEEEvT0_T1_jPSH_T2_SH_.num_named_barrier, 0
	.set _ZN7rocprim17ROCPRIM_304000_NS6detail45device_block_merge_mergepath_partition_kernelINS1_37wrapped_merge_sort_block_merge_configINS0_14default_configEsN2at4cuda3cub6detail10OpaqueTypeILi8EEEEEPsjNS1_19radix_merge_compareILb1ELb0EsNS0_19identity_decomposerEEEEEvT0_T1_jPSH_T2_SH_.private_seg_size, 0
	.set _ZN7rocprim17ROCPRIM_304000_NS6detail45device_block_merge_mergepath_partition_kernelINS1_37wrapped_merge_sort_block_merge_configINS0_14default_configEsN2at4cuda3cub6detail10OpaqueTypeILi8EEEEEPsjNS1_19radix_merge_compareILb1ELb0EsNS0_19identity_decomposerEEEEEvT0_T1_jPSH_T2_SH_.uses_vcc, 1
	.set _ZN7rocprim17ROCPRIM_304000_NS6detail45device_block_merge_mergepath_partition_kernelINS1_37wrapped_merge_sort_block_merge_configINS0_14default_configEsN2at4cuda3cub6detail10OpaqueTypeILi8EEEEEPsjNS1_19radix_merge_compareILb1ELb0EsNS0_19identity_decomposerEEEEEvT0_T1_jPSH_T2_SH_.uses_flat_scratch, 0
	.set _ZN7rocprim17ROCPRIM_304000_NS6detail45device_block_merge_mergepath_partition_kernelINS1_37wrapped_merge_sort_block_merge_configINS0_14default_configEsN2at4cuda3cub6detail10OpaqueTypeILi8EEEEEPsjNS1_19radix_merge_compareILb1ELb0EsNS0_19identity_decomposerEEEEEvT0_T1_jPSH_T2_SH_.has_dyn_sized_stack, 0
	.set _ZN7rocprim17ROCPRIM_304000_NS6detail45device_block_merge_mergepath_partition_kernelINS1_37wrapped_merge_sort_block_merge_configINS0_14default_configEsN2at4cuda3cub6detail10OpaqueTypeILi8EEEEEPsjNS1_19radix_merge_compareILb1ELb0EsNS0_19identity_decomposerEEEEEvT0_T1_jPSH_T2_SH_.has_recursion, 0
	.set _ZN7rocprim17ROCPRIM_304000_NS6detail45device_block_merge_mergepath_partition_kernelINS1_37wrapped_merge_sort_block_merge_configINS0_14default_configEsN2at4cuda3cub6detail10OpaqueTypeILi8EEEEEPsjNS1_19radix_merge_compareILb1ELb0EsNS0_19identity_decomposerEEEEEvT0_T1_jPSH_T2_SH_.has_indirect_call, 0
	.section	.AMDGPU.csdata,"",@progbits
; Kernel info:
; codeLenInByte = 356
; TotalNumSgprs: 11
; NumVgprs: 15
; ScratchSize: 0
; MemoryBound: 0
; FloatMode: 240
; IeeeMode: 1
; LDSByteSize: 0 bytes/workgroup (compile time only)
; SGPRBlocks: 1
; VGPRBlocks: 3
; NumSGPRsForWavesPerEU: 11
; NumVGPRsForWavesPerEU: 15
; Occupancy: 10
; WaveLimiterHint : 0
; COMPUTE_PGM_RSRC2:SCRATCH_EN: 0
; COMPUTE_PGM_RSRC2:USER_SGPR: 6
; COMPUTE_PGM_RSRC2:TRAP_HANDLER: 0
; COMPUTE_PGM_RSRC2:TGID_X_EN: 1
; COMPUTE_PGM_RSRC2:TGID_Y_EN: 0
; COMPUTE_PGM_RSRC2:TGID_Z_EN: 0
; COMPUTE_PGM_RSRC2:TIDIG_COMP_CNT: 0
	.section	.text._ZN7rocprim17ROCPRIM_304000_NS6detail35device_block_merge_mergepath_kernelINS1_37wrapped_merge_sort_block_merge_configINS0_14default_configEsN2at4cuda3cub6detail10OpaqueTypeILi8EEEEEPsSC_PSA_SD_jNS1_19radix_merge_compareILb1ELb0EsNS0_19identity_decomposerEEEEEvT0_T1_T2_T3_T4_SL_jT5_PKSL_NS1_7vsmem_tE,"axG",@progbits,_ZN7rocprim17ROCPRIM_304000_NS6detail35device_block_merge_mergepath_kernelINS1_37wrapped_merge_sort_block_merge_configINS0_14default_configEsN2at4cuda3cub6detail10OpaqueTypeILi8EEEEEPsSC_PSA_SD_jNS1_19radix_merge_compareILb1ELb0EsNS0_19identity_decomposerEEEEEvT0_T1_T2_T3_T4_SL_jT5_PKSL_NS1_7vsmem_tE,comdat
	.protected	_ZN7rocprim17ROCPRIM_304000_NS6detail35device_block_merge_mergepath_kernelINS1_37wrapped_merge_sort_block_merge_configINS0_14default_configEsN2at4cuda3cub6detail10OpaqueTypeILi8EEEEEPsSC_PSA_SD_jNS1_19radix_merge_compareILb1ELb0EsNS0_19identity_decomposerEEEEEvT0_T1_T2_T3_T4_SL_jT5_PKSL_NS1_7vsmem_tE ; -- Begin function _ZN7rocprim17ROCPRIM_304000_NS6detail35device_block_merge_mergepath_kernelINS1_37wrapped_merge_sort_block_merge_configINS0_14default_configEsN2at4cuda3cub6detail10OpaqueTypeILi8EEEEEPsSC_PSA_SD_jNS1_19radix_merge_compareILb1ELb0EsNS0_19identity_decomposerEEEEEvT0_T1_T2_T3_T4_SL_jT5_PKSL_NS1_7vsmem_tE
	.globl	_ZN7rocprim17ROCPRIM_304000_NS6detail35device_block_merge_mergepath_kernelINS1_37wrapped_merge_sort_block_merge_configINS0_14default_configEsN2at4cuda3cub6detail10OpaqueTypeILi8EEEEEPsSC_PSA_SD_jNS1_19radix_merge_compareILb1ELb0EsNS0_19identity_decomposerEEEEEvT0_T1_T2_T3_T4_SL_jT5_PKSL_NS1_7vsmem_tE
	.p2align	8
	.type	_ZN7rocprim17ROCPRIM_304000_NS6detail35device_block_merge_mergepath_kernelINS1_37wrapped_merge_sort_block_merge_configINS0_14default_configEsN2at4cuda3cub6detail10OpaqueTypeILi8EEEEEPsSC_PSA_SD_jNS1_19radix_merge_compareILb1ELb0EsNS0_19identity_decomposerEEEEEvT0_T1_T2_T3_T4_SL_jT5_PKSL_NS1_7vsmem_tE,@function
_ZN7rocprim17ROCPRIM_304000_NS6detail35device_block_merge_mergepath_kernelINS1_37wrapped_merge_sort_block_merge_configINS0_14default_configEsN2at4cuda3cub6detail10OpaqueTypeILi8EEEEEPsSC_PSA_SD_jNS1_19radix_merge_compareILb1ELb0EsNS0_19identity_decomposerEEEEEvT0_T1_T2_T3_T4_SL_jT5_PKSL_NS1_7vsmem_tE: ; @_ZN7rocprim17ROCPRIM_304000_NS6detail35device_block_merge_mergepath_kernelINS1_37wrapped_merge_sort_block_merge_configINS0_14default_configEsN2at4cuda3cub6detail10OpaqueTypeILi8EEEEEPsSC_PSA_SD_jNS1_19radix_merge_compareILb1ELb0EsNS0_19identity_decomposerEEEEEvT0_T1_T2_T3_T4_SL_jT5_PKSL_NS1_7vsmem_tE
; %bb.0:
	s_load_dwordx2 s[10:11], s[4:5], 0x40
	s_load_dwordx4 s[20:23], s[4:5], 0x20
	s_add_u32 s2, s4, 64
	s_addc_u32 s3, s5, 0
	s_waitcnt lgkmcnt(0)
	s_mul_i32 s0, s11, s8
	s_add_i32 s0, s0, s7
	s_mul_i32 s0, s0, s10
	s_add_i32 s0, s0, s6
	s_cmp_ge_u32 s0, s22
	s_cbranch_scc1 .LBB53_105
; %bb.1:
	s_load_dwordx8 s[12:19], s[4:5], 0x0
	s_load_dwordx2 s[8:9], s[4:5], 0x30
	s_lshr_b32 s11, s20, 10
	s_cmp_lg_u32 s0, s11
	s_mov_b32 s1, 0
	s_cselect_b64 s[24:25], -1, 0
	s_lshl_b64 s[4:5], s[0:1], 2
	s_waitcnt lgkmcnt(0)
	s_add_u32 s4, s8, s4
	s_addc_u32 s5, s9, s5
	s_load_dwordx2 s[26:27], s[4:5], 0x0
	s_lshr_b32 s4, s21, 9
	s_and_b32 s4, s4, 0x7ffffe
	s_sub_i32 s4, 0, s4
	s_and_b32 s5, s0, s4
	s_lshl_b32 s7, s5, 10
	s_lshl_b32 s22, s0, 10
	;; [unrolled: 1-line block ×3, first 2 shown]
	s_sub_i32 s8, s22, s7
	s_add_i32 s5, s5, s21
	s_add_i32 s8, s5, s8
	s_waitcnt lgkmcnt(0)
	s_sub_i32 s9, s8, s26
	s_sub_i32 s8, s8, s27
	;; [unrolled: 1-line block ×3, first 2 shown]
	s_min_u32 s28, s20, s9
	s_addk_i32 s8, 0x400
	s_or_b32 s4, s0, s4
	s_min_u32 s7, s20, s5
	s_add_i32 s5, s5, s21
	s_cmp_eq_u32 s4, -1
	s_cselect_b32 s4, s5, s8
	s_cselect_b32 s5, s7, s27
	s_min_u32 s4, s4, s20
	s_mov_b32 s27, s1
	s_sub_i32 s23, s5, s26
	s_sub_i32 s33, s4, s28
	s_lshl_b64 s[8:9], s[26:27], 1
	s_add_u32 s5, s12, s8
	s_mov_b32 s29, s1
	s_addc_u32 s7, s13, s9
	s_lshl_b64 s[8:9], s[28:29], 1
	s_add_u32 s4, s12, s8
	v_mov_b32_e32 v6, 0
	global_load_dword v1, v6, s[2:3] offset:14
	s_addc_u32 s8, s13, s9
	s_cmp_lt_u32 s6, s10
	s_cselect_b32 s1, 12, 18
	s_add_u32 s2, s2, s1
	s_addc_u32 s3, s3, 0
	global_load_ushort v2, v6, s[2:3]
	s_cmp_eq_u32 s0, s11
	v_cmp_gt_u32_e32 vcc, s23, v0
	v_lshlrev_b32_e32 v9, 1, v0
	s_waitcnt vmcnt(1)
	v_lshrrev_b32_e32 v3, 16, v1
	v_and_b32_e32 v1, 0xffff, v1
	v_mul_lo_u32 v1, v1, v3
	s_waitcnt vmcnt(0)
	v_mul_lo_u32 v7, v1, v2
	v_add_u32_e32 v5, v7, v0
	s_cbranch_scc1 .LBB53_3
; %bb.2:
	v_mov_b32_e32 v1, s7
	v_add_co_u32_e64 v3, s[0:1], s5, v9
	v_subrev_u32_e32 v2, s23, v0
	v_addc_co_u32_e64 v1, s[0:1], 0, v1, s[0:1]
	v_lshlrev_b32_e32 v2, 1, v2
	v_mov_b32_e32 v4, s8
	v_add_co_u32_e64 v8, s[0:1], s4, v2
	v_addc_co_u32_e64 v2, s[0:1], 0, v4, s[0:1]
	v_cndmask_b32_e32 v2, v2, v1, vcc
	v_cndmask_b32_e32 v1, v8, v3, vcc
	global_load_ushort v4, v[1:2], off
	v_lshlrev_b64 v[1:2], 1, v[5:6]
	v_mov_b32_e32 v3, s7
	v_add_co_u32_e32 v8, vcc, s5, v1
	v_addc_co_u32_e32 v3, vcc, v3, v2, vcc
	v_subrev_co_u32_e32 v1, vcc, s23, v5
	v_mov_b32_e32 v2, v6
	v_lshlrev_b64 v[1:2], 1, v[1:2]
	v_mov_b32_e32 v10, s8
	v_add_co_u32_e64 v1, s[0:1], s4, v1
	v_addc_co_u32_e64 v2, s[0:1], v10, v2, s[0:1]
	v_cndmask_b32_e32 v2, v2, v3, vcc
	v_cndmask_b32_e32 v1, v1, v8, vcc
	global_load_ushort v8, v[1:2], off
	v_add_u32_e32 v1, v5, v7
	v_mov_b32_e32 v2, v6
	v_lshlrev_b64 v[2:3], 1, v[1:2]
	v_mov_b32_e32 v10, s7
	v_add_co_u32_e32 v11, vcc, s5, v2
	v_addc_co_u32_e32 v10, vcc, v10, v3, vcc
	v_subrev_co_u32_e32 v2, vcc, s23, v1
	v_mov_b32_e32 v3, v6
	v_lshlrev_b64 v[2:3], 1, v[2:3]
	v_mov_b32_e32 v12, s8
	v_add_co_u32_e64 v2, s[0:1], s4, v2
	v_addc_co_u32_e64 v3, s[0:1], v12, v3, s[0:1]
	v_cndmask_b32_e32 v3, v3, v10, vcc
	v_cndmask_b32_e32 v2, v2, v11, vcc
	global_load_ushort v10, v[2:3], off
	v_add_u32_e32 v1, v1, v7
	v_mov_b32_e32 v2, v6
	;; [unrolled: 15-line block ×6, first 2 shown]
	v_lshlrev_b64 v[2:3], 1, v[1:2]
	v_mov_b32_e32 v15, s7
	v_add_co_u32_e32 v16, vcc, s5, v2
	v_addc_co_u32_e32 v3, vcc, v15, v3, vcc
	v_subrev_co_u32_e32 v1, vcc, s23, v1
	v_mov_b32_e32 v2, v6
	v_lshlrev_b64 v[1:2], 1, v[1:2]
	v_mov_b32_e32 v6, s8
	v_add_co_u32_e64 v1, s[0:1], s4, v1
	v_addc_co_u32_e64 v2, s[0:1], v6, v2, s[0:1]
	v_cndmask_b32_e32 v2, v2, v3, vcc
	v_cndmask_b32_e32 v1, v1, v16, vcc
	global_load_ushort v6, v[1:2], off
	s_mov_b32 s0, 0x5040100
	s_waitcnt vmcnt(6)
	v_perm_b32 v1, v8, v4, s0
	s_waitcnt vmcnt(4)
	v_perm_b32 v2, v11, v10, s0
	s_add_i32 s21, s33, s23
	s_waitcnt vmcnt(2)
	v_perm_b32 v3, v13, v12, s0
	s_waitcnt vmcnt(0)
	v_perm_b32 v4, v6, v14, s0
	s_cbranch_execz .LBB53_4
	s_branch .LBB53_21
.LBB53_3:
                                        ; implicit-def: $vgpr1_vgpr2_vgpr3_vgpr4
                                        ; implicit-def: $sgpr21
.LBB53_4:
	s_add_i32 s21, s33, s23
	v_mov_b32_e32 v1, 0
	v_cmp_gt_u32_e32 vcc, s21, v0
	v_mov_b32_e32 v2, v1
	v_mov_b32_e32 v3, v1
	;; [unrolled: 1-line block ×3, first 2 shown]
	s_and_saveexec_b64 s[0:1], vcc
	s_cbranch_execz .LBB53_6
; %bb.5:
	v_mov_b32_e32 v2, s7
	v_add_co_u32_e32 v4, vcc, s5, v9
	v_subrev_u32_e32 v3, s23, v0
	v_addc_co_u32_e32 v2, vcc, 0, v2, vcc
	v_lshlrev_b32_e32 v3, 1, v3
	v_mov_b32_e32 v6, s8
	v_add_co_u32_e32 v8, vcc, s4, v3
	v_addc_co_u32_e32 v3, vcc, 0, v6, vcc
	v_cmp_gt_u32_e32 vcc, s23, v0
	v_cndmask_b32_e32 v3, v3, v2, vcc
	v_cndmask_b32_e32 v2, v8, v4, vcc
	global_load_ushort v2, v[2:3], off
	v_mov_b32_e32 v11, v1
	v_mov_b32_e32 v12, v1
	;; [unrolled: 1-line block ×3, first 2 shown]
	s_waitcnt vmcnt(0)
	v_and_b32_e32 v10, 0xffff, v2
	v_mov_b32_e32 v1, v10
	v_mov_b32_e32 v2, v11
	;; [unrolled: 1-line block ×4, first 2 shown]
.LBB53_6:
	s_or_b64 exec, exec, s[0:1]
	v_cmp_gt_u32_e32 vcc, s21, v5
	s_and_saveexec_b64 s[2:3], vcc
	s_cbranch_execz .LBB53_8
; %bb.7:
	v_mov_b32_e32 v6, 0
	v_lshlrev_b64 v[10:11], 1, v[5:6]
	v_mov_b32_e32 v8, s7
	v_add_co_u32_e32 v12, vcc, s5, v10
	v_addc_co_u32_e32 v8, vcc, v8, v11, vcc
	v_subrev_co_u32_e32 v10, vcc, s23, v5
	v_mov_b32_e32 v11, v6
	v_lshlrev_b64 v[10:11], 1, v[10:11]
	v_mov_b32_e32 v6, s8
	v_add_co_u32_e64 v10, s[0:1], s4, v10
	v_addc_co_u32_e64 v6, s[0:1], v6, v11, s[0:1]
	v_cndmask_b32_e32 v11, v6, v8, vcc
	v_cndmask_b32_e32 v10, v10, v12, vcc
	global_load_ushort v6, v[10:11], off
	s_mov_b32 s0, 0x5040100
	s_waitcnt vmcnt(0)
	v_perm_b32 v1, v6, v1, s0
.LBB53_8:
	s_or_b64 exec, exec, s[2:3]
	v_add_u32_e32 v5, v5, v7
	v_cmp_gt_u32_e32 vcc, s21, v5
	s_and_saveexec_b64 s[2:3], vcc
	s_cbranch_execz .LBB53_10
; %bb.9:
	v_mov_b32_e32 v6, 0
	v_lshlrev_b64 v[10:11], 1, v[5:6]
	v_mov_b32_e32 v8, s7
	v_add_co_u32_e32 v12, vcc, s5, v10
	v_addc_co_u32_e32 v8, vcc, v8, v11, vcc
	v_subrev_co_u32_e32 v10, vcc, s23, v5
	v_mov_b32_e32 v11, v6
	v_lshlrev_b64 v[10:11], 1, v[10:11]
	v_mov_b32_e32 v6, s8
	v_add_co_u32_e64 v10, s[0:1], s4, v10
	v_addc_co_u32_e64 v6, s[0:1], v6, v11, s[0:1]
	v_cndmask_b32_e32 v11, v6, v8, vcc
	v_cndmask_b32_e32 v10, v10, v12, vcc
	global_load_ushort v6, v[10:11], off
	s_mov_b32 s0, 0xffff
	s_waitcnt vmcnt(0)
	v_bfi_b32 v2, s0, v6, v2
.LBB53_10:
	s_or_b64 exec, exec, s[2:3]
	v_add_u32_e32 v5, v5, v7
	v_cmp_gt_u32_e32 vcc, s21, v5
	s_and_saveexec_b64 s[2:3], vcc
	s_cbranch_execz .LBB53_12
; %bb.11:
	v_mov_b32_e32 v6, 0
	v_lshlrev_b64 v[10:11], 1, v[5:6]
	v_mov_b32_e32 v8, s7
	v_add_co_u32_e32 v12, vcc, s5, v10
	v_addc_co_u32_e32 v8, vcc, v8, v11, vcc
	v_subrev_co_u32_e32 v10, vcc, s23, v5
	v_mov_b32_e32 v11, v6
	v_lshlrev_b64 v[10:11], 1, v[10:11]
	v_mov_b32_e32 v6, s8
	v_add_co_u32_e64 v10, s[0:1], s4, v10
	v_addc_co_u32_e64 v6, s[0:1], v6, v11, s[0:1]
	v_cndmask_b32_e32 v11, v6, v8, vcc
	v_cndmask_b32_e32 v10, v10, v12, vcc
	global_load_ushort v6, v[10:11], off
	s_mov_b32 s0, 0x5040100
	s_waitcnt vmcnt(0)
	v_perm_b32 v2, v6, v2, s0
.LBB53_12:
	s_or_b64 exec, exec, s[2:3]
	v_add_u32_e32 v5, v5, v7
	v_cmp_gt_u32_e32 vcc, s21, v5
	s_and_saveexec_b64 s[2:3], vcc
	s_cbranch_execz .LBB53_14
; %bb.13:
	v_mov_b32_e32 v6, 0
	v_lshlrev_b64 v[10:11], 1, v[5:6]
	v_mov_b32_e32 v8, s7
	v_add_co_u32_e32 v12, vcc, s5, v10
	v_addc_co_u32_e32 v8, vcc, v8, v11, vcc
	v_subrev_co_u32_e32 v10, vcc, s23, v5
	v_mov_b32_e32 v11, v6
	v_lshlrev_b64 v[10:11], 1, v[10:11]
	v_mov_b32_e32 v6, s8
	v_add_co_u32_e64 v10, s[0:1], s4, v10
	v_addc_co_u32_e64 v6, s[0:1], v6, v11, s[0:1]
	v_cndmask_b32_e32 v11, v6, v8, vcc
	v_cndmask_b32_e32 v10, v10, v12, vcc
	global_load_ushort v6, v[10:11], off
	s_mov_b32 s0, 0xffff
	s_waitcnt vmcnt(0)
	v_bfi_b32 v3, s0, v6, v3
.LBB53_14:
	s_or_b64 exec, exec, s[2:3]
	v_add_u32_e32 v5, v5, v7
	;; [unrolled: 48-line block ×3, first 2 shown]
	v_cmp_gt_u32_e32 vcc, s21, v5
	s_and_saveexec_b64 s[2:3], vcc
	s_cbranch_execz .LBB53_20
; %bb.19:
	v_mov_b32_e32 v6, 0
	v_lshlrev_b64 v[7:8], 1, v[5:6]
	v_mov_b32_e32 v10, s7
	v_add_co_u32_e32 v7, vcc, s5, v7
	v_addc_co_u32_e32 v8, vcc, v10, v8, vcc
	v_subrev_co_u32_e32 v5, vcc, s23, v5
	v_lshlrev_b64 v[5:6], 1, v[5:6]
	v_mov_b32_e32 v10, s8
	v_add_co_u32_e64 v5, s[0:1], s4, v5
	v_addc_co_u32_e64 v6, s[0:1], v10, v6, s[0:1]
	v_cndmask_b32_e32 v6, v6, v8, vcc
	v_cndmask_b32_e32 v5, v5, v7, vcc
	global_load_ushort v5, v[5:6], off
	s_mov_b32 s0, 0x5040100
	s_waitcnt vmcnt(0)
	v_perm_b32 v4, v5, v4, s0
.LBB53_20:
	s_or_b64 exec, exec, s[2:3]
.LBB53_21:
	v_lshlrev_b32_e32 v10, 3, v0
	v_min_u32_e32 v6, s21, v10
	v_sub_u32_e64 v5, v6, s33 clamp
	v_min_u32_e32 v7, s23, v6
	v_cmp_lt_u32_e32 vcc, v5, v7
	ds_write_b16 v9, v1
	ds_write_b16_d16_hi v9, v1 offset:256
	ds_write_b16 v9, v2 offset:512
	ds_write_b16_d16_hi v9, v2 offset:768
	ds_write_b16 v9, v3 offset:1024
	ds_write_b16_d16_hi v9, v3 offset:1280
	ds_write_b16 v9, v4 offset:1536
	ds_write_b16_d16_hi v9, v4 offset:1792
	s_waitcnt lgkmcnt(0)
	s_barrier
	s_and_saveexec_b64 s[0:1], vcc
	s_cbranch_execz .LBB53_25
; %bb.22:
	v_lshlrev_b32_e32 v8, 1, v6
	v_lshl_add_u32 v8, s23, 1, v8
	s_mov_b64 s[2:3], 0
.LBB53_23:                              ; =>This Inner Loop Header: Depth=1
	v_add_u32_e32 v11, v7, v5
	v_lshrrev_b32_e32 v12, 1, v11
	v_not_b32_e32 v13, v12
	v_and_b32_e32 v11, -2, v11
	v_lshl_add_u32 v13, v13, 1, v8
	ds_read_u16 v11, v11
	ds_read_u16 v13, v13
	v_add_u32_e32 v14, 1, v12
	s_waitcnt lgkmcnt(0)
	v_cmp_gt_i16_e32 vcc, v13, v11
	v_cndmask_b32_e32 v7, v7, v12, vcc
	v_cndmask_b32_e32 v5, v14, v5, vcc
	v_cmp_ge_u32_e32 vcc, v5, v7
	s_or_b64 s[2:3], vcc, s[2:3]
	s_andn2_b64 exec, exec, s[2:3]
	s_cbranch_execnz .LBB53_23
; %bb.24:
	s_or_b64 exec, exec, s[2:3]
.LBB53_25:
	s_or_b64 exec, exec, s[0:1]
	v_sub_u32_e32 v6, v6, v5
	v_add_u32_e32 v6, s23, v6
	v_cmp_ge_u32_e32 vcc, s23, v5
	v_cmp_ge_u32_e64 s[0:1], s21, v6
	s_or_b64 s[0:1], vcc, s[0:1]
	v_mov_b32_e32 v11, 0
	v_mov_b32_e32 v12, 0
	;; [unrolled: 1-line block ×8, first 2 shown]
	s_and_saveexec_b64 s[30:31], s[0:1]
	s_cbranch_execz .LBB53_31
; %bb.26:
	v_cmp_gt_u32_e32 vcc, s23, v5
                                        ; implicit-def: $vgpr1
	s_and_saveexec_b64 s[0:1], vcc
; %bb.27:
	v_lshlrev_b32_e32 v1, 1, v5
	ds_read_u16 v1, v1
; %bb.28:
	s_or_b64 exec, exec, s[0:1]
	v_cmp_le_u32_e64 s[0:1], s21, v6
	v_cmp_gt_u32_e64 s[2:3], s21, v6
                                        ; implicit-def: $vgpr2
	s_and_saveexec_b64 s[4:5], s[2:3]
; %bb.29:
	v_lshlrev_b32_e32 v2, 1, v6
	ds_read_u16 v2, v2
; %bb.30:
	s_or_b64 exec, exec, s[4:5]
	s_waitcnt lgkmcnt(0)
	v_cmp_le_i16_e64 s[2:3], v2, v1
	s_and_b64 s[2:3], vcc, s[2:3]
	s_or_b64 vcc, s[0:1], s[2:3]
	v_mov_b32_e32 v3, s21
	v_mov_b32_e32 v4, s23
	v_cndmask_b32_e32 v18, v6, v5, vcc
	v_cndmask_b32_e32 v7, v3, v4, vcc
	v_add_u32_e32 v8, 1, v18
	v_add_u32_e32 v7, -1, v7
	v_min_u32_e32 v7, v8, v7
	v_lshlrev_b32_e32 v7, 1, v7
	ds_read_u16 v7, v7
	v_cndmask_b32_e32 v5, v5, v8, vcc
	v_cndmask_b32_e32 v6, v8, v6, vcc
	v_cmp_gt_u32_e64 s[2:3], s23, v5
	v_cmp_le_u32_e64 s[0:1], s21, v6
	s_waitcnt lgkmcnt(0)
	v_cndmask_b32_e32 v11, v7, v2, vcc
	v_cndmask_b32_e32 v7, v1, v7, vcc
	v_cmp_le_i16_e64 s[4:5], v11, v7
	s_and_b64 s[2:3], s[2:3], s[4:5]
	s_or_b64 s[0:1], s[0:1], s[2:3]
	v_cndmask_b32_e64 v17, v6, v5, s[0:1]
	v_cndmask_b32_e64 v8, v3, v4, s[0:1]
	v_add_u32_e32 v12, 1, v17
	v_add_u32_e32 v8, -1, v8
	v_min_u32_e32 v8, v12, v8
	v_lshlrev_b32_e32 v8, 1, v8
	ds_read_u16 v8, v8
	v_cndmask_b32_e64 v5, v5, v12, s[0:1]
	v_cndmask_b32_e64 v6, v12, v6, s[0:1]
	v_cmp_gt_u32_e64 s[4:5], s23, v5
	v_cmp_le_u32_e64 s[2:3], s21, v6
	s_waitcnt lgkmcnt(0)
	v_cndmask_b32_e64 v19, v8, v11, s[0:1]
	v_cndmask_b32_e64 v8, v7, v8, s[0:1]
	v_cmp_le_i16_e64 s[6:7], v19, v8
	s_and_b64 s[4:5], s[4:5], s[6:7]
	s_or_b64 s[2:3], s[2:3], s[4:5]
	v_cndmask_b32_e64 v16, v6, v5, s[2:3]
	v_cndmask_b32_e64 v12, v3, v4, s[2:3]
	v_add_u32_e32 v13, 1, v16
	v_add_u32_e32 v12, -1, v12
	v_min_u32_e32 v12, v13, v12
	v_lshlrev_b32_e32 v12, 1, v12
	ds_read_u16 v12, v12
	v_cndmask_b32_e64 v5, v5, v13, s[2:3]
	v_cndmask_b32_e64 v6, v13, v6, s[2:3]
	v_cmp_gt_u32_e64 s[6:7], s23, v5
	v_cmp_le_u32_e64 s[4:5], s21, v6
	s_waitcnt lgkmcnt(0)
	v_cndmask_b32_e64 v20, v12, v19, s[2:3]
	v_cndmask_b32_e64 v21, v8, v12, s[2:3]
	;; [unrolled: 17-line block ×4, first 2 shown]
	v_cmp_le_i16_e64 s[12:13], v24, v25
	s_and_b64 s[10:11], s[10:11], s[12:13]
	s_or_b64 s[8:9], s[8:9], s[10:11]
	v_cndmask_b32_e64 v13, v6, v5, s[8:9]
	v_cndmask_b32_e64 v12, v3, v4, s[8:9]
	v_add_u32_e32 v26, 1, v13
	v_add_u32_e32 v12, -1, v12
	v_min_u32_e32 v12, v26, v12
	v_lshlrev_b32_e32 v12, 1, v12
	ds_read_u16 v12, v12
	v_cndmask_b32_e32 v1, v2, v1, vcc
	v_cndmask_b32_e64 v7, v11, v7, s[0:1]
	v_cndmask_b32_e64 v2, v19, v8, s[2:3]
	;; [unrolled: 1-line block ×3, first 2 shown]
	s_waitcnt lgkmcnt(0)
	v_cndmask_b32_e64 v8, v12, v24, s[8:9]
	v_cndmask_b32_e64 v11, v25, v12, s[8:9]
	;; [unrolled: 1-line block ×3, first 2 shown]
	v_cmp_gt_u32_e64 s[0:1], s23, v5
	v_cmp_le_i16_e64 s[2:3], v8, v11
	v_cmp_le_u32_e32 vcc, s21, v6
	s_and_b64 s[0:1], s[0:1], s[2:3]
	s_or_b64 vcc, vcc, s[0:1]
	v_cndmask_b32_e32 v12, v6, v5, vcc
	v_cndmask_b32_e32 v3, v3, v4, vcc
	v_add_u32_e32 v4, 1, v12
	v_add_u32_e32 v3, -1, v3
	v_min_u32_e32 v3, v4, v3
	v_lshlrev_b32_e32 v3, 1, v3
	ds_read_u16 v3, v3
	v_cndmask_b32_e64 v19, v20, v21, s[4:5]
	v_cndmask_b32_e64 v20, v22, v23, s[6:7]
	v_cndmask_b32_e32 v22, v8, v11, vcc
	v_cndmask_b32_e32 v6, v4, v6, vcc
	s_waitcnt lgkmcnt(0)
	v_cndmask_b32_e32 v8, v3, v8, vcc
	v_cndmask_b32_e32 v3, v11, v3, vcc
	;; [unrolled: 1-line block ×3, first 2 shown]
	v_cmp_gt_u32_e64 s[0:1], s23, v4
	v_cmp_le_i16_e64 s[2:3], v8, v3
	v_cmp_le_u32_e32 vcc, s21, v6
	s_and_b64 s[0:1], s[0:1], s[2:3]
	s_or_b64 vcc, vcc, s[0:1]
	v_cndmask_b32_e64 v21, v24, v25, s[8:9]
	v_cndmask_b32_e32 v3, v8, v3, vcc
	s_mov_b32 s0, 0x5040100
	v_cndmask_b32_e32 v11, v6, v4, vcc
	v_perm_b32 v4, v3, v22, s0
	v_perm_b32 v3, v21, v20, s0
	;; [unrolled: 1-line block ×4, first 2 shown]
.LBB53_31:
	s_or_b64 exec, exec, s[30:31]
	s_lshl_b64 s[0:1], s[26:27], 3
	s_add_u32 s8, s16, s0
	s_addc_u32 s9, s17, s1
	s_lshl_b64 s[0:1], s[28:29], 3
	s_add_u32 s6, s16, s0
	v_cndmask_b32_e64 v5, 0, 1, s[24:25]
	s_addc_u32 s7, s17, s1
	v_cmp_gt_u32_e64 s[4:5], s23, v0
	v_cmp_ne_u32_e64 s[0:1], 1, v5
	s_andn2_b64 vcc, exec, s[24:25]
	v_cmp_le_u32_e64 s[2:3], s23, v0
	s_barrier
	s_cbranch_vccnz .LBB53_33
; %bb.32:
	v_mov_b32_e32 v5, s9
	v_add_co_u32_e32 v7, vcc, s8, v10
	v_subrev_u32_e32 v6, s23, v0
	v_addc_co_u32_e32 v5, vcc, 0, v5, vcc
	v_lshlrev_b32_e32 v6, 3, v6
	v_mov_b32_e32 v8, s7
	v_add_co_u32_e32 v19, vcc, s6, v6
	v_addc_co_u32_e32 v6, vcc, 0, v8, vcc
	v_cndmask_b32_e64 v6, v6, v5, s[4:5]
	v_cndmask_b32_e64 v5, v19, v7, s[4:5]
	v_or_b32_e32 v7, 0x80, v0
	v_subrev_u32_e32 v8, s23, v7
	v_min_u32_e32 v8, v7, v8
	v_cmp_gt_u32_e32 vcc, s23, v7
	v_mov_b32_e32 v31, s6
	v_mov_b32_e32 v32, s8
	;; [unrolled: 1-line block ×4, first 2 shown]
	v_cndmask_b32_e32 v7, v31, v32, vcc
	v_lshlrev_b32_e32 v8, 3, v8
	v_cndmask_b32_e32 v19, v29, v30, vcc
	v_add_co_u32_e32 v7, vcc, v7, v8
	v_addc_co_u32_e32 v8, vcc, 0, v19, vcc
	v_or_b32_e32 v19, 0x100, v0
	v_subrev_u32_e32 v20, s23, v19
	v_min_u32_e32 v20, v19, v20
	v_cmp_gt_u32_e32 vcc, s23, v19
	v_cndmask_b32_e32 v19, v31, v32, vcc
	v_lshlrev_b32_e32 v20, 3, v20
	v_cndmask_b32_e32 v21, v29, v30, vcc
	v_add_co_u32_e32 v19, vcc, v19, v20
	v_addc_co_u32_e32 v20, vcc, 0, v21, vcc
	v_or_b32_e32 v21, 0x180, v0
	v_subrev_u32_e32 v22, s23, v21
	v_min_u32_e32 v22, v21, v22
	v_cmp_gt_u32_e32 vcc, s23, v21
	;; [unrolled: 9-line block ×5, first 2 shown]
	global_load_dwordx2 v[5:6], v[5:6], off
	v_cndmask_b32_e32 v27, v31, v32, vcc
	global_load_dwordx2 v[7:8], v[7:8], off
	v_lshlrev_b32_e32 v28, 3, v28
	global_load_dwordx2 v[19:20], v[19:20], off
	v_cndmask_b32_e32 v33, v29, v30, vcc
	global_load_dwordx2 v[21:22], v[21:22], off
	v_add_co_u32_e32 v27, vcc, v27, v28
	global_load_dwordx2 v[23:24], v[23:24], off
	v_addc_co_u32_e32 v28, vcc, 0, v33, vcc
	global_load_dwordx2 v[25:26], v[25:26], off
	s_nop 0
	global_load_dwordx2 v[27:28], v[27:28], off
	s_mov_b64 s[4:5], -1
	s_waitcnt vmcnt(5)
	ds_write2st64_b64 v10, v[5:6], v[7:8] offset1:2
	s_waitcnt vmcnt(3)
	ds_write2st64_b64 v10, v[19:20], v[21:22] offset0:4 offset1:6
	s_waitcnt vmcnt(1)
	ds_write2st64_b64 v10, v[23:24], v[25:26] offset0:8 offset1:10
	s_waitcnt vmcnt(0)
	ds_write_b64 v10, v[27:28] offset:6144
	v_or_b32_e32 v19, 0x380, v0
	v_subrev_u32_e32 v5, s23, v19
	v_cmp_gt_u32_e32 vcc, s23, v19
	v_min_u32_e32 v7, v19, v5
	v_cndmask_b32_e32 v6, v29, v30, vcc
	v_cndmask_b32_e32 v5, v31, v32, vcc
	s_cbranch_execz .LBB53_34
	s_branch .LBB53_67
.LBB53_33:
	s_mov_b64 s[4:5], 0
                                        ; implicit-def: $vgpr19
                                        ; implicit-def: $vgpr5_vgpr6
                                        ; implicit-def: $vgpr7
.LBB53_34:
	s_and_saveexec_b64 s[4:5], s[2:3]
	s_xor_b64 s[2:3], exec, s[4:5]
	s_cbranch_execz .LBB53_38
; %bb.35:
	v_subrev_u32_e32 v5, s23, v0
	v_cmp_gt_u32_e32 vcc, s33, v5
	s_and_saveexec_b64 s[4:5], vcc
	s_cbranch_execz .LBB53_37
; %bb.36:
	v_lshlrev_b32_e32 v5, 3, v5
	global_load_dwordx2 v[5:6], v5, s[6:7]
	s_waitcnt vmcnt(0)
	ds_write_b64 v10, v[5:6]
.LBB53_37:
	s_or_b64 exec, exec, s[4:5]
.LBB53_38:
	s_or_saveexec_b64 s[2:3], s[2:3]
	v_mad_u32_u24 v7, v0, 6, v9
	s_xor_b64 exec, exec, s[2:3]
	s_cbranch_execz .LBB53_40
; %bb.39:
	global_load_dwordx2 v[5:6], v10, s[8:9]
	s_waitcnt vmcnt(0)
	ds_write_b64 v7, v[5:6]
.LBB53_40:
	s_or_b64 exec, exec, s[2:3]
	v_or_b32_e32 v8, 0x80, v0
	v_mov_b32_e32 v5, s26
	v_cmp_le_u32_e32 vcc, s23, v8
	s_mov_b64 s[2:3], -1
	v_mov_b32_e32 v6, s27
	s_and_saveexec_b64 s[4:5], vcc
; %bb.41:
	v_subrev_u32_e32 v8, s23, v8
	v_cmp_gt_u32_e32 vcc, s33, v8
	v_mov_b32_e32 v5, s28
	v_mov_b32_e32 v6, s29
	s_orn2_b64 s[2:3], vcc, exec
; %bb.42:
	s_or_b64 exec, exec, s[4:5]
	s_and_saveexec_b64 s[4:5], s[2:3]
	s_cbranch_execz .LBB53_44
; %bb.43:
	v_lshlrev_b64 v[5:6], 3, v[5:6]
	v_mov_b32_e32 v19, s17
	v_add_co_u32_e32 v5, vcc, s16, v5
	v_addc_co_u32_e32 v6, vcc, v19, v6, vcc
	v_lshlrev_b32_e32 v8, 3, v8
	v_add_co_u32_e32 v5, vcc, v5, v8
	v_addc_co_u32_e32 v6, vcc, 0, v6, vcc
	global_load_dwordx2 v[5:6], v[5:6], off
	s_waitcnt vmcnt(0)
	ds_write_b64 v7, v[5:6] offset:1024
.LBB53_44:
	s_or_b64 exec, exec, s[4:5]
	v_or_b32_e32 v8, 0x100, v0
	v_mov_b32_e32 v5, s26
	v_cmp_le_u32_e32 vcc, s23, v8
	s_mov_b64 s[2:3], -1
	v_mov_b32_e32 v6, s27
	s_and_saveexec_b64 s[4:5], vcc
; %bb.45:
	v_subrev_u32_e32 v8, s23, v8
	v_cmp_gt_u32_e32 vcc, s33, v8
	v_mov_b32_e32 v5, s28
	v_mov_b32_e32 v6, s29
	s_orn2_b64 s[2:3], vcc, exec
; %bb.46:
	s_or_b64 exec, exec, s[4:5]
	s_and_saveexec_b64 s[4:5], s[2:3]
	s_cbranch_execz .LBB53_48
; %bb.47:
	v_lshlrev_b64 v[5:6], 3, v[5:6]
	v_mov_b32_e32 v19, s17
	v_add_co_u32_e32 v5, vcc, s16, v5
	v_addc_co_u32_e32 v6, vcc, v19, v6, vcc
	v_lshlrev_b32_e32 v8, 3, v8
	v_add_co_u32_e32 v5, vcc, v5, v8
	v_addc_co_u32_e32 v6, vcc, 0, v6, vcc
	global_load_dwordx2 v[5:6], v[5:6], off
	s_waitcnt vmcnt(0)
	ds_write_b64 v7, v[5:6] offset:2048
.LBB53_48:
	;; [unrolled: 29-line block ×6, first 2 shown]
	s_or_b64 exec, exec, s[4:5]
	v_or_b32_e32 v19, 0x380, v0
	v_mov_b32_e32 v5, s8
	v_cmp_le_u32_e32 vcc, s23, v19
	s_mov_b64 s[4:5], -1
	v_mov_b32_e32 v6, s9
	v_mov_b32_e32 v7, v19
	s_and_saveexec_b64 s[2:3], vcc
; %bb.65:
	v_subrev_u32_e32 v7, s23, v19
	v_cmp_gt_u32_e32 vcc, s33, v7
	v_mov_b32_e32 v5, s6
	v_mov_b32_e32 v6, s7
	s_orn2_b64 s[4:5], vcc, exec
; %bb.66:
	s_or_b64 exec, exec, s[2:3]
.LBB53_67:
	s_and_saveexec_b64 s[2:3], s[4:5]
	s_cbranch_execz .LBB53_69
; %bb.68:
	v_mov_b32_e32 v8, 0
	v_lshlrev_b64 v[7:8], 3, v[7:8]
	v_add_co_u32_e32 v5, vcc, v5, v7
	v_addc_co_u32_e32 v6, vcc, v6, v8, vcc
	global_load_dwordx2 v[5:6], v[5:6], off
	v_lshlrev_b32_e32 v7, 3, v19
	s_waitcnt vmcnt(0)
	ds_write_b64 v7, v[5:6]
.LBB53_69:
	s_or_b64 exec, exec, s[2:3]
	s_and_b64 vcc, exec, s[0:1]
	v_add_u32_e32 v5, s22, v10
	s_waitcnt lgkmcnt(0)
	s_barrier
	s_cbranch_vccnz .LBB53_71
; %bb.70:
	v_lshlrev_b32_e32 v19, 3, v18
	v_lshlrev_b32_e32 v21, 3, v17
	;; [unrolled: 1-line block ×7, first 2 shown]
	v_mov_b32_e32 v6, 0
	ds_read_b64 v[19:20], v19
	ds_read_b64 v[21:22], v21
	;; [unrolled: 1-line block ×7, first 2 shown]
	v_lshlrev_b64 v[7:8], 3, v[5:6]
	v_mov_b32_e32 v33, s19
	v_add_co_u32_e32 v7, vcc, s18, v7
	v_addc_co_u32_e32 v8, vcc, v33, v8, vcc
	s_mov_b64 s[0:1], -1
	s_waitcnt lgkmcnt(5)
	global_store_dwordx4 v[7:8], v[19:22], off
	s_waitcnt lgkmcnt(3)
	global_store_dwordx4 v[7:8], v[23:26], off offset:16
	s_waitcnt lgkmcnt(1)
	global_store_dwordx4 v[7:8], v[27:30], off offset:32
	s_waitcnt lgkmcnt(0)
	global_store_dwordx2 v[7:8], v[31:32], off offset:48
	s_cbranch_execz .LBB53_72
	s_branch .LBB53_89
.LBB53_71:
	s_mov_b64 s[0:1], 0
.LBB53_72:
	v_cmp_gt_u32_e32 vcc, s21, v10
	s_and_saveexec_b64 s[2:3], vcc
	s_cbranch_execz .LBB53_74
; %bb.73:
	v_lshlrev_b32_e32 v8, 3, v18
	v_mov_b32_e32 v6, 0
	ds_read_b64 v[18:19], v8
	v_lshlrev_b64 v[6:7], 3, v[5:6]
	v_mov_b32_e32 v20, s19
	v_add_co_u32_e32 v6, vcc, s18, v6
	v_addc_co_u32_e32 v7, vcc, v20, v7, vcc
	s_waitcnt lgkmcnt(0)
	global_store_dwordx2 v[6:7], v[18:19], off
.LBB53_74:
	s_or_b64 exec, exec, s[2:3]
	v_or_b32_e32 v6, 1, v10
	v_cmp_gt_u32_e32 vcc, s21, v6
	s_and_saveexec_b64 s[2:3], vcc
	s_cbranch_execz .LBB53_76
; %bb.75:
	v_lshlrev_b32_e32 v8, 3, v17
	v_mov_b32_e32 v6, 0
	ds_read_b64 v[17:18], v8
	v_lshlrev_b64 v[6:7], 3, v[5:6]
	v_mov_b32_e32 v19, s19
	v_add_co_u32_e32 v6, vcc, s18, v6
	v_addc_co_u32_e32 v7, vcc, v19, v7, vcc
	s_waitcnt lgkmcnt(0)
	global_store_dwordx2 v[6:7], v[17:18], off offset:8
.LBB53_76:
	s_or_b64 exec, exec, s[2:3]
	v_or_b32_e32 v6, 2, v10
	v_cmp_gt_u32_e32 vcc, s21, v6
	s_and_saveexec_b64 s[2:3], vcc
	s_cbranch_execz .LBB53_78
; %bb.77:
	v_lshlrev_b32_e32 v8, 3, v16
	v_mov_b32_e32 v6, 0
	ds_read_b64 v[16:17], v8
	v_lshlrev_b64 v[6:7], 3, v[5:6]
	v_mov_b32_e32 v18, s19
	v_add_co_u32_e32 v6, vcc, s18, v6
	v_addc_co_u32_e32 v7, vcc, v18, v7, vcc
	s_waitcnt lgkmcnt(0)
	global_store_dwordx2 v[6:7], v[16:17], off offset:16
.LBB53_78:
	;; [unrolled: 16-line block ×6, first 2 shown]
	s_or_b64 exec, exec, s[2:3]
	v_or_b32_e32 v6, 7, v10
	v_cmp_gt_u32_e32 vcc, s21, v6
	s_and_saveexec_b64 s[2:3], vcc
; %bb.87:
	v_mov_b32_e32 v6, 0
	s_or_b64 s[0:1], s[0:1], exec
; %bb.88:
	s_or_b64 exec, exec, s[2:3]
.LBB53_89:
	s_and_saveexec_b64 s[2:3], s[0:1]
	s_cbranch_execz .LBB53_91
; %bb.90:
	v_lshlrev_b32_e32 v7, 3, v11
	ds_read_b64 v[7:8], v7
	v_lshlrev_b64 v[5:6], 3, v[5:6]
	v_mov_b32_e32 v11, s19
	v_add_co_u32_e32 v5, vcc, s18, v5
	v_addc_co_u32_e32 v6, vcc, v11, v6, vcc
	s_waitcnt lgkmcnt(0)
	global_store_dwordx2 v[5:6], v[7:8], off offset:56
.LBB53_91:
	s_or_b64 exec, exec, s[2:3]
	v_lshrrev_b32_e32 v5, 1, v0
	v_and_b32_e32 v5, 60, v5
	v_lshl_add_u32 v5, v10, 1, v5
	s_waitcnt vmcnt(0)
	s_barrier
	s_barrier
	ds_write2_b32 v5, v1, v2 offset1:1
	ds_write2_b32 v5, v3, v4 offset0:2 offset1:3
	v_lshrrev_b32_e32 v1, 4, v0
	v_and_b32_e32 v1, 4, v1
	v_or_b32_e32 v11, 0x80, v0
	v_add_u32_e32 v12, v1, v9
	v_lshrrev_b32_e32 v1, 4, v11
	v_and_b32_e32 v1, 12, v1
	v_or_b32_e32 v10, 0x100, v0
	v_add_u32_e32 v13, v1, v9
	v_lshrrev_b32_e32 v1, 4, v10
	v_and_b32_e32 v1, 20, v1
	v_or_b32_e32 v8, 0x180, v0
	v_add_u32_e32 v14, v1, v9
	v_lshrrev_b32_e32 v1, 4, v8
	v_and_b32_e32 v1, 28, v1
	v_or_b32_e32 v6, 0x200, v0
	v_add_u32_e32 v15, v1, v9
	v_lshrrev_b32_e32 v1, 4, v6
	v_and_b32_e32 v1, 36, v1
	v_or_b32_e32 v5, 0x280, v0
	v_add_u32_e32 v16, v1, v9
	v_lshrrev_b32_e32 v1, 4, v5
	v_and_b32_e32 v1, 44, v1
	v_or_b32_e32 v4, 0x300, v0
	s_mov_b32 s23, 0
	v_add_u32_e32 v17, v1, v9
	v_lshrrev_b32_e32 v1, 4, v4
	s_lshl_b64 s[0:1], s[22:23], 1
	v_and_b32_e32 v1, 52, v1
	v_or_b32_e32 v3, 0x380, v0
	s_add_u32 s0, s14, s0
	v_add_u32_e32 v18, v1, v9
	v_lshrrev_b32_e32 v1, 4, v3
	s_addc_u32 s1, s15, s1
	v_and_b32_e32 v1, 60, v1
	v_add_u32_e32 v19, v1, v9
	v_mov_b32_e32 v2, s1
	v_add_co_u32_e32 v1, vcc, s0, v9
	v_addc_co_u32_e32 v2, vcc, 0, v2, vcc
	s_and_b64 vcc, exec, s[24:25]
	s_waitcnt lgkmcnt(0)
	s_cbranch_vccz .LBB53_93
; %bb.92:
	s_barrier
	ds_read_u16 v9, v12
	ds_read_u16 v20, v13 offset:256
	ds_read_u16 v21, v14 offset:512
	;; [unrolled: 1-line block ×7, first 2 shown]
	s_waitcnt lgkmcnt(7)
	global_store_short v[1:2], v9, off
	s_waitcnt lgkmcnt(6)
	global_store_short v[1:2], v20, off offset:256
	s_waitcnt lgkmcnt(5)
	global_store_short v[1:2], v21, off offset:512
	;; [unrolled: 2-line block ×6, first 2 shown]
	s_mov_b64 s[0:1], -1
	s_cbranch_execz .LBB53_94
	s_branch .LBB53_103
.LBB53_93:
	s_mov_b64 s[0:1], 0
                                        ; implicit-def: $vgpr7
.LBB53_94:
	s_waitcnt vmcnt(0) lgkmcnt(0)
	s_barrier
	ds_read_u16 v21, v13 offset:256
	ds_read_u16 v20, v14 offset:512
	;; [unrolled: 1-line block ×7, first 2 shown]
	s_sub_i32 s2, s20, s22
	v_cmp_gt_u32_e32 vcc, s2, v0
	s_and_saveexec_b64 s[0:1], vcc
	s_cbranch_execnz .LBB53_106
; %bb.95:
	s_or_b64 exec, exec, s[0:1]
	v_cmp_gt_u32_e32 vcc, s2, v11
	s_and_saveexec_b64 s[0:1], vcc
	s_cbranch_execnz .LBB53_107
.LBB53_96:
	s_or_b64 exec, exec, s[0:1]
	v_cmp_gt_u32_e32 vcc, s2, v10
	s_and_saveexec_b64 s[0:1], vcc
	s_cbranch_execnz .LBB53_108
.LBB53_97:
	s_or_b64 exec, exec, s[0:1]
	v_cmp_gt_u32_e32 vcc, s2, v8
	s_and_saveexec_b64 s[0:1], vcc
	s_cbranch_execnz .LBB53_109
.LBB53_98:
	s_or_b64 exec, exec, s[0:1]
	v_cmp_gt_u32_e32 vcc, s2, v6
	s_and_saveexec_b64 s[0:1], vcc
	s_cbranch_execnz .LBB53_110
.LBB53_99:
	s_or_b64 exec, exec, s[0:1]
	v_cmp_gt_u32_e32 vcc, s2, v5
	s_and_saveexec_b64 s[0:1], vcc
	s_cbranch_execnz .LBB53_111
.LBB53_100:
	s_or_b64 exec, exec, s[0:1]
	v_cmp_gt_u32_e32 vcc, s2, v4
	s_and_saveexec_b64 s[0:1], vcc
	s_cbranch_execz .LBB53_102
.LBB53_101:
	s_waitcnt lgkmcnt(1)
	global_store_short v[1:2], v9, off offset:1536
.LBB53_102:
	s_or_b64 exec, exec, s[0:1]
	v_cmp_gt_u32_e64 s[0:1], s2, v3
.LBB53_103:
	s_and_saveexec_b64 s[2:3], s[0:1]
	s_cbranch_execz .LBB53_105
; %bb.104:
	s_waitcnt lgkmcnt(0)
	global_store_short v[1:2], v7, off offset:1792
.LBB53_105:
	s_endpgm
.LBB53_106:
	ds_read_u16 v0, v12
	s_waitcnt lgkmcnt(0)
	global_store_short v[1:2], v0, off
	s_or_b64 exec, exec, s[0:1]
	v_cmp_gt_u32_e32 vcc, s2, v11
	s_and_saveexec_b64 s[0:1], vcc
	s_cbranch_execz .LBB53_96
.LBB53_107:
	s_waitcnt lgkmcnt(6)
	global_store_short v[1:2], v21, off offset:256
	s_or_b64 exec, exec, s[0:1]
	v_cmp_gt_u32_e32 vcc, s2, v10
	s_and_saveexec_b64 s[0:1], vcc
	s_cbranch_execz .LBB53_97
.LBB53_108:
	s_waitcnt lgkmcnt(5)
	global_store_short v[1:2], v20, off offset:512
	s_or_b64 exec, exec, s[0:1]
	v_cmp_gt_u32_e32 vcc, s2, v8
	s_and_saveexec_b64 s[0:1], vcc
	s_cbranch_execz .LBB53_98
.LBB53_109:
	s_waitcnt lgkmcnt(4)
	global_store_short v[1:2], v15, off offset:768
	s_or_b64 exec, exec, s[0:1]
	v_cmp_gt_u32_e32 vcc, s2, v6
	s_and_saveexec_b64 s[0:1], vcc
	s_cbranch_execz .LBB53_99
.LBB53_110:
	s_waitcnt lgkmcnt(3)
	global_store_short v[1:2], v14, off offset:1024
	s_or_b64 exec, exec, s[0:1]
	v_cmp_gt_u32_e32 vcc, s2, v5
	s_and_saveexec_b64 s[0:1], vcc
	s_cbranch_execz .LBB53_100
.LBB53_111:
	s_waitcnt lgkmcnt(2)
	global_store_short v[1:2], v13, off offset:1280
	s_or_b64 exec, exec, s[0:1]
	v_cmp_gt_u32_e32 vcc, s2, v4
	s_and_saveexec_b64 s[0:1], vcc
	s_cbranch_execnz .LBB53_101
	s_branch .LBB53_102
	.section	.rodata,"a",@progbits
	.p2align	6, 0x0
	.amdhsa_kernel _ZN7rocprim17ROCPRIM_304000_NS6detail35device_block_merge_mergepath_kernelINS1_37wrapped_merge_sort_block_merge_configINS0_14default_configEsN2at4cuda3cub6detail10OpaqueTypeILi8EEEEEPsSC_PSA_SD_jNS1_19radix_merge_compareILb1ELb0EsNS0_19identity_decomposerEEEEEvT0_T1_T2_T3_T4_SL_jT5_PKSL_NS1_7vsmem_tE
		.amdhsa_group_segment_fixed_size 8208
		.amdhsa_private_segment_fixed_size 0
		.amdhsa_kernarg_size 320
		.amdhsa_user_sgpr_count 6
		.amdhsa_user_sgpr_private_segment_buffer 1
		.amdhsa_user_sgpr_dispatch_ptr 0
		.amdhsa_user_sgpr_queue_ptr 0
		.amdhsa_user_sgpr_kernarg_segment_ptr 1
		.amdhsa_user_sgpr_dispatch_id 0
		.amdhsa_user_sgpr_flat_scratch_init 0
		.amdhsa_user_sgpr_private_segment_size 0
		.amdhsa_uses_dynamic_stack 0
		.amdhsa_system_sgpr_private_segment_wavefront_offset 0
		.amdhsa_system_sgpr_workgroup_id_x 1
		.amdhsa_system_sgpr_workgroup_id_y 1
		.amdhsa_system_sgpr_workgroup_id_z 1
		.amdhsa_system_sgpr_workgroup_info 0
		.amdhsa_system_vgpr_workitem_id 0
		.amdhsa_next_free_vgpr 49
		.amdhsa_next_free_sgpr 98
		.amdhsa_reserve_vcc 1
		.amdhsa_reserve_flat_scratch 0
		.amdhsa_float_round_mode_32 0
		.amdhsa_float_round_mode_16_64 0
		.amdhsa_float_denorm_mode_32 3
		.amdhsa_float_denorm_mode_16_64 3
		.amdhsa_dx10_clamp 1
		.amdhsa_ieee_mode 1
		.amdhsa_fp16_overflow 0
		.amdhsa_exception_fp_ieee_invalid_op 0
		.amdhsa_exception_fp_denorm_src 0
		.amdhsa_exception_fp_ieee_div_zero 0
		.amdhsa_exception_fp_ieee_overflow 0
		.amdhsa_exception_fp_ieee_underflow 0
		.amdhsa_exception_fp_ieee_inexact 0
		.amdhsa_exception_int_div_zero 0
	.end_amdhsa_kernel
	.section	.text._ZN7rocprim17ROCPRIM_304000_NS6detail35device_block_merge_mergepath_kernelINS1_37wrapped_merge_sort_block_merge_configINS0_14default_configEsN2at4cuda3cub6detail10OpaqueTypeILi8EEEEEPsSC_PSA_SD_jNS1_19radix_merge_compareILb1ELb0EsNS0_19identity_decomposerEEEEEvT0_T1_T2_T3_T4_SL_jT5_PKSL_NS1_7vsmem_tE,"axG",@progbits,_ZN7rocprim17ROCPRIM_304000_NS6detail35device_block_merge_mergepath_kernelINS1_37wrapped_merge_sort_block_merge_configINS0_14default_configEsN2at4cuda3cub6detail10OpaqueTypeILi8EEEEEPsSC_PSA_SD_jNS1_19radix_merge_compareILb1ELb0EsNS0_19identity_decomposerEEEEEvT0_T1_T2_T3_T4_SL_jT5_PKSL_NS1_7vsmem_tE,comdat
.Lfunc_end53:
	.size	_ZN7rocprim17ROCPRIM_304000_NS6detail35device_block_merge_mergepath_kernelINS1_37wrapped_merge_sort_block_merge_configINS0_14default_configEsN2at4cuda3cub6detail10OpaqueTypeILi8EEEEEPsSC_PSA_SD_jNS1_19radix_merge_compareILb1ELb0EsNS0_19identity_decomposerEEEEEvT0_T1_T2_T3_T4_SL_jT5_PKSL_NS1_7vsmem_tE, .Lfunc_end53-_ZN7rocprim17ROCPRIM_304000_NS6detail35device_block_merge_mergepath_kernelINS1_37wrapped_merge_sort_block_merge_configINS0_14default_configEsN2at4cuda3cub6detail10OpaqueTypeILi8EEEEEPsSC_PSA_SD_jNS1_19radix_merge_compareILb1ELb0EsNS0_19identity_decomposerEEEEEvT0_T1_T2_T3_T4_SL_jT5_PKSL_NS1_7vsmem_tE
                                        ; -- End function
	.set _ZN7rocprim17ROCPRIM_304000_NS6detail35device_block_merge_mergepath_kernelINS1_37wrapped_merge_sort_block_merge_configINS0_14default_configEsN2at4cuda3cub6detail10OpaqueTypeILi8EEEEEPsSC_PSA_SD_jNS1_19radix_merge_compareILb1ELb0EsNS0_19identity_decomposerEEEEEvT0_T1_T2_T3_T4_SL_jT5_PKSL_NS1_7vsmem_tE.num_vgpr, 34
	.set _ZN7rocprim17ROCPRIM_304000_NS6detail35device_block_merge_mergepath_kernelINS1_37wrapped_merge_sort_block_merge_configINS0_14default_configEsN2at4cuda3cub6detail10OpaqueTypeILi8EEEEEPsSC_PSA_SD_jNS1_19radix_merge_compareILb1ELb0EsNS0_19identity_decomposerEEEEEvT0_T1_T2_T3_T4_SL_jT5_PKSL_NS1_7vsmem_tE.num_agpr, 0
	.set _ZN7rocprim17ROCPRIM_304000_NS6detail35device_block_merge_mergepath_kernelINS1_37wrapped_merge_sort_block_merge_configINS0_14default_configEsN2at4cuda3cub6detail10OpaqueTypeILi8EEEEEPsSC_PSA_SD_jNS1_19radix_merge_compareILb1ELb0EsNS0_19identity_decomposerEEEEEvT0_T1_T2_T3_T4_SL_jT5_PKSL_NS1_7vsmem_tE.numbered_sgpr, 34
	.set _ZN7rocprim17ROCPRIM_304000_NS6detail35device_block_merge_mergepath_kernelINS1_37wrapped_merge_sort_block_merge_configINS0_14default_configEsN2at4cuda3cub6detail10OpaqueTypeILi8EEEEEPsSC_PSA_SD_jNS1_19radix_merge_compareILb1ELb0EsNS0_19identity_decomposerEEEEEvT0_T1_T2_T3_T4_SL_jT5_PKSL_NS1_7vsmem_tE.num_named_barrier, 0
	.set _ZN7rocprim17ROCPRIM_304000_NS6detail35device_block_merge_mergepath_kernelINS1_37wrapped_merge_sort_block_merge_configINS0_14default_configEsN2at4cuda3cub6detail10OpaqueTypeILi8EEEEEPsSC_PSA_SD_jNS1_19radix_merge_compareILb1ELb0EsNS0_19identity_decomposerEEEEEvT0_T1_T2_T3_T4_SL_jT5_PKSL_NS1_7vsmem_tE.private_seg_size, 0
	.set _ZN7rocprim17ROCPRIM_304000_NS6detail35device_block_merge_mergepath_kernelINS1_37wrapped_merge_sort_block_merge_configINS0_14default_configEsN2at4cuda3cub6detail10OpaqueTypeILi8EEEEEPsSC_PSA_SD_jNS1_19radix_merge_compareILb1ELb0EsNS0_19identity_decomposerEEEEEvT0_T1_T2_T3_T4_SL_jT5_PKSL_NS1_7vsmem_tE.uses_vcc, 1
	.set _ZN7rocprim17ROCPRIM_304000_NS6detail35device_block_merge_mergepath_kernelINS1_37wrapped_merge_sort_block_merge_configINS0_14default_configEsN2at4cuda3cub6detail10OpaqueTypeILi8EEEEEPsSC_PSA_SD_jNS1_19radix_merge_compareILb1ELb0EsNS0_19identity_decomposerEEEEEvT0_T1_T2_T3_T4_SL_jT5_PKSL_NS1_7vsmem_tE.uses_flat_scratch, 0
	.set _ZN7rocprim17ROCPRIM_304000_NS6detail35device_block_merge_mergepath_kernelINS1_37wrapped_merge_sort_block_merge_configINS0_14default_configEsN2at4cuda3cub6detail10OpaqueTypeILi8EEEEEPsSC_PSA_SD_jNS1_19radix_merge_compareILb1ELb0EsNS0_19identity_decomposerEEEEEvT0_T1_T2_T3_T4_SL_jT5_PKSL_NS1_7vsmem_tE.has_dyn_sized_stack, 0
	.set _ZN7rocprim17ROCPRIM_304000_NS6detail35device_block_merge_mergepath_kernelINS1_37wrapped_merge_sort_block_merge_configINS0_14default_configEsN2at4cuda3cub6detail10OpaqueTypeILi8EEEEEPsSC_PSA_SD_jNS1_19radix_merge_compareILb1ELb0EsNS0_19identity_decomposerEEEEEvT0_T1_T2_T3_T4_SL_jT5_PKSL_NS1_7vsmem_tE.has_recursion, 0
	.set _ZN7rocprim17ROCPRIM_304000_NS6detail35device_block_merge_mergepath_kernelINS1_37wrapped_merge_sort_block_merge_configINS0_14default_configEsN2at4cuda3cub6detail10OpaqueTypeILi8EEEEEPsSC_PSA_SD_jNS1_19radix_merge_compareILb1ELb0EsNS0_19identity_decomposerEEEEEvT0_T1_T2_T3_T4_SL_jT5_PKSL_NS1_7vsmem_tE.has_indirect_call, 0
	.section	.AMDGPU.csdata,"",@progbits
; Kernel info:
; codeLenInByte = 6092
; TotalNumSgprs: 38
; NumVgprs: 34
; ScratchSize: 0
; MemoryBound: 0
; FloatMode: 240
; IeeeMode: 1
; LDSByteSize: 8208 bytes/workgroup (compile time only)
; SGPRBlocks: 12
; VGPRBlocks: 12
; NumSGPRsForWavesPerEU: 102
; NumVGPRsForWavesPerEU: 49
; Occupancy: 4
; WaveLimiterHint : 1
; COMPUTE_PGM_RSRC2:SCRATCH_EN: 0
; COMPUTE_PGM_RSRC2:USER_SGPR: 6
; COMPUTE_PGM_RSRC2:TRAP_HANDLER: 0
; COMPUTE_PGM_RSRC2:TGID_X_EN: 1
; COMPUTE_PGM_RSRC2:TGID_Y_EN: 1
; COMPUTE_PGM_RSRC2:TGID_Z_EN: 1
; COMPUTE_PGM_RSRC2:TIDIG_COMP_CNT: 0
	.section	.text._ZN7rocprim17ROCPRIM_304000_NS6detail33device_block_merge_oddeven_kernelINS1_37wrapped_merge_sort_block_merge_configINS0_14default_configEsN2at4cuda3cub6detail10OpaqueTypeILi8EEEEEPsSC_PSA_SD_jNS1_19radix_merge_compareILb1ELb0EsNS0_19identity_decomposerEEEEEvT0_T1_T2_T3_T4_SL_T5_,"axG",@progbits,_ZN7rocprim17ROCPRIM_304000_NS6detail33device_block_merge_oddeven_kernelINS1_37wrapped_merge_sort_block_merge_configINS0_14default_configEsN2at4cuda3cub6detail10OpaqueTypeILi8EEEEEPsSC_PSA_SD_jNS1_19radix_merge_compareILb1ELb0EsNS0_19identity_decomposerEEEEEvT0_T1_T2_T3_T4_SL_T5_,comdat
	.protected	_ZN7rocprim17ROCPRIM_304000_NS6detail33device_block_merge_oddeven_kernelINS1_37wrapped_merge_sort_block_merge_configINS0_14default_configEsN2at4cuda3cub6detail10OpaqueTypeILi8EEEEEPsSC_PSA_SD_jNS1_19radix_merge_compareILb1ELb0EsNS0_19identity_decomposerEEEEEvT0_T1_T2_T3_T4_SL_T5_ ; -- Begin function _ZN7rocprim17ROCPRIM_304000_NS6detail33device_block_merge_oddeven_kernelINS1_37wrapped_merge_sort_block_merge_configINS0_14default_configEsN2at4cuda3cub6detail10OpaqueTypeILi8EEEEEPsSC_PSA_SD_jNS1_19radix_merge_compareILb1ELb0EsNS0_19identity_decomposerEEEEEvT0_T1_T2_T3_T4_SL_T5_
	.globl	_ZN7rocprim17ROCPRIM_304000_NS6detail33device_block_merge_oddeven_kernelINS1_37wrapped_merge_sort_block_merge_configINS0_14default_configEsN2at4cuda3cub6detail10OpaqueTypeILi8EEEEEPsSC_PSA_SD_jNS1_19radix_merge_compareILb1ELb0EsNS0_19identity_decomposerEEEEEvT0_T1_T2_T3_T4_SL_T5_
	.p2align	8
	.type	_ZN7rocprim17ROCPRIM_304000_NS6detail33device_block_merge_oddeven_kernelINS1_37wrapped_merge_sort_block_merge_configINS0_14default_configEsN2at4cuda3cub6detail10OpaqueTypeILi8EEEEEPsSC_PSA_SD_jNS1_19radix_merge_compareILb1ELb0EsNS0_19identity_decomposerEEEEEvT0_T1_T2_T3_T4_SL_T5_,@function
_ZN7rocprim17ROCPRIM_304000_NS6detail33device_block_merge_oddeven_kernelINS1_37wrapped_merge_sort_block_merge_configINS0_14default_configEsN2at4cuda3cub6detail10OpaqueTypeILi8EEEEEPsSC_PSA_SD_jNS1_19radix_merge_compareILb1ELb0EsNS0_19identity_decomposerEEEEEvT0_T1_T2_T3_T4_SL_T5_: ; @_ZN7rocprim17ROCPRIM_304000_NS6detail33device_block_merge_oddeven_kernelINS1_37wrapped_merge_sort_block_merge_configINS0_14default_configEsN2at4cuda3cub6detail10OpaqueTypeILi8EEEEEPsSC_PSA_SD_jNS1_19radix_merge_compareILb1ELb0EsNS0_19identity_decomposerEEEEEvT0_T1_T2_T3_T4_SL_T5_
; %bb.0:
	s_load_dwordx2 s[18:19], s[4:5], 0x20
	s_waitcnt lgkmcnt(0)
	s_lshr_b32 s0, s18, 8
	s_cmp_eq_u32 s6, s0
	s_cselect_b64 s[16:17], -1, 0
	s_cmp_lg_u32 s6, s0
	s_cselect_b64 s[0:1], -1, 0
	s_lshl_b32 s20, s6, 8
	s_sub_i32 s2, s18, s20
	v_cmp_gt_u32_e64 s[2:3], s2, v0
	s_or_b64 s[0:1], s[0:1], s[2:3]
	s_and_saveexec_b64 s[8:9], s[0:1]
	s_cbranch_execz .LBB54_24
; %bb.1:
	s_load_dwordx8 s[8:15], s[4:5], 0x0
	s_mov_b32 s21, 0
	s_lshl_b64 s[0:1], s[20:21], 1
	v_lshlrev_b32_e32 v4, 3, v0
	v_lshlrev_b32_e32 v3, 1, v0
	s_waitcnt lgkmcnt(0)
	s_add_u32 s0, s8, s0
	s_addc_u32 s1, s9, s1
	s_lshl_b64 s[4:5], s[20:21], 3
	s_add_u32 s4, s12, s4
	s_addc_u32 s5, s13, s5
	global_load_dwordx2 v[1:2], v4, s[4:5]
	global_load_ushort v5, v3, s[0:1]
	s_lshr_b32 s0, s19, 8
	s_sub_i32 s1, 0, s0
	s_and_b32 s1, s6, s1
	s_and_b32 s0, s1, s0
	s_lshl_b32 s13, s1, 8
	s_sub_i32 s6, 0, s19
	s_cmp_eq_u32 s0, 0
	s_cselect_b64 s[0:1], -1, 0
	s_and_b64 s[4:5], s[0:1], exec
	s_cselect_b32 s6, s19, s6
	s_add_i32 s6, s6, s13
	s_mov_b64 s[4:5], -1
	s_cmp_gt_u32 s18, s6
	v_add_u32_e32 v3, s20, v0
	s_cbranch_scc1 .LBB54_9
; %bb.2:
	s_and_b64 vcc, exec, s[16:17]
	s_cbranch_vccz .LBB54_6
; %bb.3:
	v_cmp_gt_u32_e32 vcc, s18, v3
	s_and_saveexec_b64 s[4:5], vcc
	s_cbranch_execz .LBB54_5
; %bb.4:
	v_mov_b32_e32 v4, 0
	v_lshlrev_b64 v[6:7], 3, v[3:4]
	v_mov_b32_e32 v0, s15
	v_add_co_u32_e32 v6, vcc, s14, v6
	v_lshlrev_b64 v[8:9], 1, v[3:4]
	v_addc_co_u32_e32 v7, vcc, v0, v7, vcc
	v_mov_b32_e32 v0, s11
	v_add_co_u32_e32 v8, vcc, s10, v8
	v_addc_co_u32_e32 v9, vcc, v0, v9, vcc
	s_waitcnt vmcnt(0)
	global_store_short v[8:9], v5, off
	global_store_dwordx2 v[6:7], v[1:2], off
.LBB54_5:
	s_or_b64 exec, exec, s[4:5]
	s_mov_b64 s[4:5], 0
.LBB54_6:
	s_andn2_b64 vcc, exec, s[4:5]
	s_cbranch_vccnz .LBB54_8
; %bb.7:
	v_mov_b32_e32 v4, 0
	v_lshlrev_b64 v[6:7], 1, v[3:4]
	v_mov_b32_e32 v0, s11
	v_add_co_u32_e32 v6, vcc, s10, v6
	v_lshlrev_b64 v[8:9], 3, v[3:4]
	v_addc_co_u32_e32 v7, vcc, v0, v7, vcc
	v_mov_b32_e32 v0, s15
	v_add_co_u32_e32 v8, vcc, s14, v8
	v_addc_co_u32_e32 v9, vcc, v0, v9, vcc
	s_waitcnt vmcnt(0)
	global_store_short v[6:7], v5, off
	global_store_dwordx2 v[8:9], v[1:2], off
.LBB54_8:
	s_mov_b64 s[4:5], 0
.LBB54_9:
	s_andn2_b64 vcc, exec, s[4:5]
	s_cbranch_vccnz .LBB54_24
; %bb.10:
	s_min_u32 s7, s6, s18
	s_add_i32 s4, s7, s19
	s_min_u32 s12, s4, s18
	s_min_u32 s4, s13, s7
	s_add_i32 s13, s13, s7
	v_subrev_u32_e32 v0, s13, v3
	v_add_u32_e32 v0, s4, v0
	s_andn2_b64 vcc, exec, s[16:17]
	s_mov_b64 s[4:5], -1
	s_cbranch_vccnz .LBB54_18
; %bb.11:
	s_and_saveexec_b64 s[4:5], s[2:3]
	s_cbranch_execz .LBB54_17
; %bb.12:
	s_cmp_ge_u32 s6, s12
	v_mov_b32_e32 v3, s7
	s_cbranch_scc1 .LBB54_16
; %bb.13:
	s_mov_b64 s[2:3], 0
	v_mov_b32_e32 v4, s12
	v_mov_b32_e32 v3, s7
.LBB54_14:                              ; =>This Inner Loop Header: Depth=1
	v_add_u32_e32 v6, v3, v4
	v_and_b32_e32 v7, -2, v6
	global_load_ushort v7, v7, s[8:9]
	v_lshrrev_b32_e32 v6, 1, v6
	v_add_u32_e32 v8, 1, v6
	s_waitcnt vmcnt(0)
	v_cmp_gt_i16_e32 vcc, v7, v5
	v_cndmask_b32_e64 v9, 0, 1, vcc
	v_cmp_le_i16_e32 vcc, v5, v7
	v_cndmask_b32_e64 v7, 0, 1, vcc
	v_cndmask_b32_e64 v7, v7, v9, s[0:1]
	v_and_b32_e32 v7, 1, v7
	v_cmp_eq_u32_e32 vcc, 1, v7
	v_cndmask_b32_e32 v4, v6, v4, vcc
	v_cndmask_b32_e32 v3, v3, v8, vcc
	v_cmp_ge_u32_e32 vcc, v3, v4
	s_or_b64 s[2:3], vcc, s[2:3]
	s_andn2_b64 exec, exec, s[2:3]
	s_cbranch_execnz .LBB54_14
; %bb.15:
	s_or_b64 exec, exec, s[2:3]
.LBB54_16:
	v_add_u32_e32 v3, v3, v0
	v_mov_b32_e32 v4, 0
	v_lshlrev_b64 v[6:7], 1, v[3:4]
	v_mov_b32_e32 v8, s11
	v_add_co_u32_e32 v6, vcc, s10, v6
	v_lshlrev_b64 v[3:4], 3, v[3:4]
	v_addc_co_u32_e32 v7, vcc, v8, v7, vcc
	s_waitcnt vmcnt(0)
	global_store_short v[6:7], v5, off
	v_mov_b32_e32 v6, s15
	v_add_co_u32_e32 v3, vcc, s14, v3
	v_addc_co_u32_e32 v4, vcc, v6, v4, vcc
	global_store_dwordx2 v[3:4], v[1:2], off
.LBB54_17:
	s_or_b64 exec, exec, s[4:5]
	s_mov_b64 s[4:5], 0
.LBB54_18:
	s_andn2_b64 vcc, exec, s[4:5]
	s_cbranch_vccnz .LBB54_24
; %bb.19:
	s_cmp_ge_u32 s6, s12
	v_mov_b32_e32 v3, s7
	s_cbranch_scc1 .LBB54_23
; %bb.20:
	s_mov_b64 s[2:3], 0
	v_mov_b32_e32 v4, s12
	v_mov_b32_e32 v3, s7
.LBB54_21:                              ; =>This Inner Loop Header: Depth=1
	v_add_u32_e32 v6, v3, v4
	v_and_b32_e32 v7, -2, v6
	global_load_ushort v7, v7, s[8:9]
	v_lshrrev_b32_e32 v6, 1, v6
	v_add_u32_e32 v8, 1, v6
	s_waitcnt vmcnt(0)
	v_cmp_gt_i16_e32 vcc, v7, v5
	v_cndmask_b32_e64 v9, 0, 1, vcc
	v_cmp_le_i16_e32 vcc, v5, v7
	v_cndmask_b32_e64 v7, 0, 1, vcc
	v_cndmask_b32_e64 v7, v7, v9, s[0:1]
	v_and_b32_e32 v7, 1, v7
	v_cmp_eq_u32_e32 vcc, 1, v7
	v_cndmask_b32_e32 v4, v6, v4, vcc
	v_cndmask_b32_e32 v3, v3, v8, vcc
	v_cmp_ge_u32_e32 vcc, v3, v4
	s_or_b64 s[2:3], vcc, s[2:3]
	s_andn2_b64 exec, exec, s[2:3]
	s_cbranch_execnz .LBB54_21
; %bb.22:
	s_or_b64 exec, exec, s[2:3]
.LBB54_23:
	v_add_u32_e32 v3, v3, v0
	v_mov_b32_e32 v4, 0
	v_lshlrev_b64 v[6:7], 1, v[3:4]
	v_mov_b32_e32 v0, s11
	v_add_co_u32_e32 v6, vcc, s10, v6
	v_lshlrev_b64 v[3:4], 3, v[3:4]
	v_addc_co_u32_e32 v7, vcc, v0, v7, vcc
	v_mov_b32_e32 v0, s15
	v_add_co_u32_e32 v3, vcc, s14, v3
	v_addc_co_u32_e32 v4, vcc, v0, v4, vcc
	s_waitcnt vmcnt(0)
	global_store_short v[6:7], v5, off
	global_store_dwordx2 v[3:4], v[1:2], off
.LBB54_24:
	s_endpgm
	.section	.rodata,"a",@progbits
	.p2align	6, 0x0
	.amdhsa_kernel _ZN7rocprim17ROCPRIM_304000_NS6detail33device_block_merge_oddeven_kernelINS1_37wrapped_merge_sort_block_merge_configINS0_14default_configEsN2at4cuda3cub6detail10OpaqueTypeILi8EEEEEPsSC_PSA_SD_jNS1_19radix_merge_compareILb1ELb0EsNS0_19identity_decomposerEEEEEvT0_T1_T2_T3_T4_SL_T5_
		.amdhsa_group_segment_fixed_size 0
		.amdhsa_private_segment_fixed_size 0
		.amdhsa_kernarg_size 44
		.amdhsa_user_sgpr_count 6
		.amdhsa_user_sgpr_private_segment_buffer 1
		.amdhsa_user_sgpr_dispatch_ptr 0
		.amdhsa_user_sgpr_queue_ptr 0
		.amdhsa_user_sgpr_kernarg_segment_ptr 1
		.amdhsa_user_sgpr_dispatch_id 0
		.amdhsa_user_sgpr_flat_scratch_init 0
		.amdhsa_user_sgpr_private_segment_size 0
		.amdhsa_uses_dynamic_stack 0
		.amdhsa_system_sgpr_private_segment_wavefront_offset 0
		.amdhsa_system_sgpr_workgroup_id_x 1
		.amdhsa_system_sgpr_workgroup_id_y 0
		.amdhsa_system_sgpr_workgroup_id_z 0
		.amdhsa_system_sgpr_workgroup_info 0
		.amdhsa_system_vgpr_workitem_id 0
		.amdhsa_next_free_vgpr 10
		.amdhsa_next_free_sgpr 22
		.amdhsa_reserve_vcc 1
		.amdhsa_reserve_flat_scratch 0
		.amdhsa_float_round_mode_32 0
		.amdhsa_float_round_mode_16_64 0
		.amdhsa_float_denorm_mode_32 3
		.amdhsa_float_denorm_mode_16_64 3
		.amdhsa_dx10_clamp 1
		.amdhsa_ieee_mode 1
		.amdhsa_fp16_overflow 0
		.amdhsa_exception_fp_ieee_invalid_op 0
		.amdhsa_exception_fp_denorm_src 0
		.amdhsa_exception_fp_ieee_div_zero 0
		.amdhsa_exception_fp_ieee_overflow 0
		.amdhsa_exception_fp_ieee_underflow 0
		.amdhsa_exception_fp_ieee_inexact 0
		.amdhsa_exception_int_div_zero 0
	.end_amdhsa_kernel
	.section	.text._ZN7rocprim17ROCPRIM_304000_NS6detail33device_block_merge_oddeven_kernelINS1_37wrapped_merge_sort_block_merge_configINS0_14default_configEsN2at4cuda3cub6detail10OpaqueTypeILi8EEEEEPsSC_PSA_SD_jNS1_19radix_merge_compareILb1ELb0EsNS0_19identity_decomposerEEEEEvT0_T1_T2_T3_T4_SL_T5_,"axG",@progbits,_ZN7rocprim17ROCPRIM_304000_NS6detail33device_block_merge_oddeven_kernelINS1_37wrapped_merge_sort_block_merge_configINS0_14default_configEsN2at4cuda3cub6detail10OpaqueTypeILi8EEEEEPsSC_PSA_SD_jNS1_19radix_merge_compareILb1ELb0EsNS0_19identity_decomposerEEEEEvT0_T1_T2_T3_T4_SL_T5_,comdat
.Lfunc_end54:
	.size	_ZN7rocprim17ROCPRIM_304000_NS6detail33device_block_merge_oddeven_kernelINS1_37wrapped_merge_sort_block_merge_configINS0_14default_configEsN2at4cuda3cub6detail10OpaqueTypeILi8EEEEEPsSC_PSA_SD_jNS1_19radix_merge_compareILb1ELb0EsNS0_19identity_decomposerEEEEEvT0_T1_T2_T3_T4_SL_T5_, .Lfunc_end54-_ZN7rocprim17ROCPRIM_304000_NS6detail33device_block_merge_oddeven_kernelINS1_37wrapped_merge_sort_block_merge_configINS0_14default_configEsN2at4cuda3cub6detail10OpaqueTypeILi8EEEEEPsSC_PSA_SD_jNS1_19radix_merge_compareILb1ELb0EsNS0_19identity_decomposerEEEEEvT0_T1_T2_T3_T4_SL_T5_
                                        ; -- End function
	.set _ZN7rocprim17ROCPRIM_304000_NS6detail33device_block_merge_oddeven_kernelINS1_37wrapped_merge_sort_block_merge_configINS0_14default_configEsN2at4cuda3cub6detail10OpaqueTypeILi8EEEEEPsSC_PSA_SD_jNS1_19radix_merge_compareILb1ELb0EsNS0_19identity_decomposerEEEEEvT0_T1_T2_T3_T4_SL_T5_.num_vgpr, 10
	.set _ZN7rocprim17ROCPRIM_304000_NS6detail33device_block_merge_oddeven_kernelINS1_37wrapped_merge_sort_block_merge_configINS0_14default_configEsN2at4cuda3cub6detail10OpaqueTypeILi8EEEEEPsSC_PSA_SD_jNS1_19radix_merge_compareILb1ELb0EsNS0_19identity_decomposerEEEEEvT0_T1_T2_T3_T4_SL_T5_.num_agpr, 0
	.set _ZN7rocprim17ROCPRIM_304000_NS6detail33device_block_merge_oddeven_kernelINS1_37wrapped_merge_sort_block_merge_configINS0_14default_configEsN2at4cuda3cub6detail10OpaqueTypeILi8EEEEEPsSC_PSA_SD_jNS1_19radix_merge_compareILb1ELb0EsNS0_19identity_decomposerEEEEEvT0_T1_T2_T3_T4_SL_T5_.numbered_sgpr, 22
	.set _ZN7rocprim17ROCPRIM_304000_NS6detail33device_block_merge_oddeven_kernelINS1_37wrapped_merge_sort_block_merge_configINS0_14default_configEsN2at4cuda3cub6detail10OpaqueTypeILi8EEEEEPsSC_PSA_SD_jNS1_19radix_merge_compareILb1ELb0EsNS0_19identity_decomposerEEEEEvT0_T1_T2_T3_T4_SL_T5_.num_named_barrier, 0
	.set _ZN7rocprim17ROCPRIM_304000_NS6detail33device_block_merge_oddeven_kernelINS1_37wrapped_merge_sort_block_merge_configINS0_14default_configEsN2at4cuda3cub6detail10OpaqueTypeILi8EEEEEPsSC_PSA_SD_jNS1_19radix_merge_compareILb1ELb0EsNS0_19identity_decomposerEEEEEvT0_T1_T2_T3_T4_SL_T5_.private_seg_size, 0
	.set _ZN7rocprim17ROCPRIM_304000_NS6detail33device_block_merge_oddeven_kernelINS1_37wrapped_merge_sort_block_merge_configINS0_14default_configEsN2at4cuda3cub6detail10OpaqueTypeILi8EEEEEPsSC_PSA_SD_jNS1_19radix_merge_compareILb1ELb0EsNS0_19identity_decomposerEEEEEvT0_T1_T2_T3_T4_SL_T5_.uses_vcc, 1
	.set _ZN7rocprim17ROCPRIM_304000_NS6detail33device_block_merge_oddeven_kernelINS1_37wrapped_merge_sort_block_merge_configINS0_14default_configEsN2at4cuda3cub6detail10OpaqueTypeILi8EEEEEPsSC_PSA_SD_jNS1_19radix_merge_compareILb1ELb0EsNS0_19identity_decomposerEEEEEvT0_T1_T2_T3_T4_SL_T5_.uses_flat_scratch, 0
	.set _ZN7rocprim17ROCPRIM_304000_NS6detail33device_block_merge_oddeven_kernelINS1_37wrapped_merge_sort_block_merge_configINS0_14default_configEsN2at4cuda3cub6detail10OpaqueTypeILi8EEEEEPsSC_PSA_SD_jNS1_19radix_merge_compareILb1ELb0EsNS0_19identity_decomposerEEEEEvT0_T1_T2_T3_T4_SL_T5_.has_dyn_sized_stack, 0
	.set _ZN7rocprim17ROCPRIM_304000_NS6detail33device_block_merge_oddeven_kernelINS1_37wrapped_merge_sort_block_merge_configINS0_14default_configEsN2at4cuda3cub6detail10OpaqueTypeILi8EEEEEPsSC_PSA_SD_jNS1_19radix_merge_compareILb1ELb0EsNS0_19identity_decomposerEEEEEvT0_T1_T2_T3_T4_SL_T5_.has_recursion, 0
	.set _ZN7rocprim17ROCPRIM_304000_NS6detail33device_block_merge_oddeven_kernelINS1_37wrapped_merge_sort_block_merge_configINS0_14default_configEsN2at4cuda3cub6detail10OpaqueTypeILi8EEEEEPsSC_PSA_SD_jNS1_19radix_merge_compareILb1ELb0EsNS0_19identity_decomposerEEEEEvT0_T1_T2_T3_T4_SL_T5_.has_indirect_call, 0
	.section	.AMDGPU.csdata,"",@progbits
; Kernel info:
; codeLenInByte = 804
; TotalNumSgprs: 26
; NumVgprs: 10
; ScratchSize: 0
; MemoryBound: 0
; FloatMode: 240
; IeeeMode: 1
; LDSByteSize: 0 bytes/workgroup (compile time only)
; SGPRBlocks: 3
; VGPRBlocks: 2
; NumSGPRsForWavesPerEU: 26
; NumVGPRsForWavesPerEU: 10
; Occupancy: 10
; WaveLimiterHint : 0
; COMPUTE_PGM_RSRC2:SCRATCH_EN: 0
; COMPUTE_PGM_RSRC2:USER_SGPR: 6
; COMPUTE_PGM_RSRC2:TRAP_HANDLER: 0
; COMPUTE_PGM_RSRC2:TGID_X_EN: 1
; COMPUTE_PGM_RSRC2:TGID_Y_EN: 0
; COMPUTE_PGM_RSRC2:TGID_Z_EN: 0
; COMPUTE_PGM_RSRC2:TIDIG_COMP_CNT: 0
	.section	.text._ZN7rocprim17ROCPRIM_304000_NS6detail16transform_kernelINS1_24wrapped_transform_configINS0_14default_configEsEEsPsS6_NS0_8identityIsEEEEvT1_mT2_T3_,"axG",@progbits,_ZN7rocprim17ROCPRIM_304000_NS6detail16transform_kernelINS1_24wrapped_transform_configINS0_14default_configEsEEsPsS6_NS0_8identityIsEEEEvT1_mT2_T3_,comdat
	.protected	_ZN7rocprim17ROCPRIM_304000_NS6detail16transform_kernelINS1_24wrapped_transform_configINS0_14default_configEsEEsPsS6_NS0_8identityIsEEEEvT1_mT2_T3_ ; -- Begin function _ZN7rocprim17ROCPRIM_304000_NS6detail16transform_kernelINS1_24wrapped_transform_configINS0_14default_configEsEEsPsS6_NS0_8identityIsEEEEvT1_mT2_T3_
	.globl	_ZN7rocprim17ROCPRIM_304000_NS6detail16transform_kernelINS1_24wrapped_transform_configINS0_14default_configEsEEsPsS6_NS0_8identityIsEEEEvT1_mT2_T3_
	.p2align	8
	.type	_ZN7rocprim17ROCPRIM_304000_NS6detail16transform_kernelINS1_24wrapped_transform_configINS0_14default_configEsEEsPsS6_NS0_8identityIsEEEEvT1_mT2_T3_,@function
_ZN7rocprim17ROCPRIM_304000_NS6detail16transform_kernelINS1_24wrapped_transform_configINS0_14default_configEsEEsPsS6_NS0_8identityIsEEEEvT1_mT2_T3_: ; @_ZN7rocprim17ROCPRIM_304000_NS6detail16transform_kernelINS1_24wrapped_transform_configINS0_14default_configEsEEsPsS6_NS0_8identityIsEEEEvT1_mT2_T3_
; %bb.0:
	s_load_dword s7, s[4:5], 0x20
	s_load_dwordx4 s[0:3], s[4:5], 0x0
	s_load_dwordx2 s[8:9], s[4:5], 0x10
	s_lshl_b32 s4, s6, 11
	s_mov_b32 s5, 0
	s_waitcnt lgkmcnt(0)
	s_add_i32 s7, s7, -1
	s_lshl_b64 s[10:11], s[4:5], 1
	s_add_u32 s0, s0, s10
	s_addc_u32 s1, s1, s11
	v_lshlrev_b32_e32 v5, 1, v0
	v_mov_b32_e32 v1, s1
	v_add_co_u32_e32 v3, vcc, s0, v5
	s_cmp_lg_u32 s6, s7
	v_addc_co_u32_e32 v4, vcc, 0, v1, vcc
	s_cbranch_scc0 .LBB55_2
; %bb.1:
	global_load_ushort v2, v[3:4], off
	global_load_ushort v6, v[3:4], off offset:1024
	global_load_ushort v7, v[3:4], off offset:2048
	;; [unrolled: 1-line block ×3, first 2 shown]
	s_add_u32 s6, s8, s10
	s_addc_u32 s7, s9, s11
	s_mov_b64 s[12:13], -1
	s_waitcnt vmcnt(3)
	global_store_short v5, v2, s[6:7]
	s_waitcnt vmcnt(3)
	global_store_short v5, v6, s[6:7] offset:1024
	s_waitcnt vmcnt(3)
	global_store_short v5, v7, s[6:7] offset:2048
	s_cbranch_execz .LBB55_3
	s_branch .LBB55_17
.LBB55_2:
	s_mov_b64 s[12:13], 0
                                        ; implicit-def: $vgpr1
.LBB55_3:
	s_sub_i32 s6, s2, s4
	s_waitcnt vmcnt(3)
	v_mov_b32_e32 v1, 0
	v_cmp_gt_u32_e32 vcc, s6, v0
	v_mov_b32_e32 v2, v1
	s_and_saveexec_b64 s[0:1], vcc
	s_cbranch_execz .LBB55_5
; %bb.4:
	global_load_ushort v2, v[3:4], off
	v_mov_b32_e32 v7, v1
	s_waitcnt vmcnt(0)
	v_and_b32_e32 v6, 0xffff, v2
	v_mov_b32_e32 v1, v6
	v_mov_b32_e32 v2, v7
.LBB55_5:
	s_or_b64 exec, exec, s[0:1]
	v_or_b32_e32 v6, 0x200, v0
	v_cmp_gt_u32_e64 s[0:1], s6, v6
	s_and_saveexec_b64 s[2:3], s[0:1]
	s_cbranch_execz .LBB55_7
; %bb.6:
	global_load_ushort v6, v[3:4], off offset:1024
	s_mov_b32 s4, 0x5040100
	s_waitcnt vmcnt(0)
	v_perm_b32 v1, v6, v1, s4
.LBB55_7:
	s_or_b64 exec, exec, s[2:3]
	v_or_b32_e32 v6, 0x400, v0
	v_cmp_gt_u32_e64 s[2:3], s6, v6
	s_and_saveexec_b64 s[4:5], s[2:3]
	s_cbranch_execz .LBB55_9
; %bb.8:
	global_load_ushort v6, v[3:4], off offset:2048
	s_mov_b32 s7, 0xffff
	s_waitcnt vmcnt(0)
	v_bfi_b32 v2, s7, v6, v2
.LBB55_9:
	s_or_b64 exec, exec, s[4:5]
	v_or_b32_e32 v0, 0x600, v0
	v_cmp_gt_u32_e64 s[4:5], s6, v0
	s_and_saveexec_b64 s[6:7], s[4:5]
	s_cbranch_execz .LBB55_11
; %bb.10:
	global_load_ushort v0, v[3:4], off offset:3072
	s_mov_b32 s14, 0x5040100
	s_waitcnt vmcnt(0)
	v_perm_b32 v2, v0, v2, s14
.LBB55_11:
	s_or_b64 exec, exec, s[6:7]
	s_add_u32 s6, s8, s10
	s_addc_u32 s7, s9, s11
	v_mov_b32_e32 v0, 0
	v_mov_b32_e32 v4, s7
	v_add_co_u32_e64 v3, s[6:7], s6, v5
	v_cndmask_b32_sdwa v0, v0, v1, vcc dst_sel:DWORD dst_unused:UNUSED_PAD src0_sel:DWORD src1_sel:WORD_0
	v_addc_co_u32_e64 v4, s[6:7], 0, v4, s[6:7]
	s_and_saveexec_b64 s[6:7], vcc
	s_cbranch_execnz .LBB55_20
; %bb.12:
	s_or_b64 exec, exec, s[6:7]
	v_cndmask_b32_e64 v0, v0, v1, s[0:1]
	s_and_saveexec_b64 s[6:7], s[0:1]
	s_cbranch_execnz .LBB55_21
.LBB55_13:
	s_or_b64 exec, exec, s[6:7]
	s_and_saveexec_b64 s[0:1], s[2:3]
	s_cbranch_execnz .LBB55_22
.LBB55_14:
	s_or_b64 exec, exec, s[0:1]
                                        ; implicit-def: $vgpr1
	s_and_saveexec_b64 s[0:1], s[4:5]
.LBB55_15:
	v_cndmask_b32_e64 v0, 0, v2, s[4:5]
	v_lshrrev_b32_e32 v1, 16, v0
	s_or_b64 s[12:13], s[12:13], exec
.LBB55_16:
	s_or_b64 exec, exec, s[0:1]
.LBB55_17:
	s_and_saveexec_b64 s[0:1], s[12:13]
	s_cbranch_execnz .LBB55_19
; %bb.18:
	s_endpgm
.LBB55_19:
	s_add_u32 s0, s8, s10
	s_addc_u32 s1, s9, s11
	s_waitcnt vmcnt(3)
	global_store_short v5, v1, s[0:1] offset:3072
	s_endpgm
.LBB55_20:
	global_store_short v[3:4], v0, off
	s_or_b64 exec, exec, s[6:7]
	v_cndmask_b32_e64 v0, v0, v1, s[0:1]
	s_and_saveexec_b64 s[6:7], s[0:1]
	s_cbranch_execz .LBB55_13
.LBB55_21:
	global_store_short_d16_hi v[3:4], v0, off offset:1024
	s_or_b64 exec, exec, s[6:7]
	s_and_saveexec_b64 s[0:1], s[2:3]
	s_cbranch_execz .LBB55_14
.LBB55_22:
	v_cndmask_b32_e64 v0, 0, v2, s[2:3]
	global_store_short v[3:4], v0, off offset:2048
	s_or_b64 exec, exec, s[0:1]
                                        ; implicit-def: $vgpr1
	s_and_saveexec_b64 s[0:1], s[4:5]
	s_cbranch_execnz .LBB55_15
	s_branch .LBB55_16
	.section	.rodata,"a",@progbits
	.p2align	6, 0x0
	.amdhsa_kernel _ZN7rocprim17ROCPRIM_304000_NS6detail16transform_kernelINS1_24wrapped_transform_configINS0_14default_configEsEEsPsS6_NS0_8identityIsEEEEvT1_mT2_T3_
		.amdhsa_group_segment_fixed_size 0
		.amdhsa_private_segment_fixed_size 0
		.amdhsa_kernarg_size 288
		.amdhsa_user_sgpr_count 6
		.amdhsa_user_sgpr_private_segment_buffer 1
		.amdhsa_user_sgpr_dispatch_ptr 0
		.amdhsa_user_sgpr_queue_ptr 0
		.amdhsa_user_sgpr_kernarg_segment_ptr 1
		.amdhsa_user_sgpr_dispatch_id 0
		.amdhsa_user_sgpr_flat_scratch_init 0
		.amdhsa_user_sgpr_private_segment_size 0
		.amdhsa_uses_dynamic_stack 0
		.amdhsa_system_sgpr_private_segment_wavefront_offset 0
		.amdhsa_system_sgpr_workgroup_id_x 1
		.amdhsa_system_sgpr_workgroup_id_y 0
		.amdhsa_system_sgpr_workgroup_id_z 0
		.amdhsa_system_sgpr_workgroup_info 0
		.amdhsa_system_vgpr_workitem_id 0
		.amdhsa_next_free_vgpr 8
		.amdhsa_next_free_sgpr 15
		.amdhsa_reserve_vcc 1
		.amdhsa_reserve_flat_scratch 0
		.amdhsa_float_round_mode_32 0
		.amdhsa_float_round_mode_16_64 0
		.amdhsa_float_denorm_mode_32 3
		.amdhsa_float_denorm_mode_16_64 3
		.amdhsa_dx10_clamp 1
		.amdhsa_ieee_mode 1
		.amdhsa_fp16_overflow 0
		.amdhsa_exception_fp_ieee_invalid_op 0
		.amdhsa_exception_fp_denorm_src 0
		.amdhsa_exception_fp_ieee_div_zero 0
		.amdhsa_exception_fp_ieee_overflow 0
		.amdhsa_exception_fp_ieee_underflow 0
		.amdhsa_exception_fp_ieee_inexact 0
		.amdhsa_exception_int_div_zero 0
	.end_amdhsa_kernel
	.section	.text._ZN7rocprim17ROCPRIM_304000_NS6detail16transform_kernelINS1_24wrapped_transform_configINS0_14default_configEsEEsPsS6_NS0_8identityIsEEEEvT1_mT2_T3_,"axG",@progbits,_ZN7rocprim17ROCPRIM_304000_NS6detail16transform_kernelINS1_24wrapped_transform_configINS0_14default_configEsEEsPsS6_NS0_8identityIsEEEEvT1_mT2_T3_,comdat
.Lfunc_end55:
	.size	_ZN7rocprim17ROCPRIM_304000_NS6detail16transform_kernelINS1_24wrapped_transform_configINS0_14default_configEsEEsPsS6_NS0_8identityIsEEEEvT1_mT2_T3_, .Lfunc_end55-_ZN7rocprim17ROCPRIM_304000_NS6detail16transform_kernelINS1_24wrapped_transform_configINS0_14default_configEsEEsPsS6_NS0_8identityIsEEEEvT1_mT2_T3_
                                        ; -- End function
	.set _ZN7rocprim17ROCPRIM_304000_NS6detail16transform_kernelINS1_24wrapped_transform_configINS0_14default_configEsEEsPsS6_NS0_8identityIsEEEEvT1_mT2_T3_.num_vgpr, 8
	.set _ZN7rocprim17ROCPRIM_304000_NS6detail16transform_kernelINS1_24wrapped_transform_configINS0_14default_configEsEEsPsS6_NS0_8identityIsEEEEvT1_mT2_T3_.num_agpr, 0
	.set _ZN7rocprim17ROCPRIM_304000_NS6detail16transform_kernelINS1_24wrapped_transform_configINS0_14default_configEsEEsPsS6_NS0_8identityIsEEEEvT1_mT2_T3_.numbered_sgpr, 15
	.set _ZN7rocprim17ROCPRIM_304000_NS6detail16transform_kernelINS1_24wrapped_transform_configINS0_14default_configEsEEsPsS6_NS0_8identityIsEEEEvT1_mT2_T3_.num_named_barrier, 0
	.set _ZN7rocprim17ROCPRIM_304000_NS6detail16transform_kernelINS1_24wrapped_transform_configINS0_14default_configEsEEsPsS6_NS0_8identityIsEEEEvT1_mT2_T3_.private_seg_size, 0
	.set _ZN7rocprim17ROCPRIM_304000_NS6detail16transform_kernelINS1_24wrapped_transform_configINS0_14default_configEsEEsPsS6_NS0_8identityIsEEEEvT1_mT2_T3_.uses_vcc, 1
	.set _ZN7rocprim17ROCPRIM_304000_NS6detail16transform_kernelINS1_24wrapped_transform_configINS0_14default_configEsEEsPsS6_NS0_8identityIsEEEEvT1_mT2_T3_.uses_flat_scratch, 0
	.set _ZN7rocprim17ROCPRIM_304000_NS6detail16transform_kernelINS1_24wrapped_transform_configINS0_14default_configEsEEsPsS6_NS0_8identityIsEEEEvT1_mT2_T3_.has_dyn_sized_stack, 0
	.set _ZN7rocprim17ROCPRIM_304000_NS6detail16transform_kernelINS1_24wrapped_transform_configINS0_14default_configEsEEsPsS6_NS0_8identityIsEEEEvT1_mT2_T3_.has_recursion, 0
	.set _ZN7rocprim17ROCPRIM_304000_NS6detail16transform_kernelINS1_24wrapped_transform_configINS0_14default_configEsEEsPsS6_NS0_8identityIsEEEEvT1_mT2_T3_.has_indirect_call, 0
	.section	.AMDGPU.csdata,"",@progbits
; Kernel info:
; codeLenInByte = 624
; TotalNumSgprs: 19
; NumVgprs: 8
; ScratchSize: 0
; MemoryBound: 0
; FloatMode: 240
; IeeeMode: 1
; LDSByteSize: 0 bytes/workgroup (compile time only)
; SGPRBlocks: 2
; VGPRBlocks: 1
; NumSGPRsForWavesPerEU: 19
; NumVGPRsForWavesPerEU: 8
; Occupancy: 10
; WaveLimiterHint : 1
; COMPUTE_PGM_RSRC2:SCRATCH_EN: 0
; COMPUTE_PGM_RSRC2:USER_SGPR: 6
; COMPUTE_PGM_RSRC2:TRAP_HANDLER: 0
; COMPUTE_PGM_RSRC2:TGID_X_EN: 1
; COMPUTE_PGM_RSRC2:TGID_Y_EN: 0
; COMPUTE_PGM_RSRC2:TGID_Z_EN: 0
; COMPUTE_PGM_RSRC2:TIDIG_COMP_CNT: 0
	.section	.text._ZN7rocprim17ROCPRIM_304000_NS6detail45device_block_merge_mergepath_partition_kernelINS1_37wrapped_merge_sort_block_merge_configINS0_14default_configEsN2at4cuda3cub6detail10OpaqueTypeILi8EEEEEPsjNS1_19radix_merge_compareILb1ELb1EsNS0_19identity_decomposerEEEEEvT0_T1_jPSH_T2_SH_,"axG",@progbits,_ZN7rocprim17ROCPRIM_304000_NS6detail45device_block_merge_mergepath_partition_kernelINS1_37wrapped_merge_sort_block_merge_configINS0_14default_configEsN2at4cuda3cub6detail10OpaqueTypeILi8EEEEEPsjNS1_19radix_merge_compareILb1ELb1EsNS0_19identity_decomposerEEEEEvT0_T1_jPSH_T2_SH_,comdat
	.protected	_ZN7rocprim17ROCPRIM_304000_NS6detail45device_block_merge_mergepath_partition_kernelINS1_37wrapped_merge_sort_block_merge_configINS0_14default_configEsN2at4cuda3cub6detail10OpaqueTypeILi8EEEEEPsjNS1_19radix_merge_compareILb1ELb1EsNS0_19identity_decomposerEEEEEvT0_T1_jPSH_T2_SH_ ; -- Begin function _ZN7rocprim17ROCPRIM_304000_NS6detail45device_block_merge_mergepath_partition_kernelINS1_37wrapped_merge_sort_block_merge_configINS0_14default_configEsN2at4cuda3cub6detail10OpaqueTypeILi8EEEEEPsjNS1_19radix_merge_compareILb1ELb1EsNS0_19identity_decomposerEEEEEvT0_T1_jPSH_T2_SH_
	.globl	_ZN7rocprim17ROCPRIM_304000_NS6detail45device_block_merge_mergepath_partition_kernelINS1_37wrapped_merge_sort_block_merge_configINS0_14default_configEsN2at4cuda3cub6detail10OpaqueTypeILi8EEEEEPsjNS1_19radix_merge_compareILb1ELb1EsNS0_19identity_decomposerEEEEEvT0_T1_jPSH_T2_SH_
	.p2align	8
	.type	_ZN7rocprim17ROCPRIM_304000_NS6detail45device_block_merge_mergepath_partition_kernelINS1_37wrapped_merge_sort_block_merge_configINS0_14default_configEsN2at4cuda3cub6detail10OpaqueTypeILi8EEEEEPsjNS1_19radix_merge_compareILb1ELb1EsNS0_19identity_decomposerEEEEEvT0_T1_jPSH_T2_SH_,@function
_ZN7rocprim17ROCPRIM_304000_NS6detail45device_block_merge_mergepath_partition_kernelINS1_37wrapped_merge_sort_block_merge_configINS0_14default_configEsN2at4cuda3cub6detail10OpaqueTypeILi8EEEEEPsjNS1_19radix_merge_compareILb1ELb1EsNS0_19identity_decomposerEEEEEvT0_T1_jPSH_T2_SH_: ; @_ZN7rocprim17ROCPRIM_304000_NS6detail45device_block_merge_mergepath_partition_kernelINS1_37wrapped_merge_sort_block_merge_configINS0_14default_configEsN2at4cuda3cub6detail10OpaqueTypeILi8EEEEEPsjNS1_19radix_merge_compareILb1ELb1EsNS0_19identity_decomposerEEEEEvT0_T1_jPSH_T2_SH_
; %bb.0:
	s_load_dwordx2 s[2:3], s[4:5], 0x8
	v_lshl_or_b32 v0, s6, 7, v0
	s_waitcnt lgkmcnt(0)
	v_cmp_gt_u32_e32 vcc, s3, v0
	s_and_saveexec_b64 s[0:1], vcc
	s_cbranch_execz .LBB56_6
; %bb.1:
	s_load_dwordx2 s[0:1], s[4:5], 0x18
	s_waitcnt lgkmcnt(0)
	s_lshr_b32 s3, s1, 9
	s_and_b32 s3, s3, 0x7ffffe
	s_add_i32 s6, s3, -1
	s_sub_i32 s3, 0, s3
	v_and_b32_e32 v1, s3, v0
	v_lshlrev_b32_e32 v3, 10, v1
	v_min_u32_e32 v1, s2, v3
	v_add_u32_e32 v3, s1, v3
	v_min_u32_e32 v3, s2, v3
	v_add_u32_e32 v4, s1, v3
	v_and_b32_e32 v2, s6, v0
	v_min_u32_e32 v4, s2, v4
	v_lshlrev_b32_e32 v2, 10, v2
	v_sub_u32_e32 v5, v4, v1
	v_min_u32_e32 v6, v5, v2
	v_sub_u32_e32 v2, v3, v1
	v_sub_u32_e32 v4, v4, v3
	v_sub_u32_e64 v5, v6, v4 clamp
	v_min_u32_e32 v7, v6, v2
	v_cmp_lt_u32_e32 vcc, v5, v7
	s_and_saveexec_b64 s[2:3], vcc
	s_cbranch_execz .LBB56_5
; %bb.2:
	s_load_dwordx2 s[6:7], s[4:5], 0x0
	v_mov_b32_e32 v4, 0
	v_mov_b32_e32 v2, v4
	v_lshlrev_b64 v[8:9], 1, v[1:2]
	s_waitcnt lgkmcnt(0)
	v_mov_b32_e32 v11, s7
	v_add_co_u32_e32 v2, vcc, s6, v8
	v_addc_co_u32_e32 v8, vcc, v11, v9, vcc
	v_lshlrev_b64 v[9:10], 1, v[3:4]
	v_add_co_u32_e32 v9, vcc, s6, v9
	v_addc_co_u32_e32 v10, vcc, v11, v10, vcc
	s_mov_b64 s[6:7], 0
.LBB56_3:                               ; =>This Inner Loop Header: Depth=1
	v_add_u32_e32 v3, v7, v5
	v_and_b32_e32 v11, -2, v3
	v_lshrrev_b32_e32 v13, 1, v3
	v_add_co_u32_e32 v11, vcc, v2, v11
	v_xad_u32 v3, v13, -1, v6
	v_addc_co_u32_e32 v12, vcc, 0, v8, vcc
	global_load_ushort v14, v[11:12], off
	v_lshlrev_b64 v[11:12], 1, v[3:4]
	v_add_co_u32_e32 v11, vcc, v9, v11
	v_addc_co_u32_e32 v12, vcc, v10, v12, vcc
	global_load_ushort v3, v[11:12], off
	v_add_u32_e32 v11, 1, v13
	s_waitcnt vmcnt(1)
	v_and_b32_e32 v12, s0, v14
	s_waitcnt vmcnt(0)
	v_and_b32_e32 v3, s0, v3
	v_cmp_gt_i16_e32 vcc, v3, v12
	v_cndmask_b32_e32 v7, v7, v13, vcc
	v_cndmask_b32_e32 v5, v11, v5, vcc
	v_cmp_ge_u32_e32 vcc, v5, v7
	s_or_b64 s[6:7], vcc, s[6:7]
	s_andn2_b64 exec, exec, s[6:7]
	s_cbranch_execnz .LBB56_3
; %bb.4:
	s_or_b64 exec, exec, s[6:7]
.LBB56_5:
	s_or_b64 exec, exec, s[2:3]
	s_load_dwordx2 s[0:1], s[4:5], 0x10
	v_add_u32_e32 v2, v5, v1
	v_mov_b32_e32 v1, 0
	v_lshlrev_b64 v[0:1], 2, v[0:1]
	s_waitcnt lgkmcnt(0)
	v_mov_b32_e32 v3, s1
	v_add_co_u32_e32 v0, vcc, s0, v0
	v_addc_co_u32_e32 v1, vcc, v3, v1, vcc
	global_store_dword v[0:1], v2, off
.LBB56_6:
	s_endpgm
	.section	.rodata,"a",@progbits
	.p2align	6, 0x0
	.amdhsa_kernel _ZN7rocprim17ROCPRIM_304000_NS6detail45device_block_merge_mergepath_partition_kernelINS1_37wrapped_merge_sort_block_merge_configINS0_14default_configEsN2at4cuda3cub6detail10OpaqueTypeILi8EEEEEPsjNS1_19radix_merge_compareILb1ELb1EsNS0_19identity_decomposerEEEEEvT0_T1_jPSH_T2_SH_
		.amdhsa_group_segment_fixed_size 0
		.amdhsa_private_segment_fixed_size 0
		.amdhsa_kernarg_size 32
		.amdhsa_user_sgpr_count 6
		.amdhsa_user_sgpr_private_segment_buffer 1
		.amdhsa_user_sgpr_dispatch_ptr 0
		.amdhsa_user_sgpr_queue_ptr 0
		.amdhsa_user_sgpr_kernarg_segment_ptr 1
		.amdhsa_user_sgpr_dispatch_id 0
		.amdhsa_user_sgpr_flat_scratch_init 0
		.amdhsa_user_sgpr_private_segment_size 0
		.amdhsa_uses_dynamic_stack 0
		.amdhsa_system_sgpr_private_segment_wavefront_offset 0
		.amdhsa_system_sgpr_workgroup_id_x 1
		.amdhsa_system_sgpr_workgroup_id_y 0
		.amdhsa_system_sgpr_workgroup_id_z 0
		.amdhsa_system_sgpr_workgroup_info 0
		.amdhsa_system_vgpr_workitem_id 0
		.amdhsa_next_free_vgpr 15
		.amdhsa_next_free_sgpr 8
		.amdhsa_reserve_vcc 1
		.amdhsa_reserve_flat_scratch 0
		.amdhsa_float_round_mode_32 0
		.amdhsa_float_round_mode_16_64 0
		.amdhsa_float_denorm_mode_32 3
		.amdhsa_float_denorm_mode_16_64 3
		.amdhsa_dx10_clamp 1
		.amdhsa_ieee_mode 1
		.amdhsa_fp16_overflow 0
		.amdhsa_exception_fp_ieee_invalid_op 0
		.amdhsa_exception_fp_denorm_src 0
		.amdhsa_exception_fp_ieee_div_zero 0
		.amdhsa_exception_fp_ieee_overflow 0
		.amdhsa_exception_fp_ieee_underflow 0
		.amdhsa_exception_fp_ieee_inexact 0
		.amdhsa_exception_int_div_zero 0
	.end_amdhsa_kernel
	.section	.text._ZN7rocprim17ROCPRIM_304000_NS6detail45device_block_merge_mergepath_partition_kernelINS1_37wrapped_merge_sort_block_merge_configINS0_14default_configEsN2at4cuda3cub6detail10OpaqueTypeILi8EEEEEPsjNS1_19radix_merge_compareILb1ELb1EsNS0_19identity_decomposerEEEEEvT0_T1_jPSH_T2_SH_,"axG",@progbits,_ZN7rocprim17ROCPRIM_304000_NS6detail45device_block_merge_mergepath_partition_kernelINS1_37wrapped_merge_sort_block_merge_configINS0_14default_configEsN2at4cuda3cub6detail10OpaqueTypeILi8EEEEEPsjNS1_19radix_merge_compareILb1ELb1EsNS0_19identity_decomposerEEEEEvT0_T1_jPSH_T2_SH_,comdat
.Lfunc_end56:
	.size	_ZN7rocprim17ROCPRIM_304000_NS6detail45device_block_merge_mergepath_partition_kernelINS1_37wrapped_merge_sort_block_merge_configINS0_14default_configEsN2at4cuda3cub6detail10OpaqueTypeILi8EEEEEPsjNS1_19radix_merge_compareILb1ELb1EsNS0_19identity_decomposerEEEEEvT0_T1_jPSH_T2_SH_, .Lfunc_end56-_ZN7rocprim17ROCPRIM_304000_NS6detail45device_block_merge_mergepath_partition_kernelINS1_37wrapped_merge_sort_block_merge_configINS0_14default_configEsN2at4cuda3cub6detail10OpaqueTypeILi8EEEEEPsjNS1_19radix_merge_compareILb1ELb1EsNS0_19identity_decomposerEEEEEvT0_T1_jPSH_T2_SH_
                                        ; -- End function
	.set _ZN7rocprim17ROCPRIM_304000_NS6detail45device_block_merge_mergepath_partition_kernelINS1_37wrapped_merge_sort_block_merge_configINS0_14default_configEsN2at4cuda3cub6detail10OpaqueTypeILi8EEEEEPsjNS1_19radix_merge_compareILb1ELb1EsNS0_19identity_decomposerEEEEEvT0_T1_jPSH_T2_SH_.num_vgpr, 15
	.set _ZN7rocprim17ROCPRIM_304000_NS6detail45device_block_merge_mergepath_partition_kernelINS1_37wrapped_merge_sort_block_merge_configINS0_14default_configEsN2at4cuda3cub6detail10OpaqueTypeILi8EEEEEPsjNS1_19radix_merge_compareILb1ELb1EsNS0_19identity_decomposerEEEEEvT0_T1_jPSH_T2_SH_.num_agpr, 0
	.set _ZN7rocprim17ROCPRIM_304000_NS6detail45device_block_merge_mergepath_partition_kernelINS1_37wrapped_merge_sort_block_merge_configINS0_14default_configEsN2at4cuda3cub6detail10OpaqueTypeILi8EEEEEPsjNS1_19radix_merge_compareILb1ELb1EsNS0_19identity_decomposerEEEEEvT0_T1_jPSH_T2_SH_.numbered_sgpr, 8
	.set _ZN7rocprim17ROCPRIM_304000_NS6detail45device_block_merge_mergepath_partition_kernelINS1_37wrapped_merge_sort_block_merge_configINS0_14default_configEsN2at4cuda3cub6detail10OpaqueTypeILi8EEEEEPsjNS1_19radix_merge_compareILb1ELb1EsNS0_19identity_decomposerEEEEEvT0_T1_jPSH_T2_SH_.num_named_barrier, 0
	.set _ZN7rocprim17ROCPRIM_304000_NS6detail45device_block_merge_mergepath_partition_kernelINS1_37wrapped_merge_sort_block_merge_configINS0_14default_configEsN2at4cuda3cub6detail10OpaqueTypeILi8EEEEEPsjNS1_19radix_merge_compareILb1ELb1EsNS0_19identity_decomposerEEEEEvT0_T1_jPSH_T2_SH_.private_seg_size, 0
	.set _ZN7rocprim17ROCPRIM_304000_NS6detail45device_block_merge_mergepath_partition_kernelINS1_37wrapped_merge_sort_block_merge_configINS0_14default_configEsN2at4cuda3cub6detail10OpaqueTypeILi8EEEEEPsjNS1_19radix_merge_compareILb1ELb1EsNS0_19identity_decomposerEEEEEvT0_T1_jPSH_T2_SH_.uses_vcc, 1
	.set _ZN7rocprim17ROCPRIM_304000_NS6detail45device_block_merge_mergepath_partition_kernelINS1_37wrapped_merge_sort_block_merge_configINS0_14default_configEsN2at4cuda3cub6detail10OpaqueTypeILi8EEEEEPsjNS1_19radix_merge_compareILb1ELb1EsNS0_19identity_decomposerEEEEEvT0_T1_jPSH_T2_SH_.uses_flat_scratch, 0
	.set _ZN7rocprim17ROCPRIM_304000_NS6detail45device_block_merge_mergepath_partition_kernelINS1_37wrapped_merge_sort_block_merge_configINS0_14default_configEsN2at4cuda3cub6detail10OpaqueTypeILi8EEEEEPsjNS1_19radix_merge_compareILb1ELb1EsNS0_19identity_decomposerEEEEEvT0_T1_jPSH_T2_SH_.has_dyn_sized_stack, 0
	.set _ZN7rocprim17ROCPRIM_304000_NS6detail45device_block_merge_mergepath_partition_kernelINS1_37wrapped_merge_sort_block_merge_configINS0_14default_configEsN2at4cuda3cub6detail10OpaqueTypeILi8EEEEEPsjNS1_19radix_merge_compareILb1ELb1EsNS0_19identity_decomposerEEEEEvT0_T1_jPSH_T2_SH_.has_recursion, 0
	.set _ZN7rocprim17ROCPRIM_304000_NS6detail45device_block_merge_mergepath_partition_kernelINS1_37wrapped_merge_sort_block_merge_configINS0_14default_configEsN2at4cuda3cub6detail10OpaqueTypeILi8EEEEEPsjNS1_19radix_merge_compareILb1ELb1EsNS0_19identity_decomposerEEEEEvT0_T1_jPSH_T2_SH_.has_indirect_call, 0
	.section	.AMDGPU.csdata,"",@progbits
; Kernel info:
; codeLenInByte = 368
; TotalNumSgprs: 12
; NumVgprs: 15
; ScratchSize: 0
; MemoryBound: 0
; FloatMode: 240
; IeeeMode: 1
; LDSByteSize: 0 bytes/workgroup (compile time only)
; SGPRBlocks: 1
; VGPRBlocks: 3
; NumSGPRsForWavesPerEU: 12
; NumVGPRsForWavesPerEU: 15
; Occupancy: 10
; WaveLimiterHint : 0
; COMPUTE_PGM_RSRC2:SCRATCH_EN: 0
; COMPUTE_PGM_RSRC2:USER_SGPR: 6
; COMPUTE_PGM_RSRC2:TRAP_HANDLER: 0
; COMPUTE_PGM_RSRC2:TGID_X_EN: 1
; COMPUTE_PGM_RSRC2:TGID_Y_EN: 0
; COMPUTE_PGM_RSRC2:TGID_Z_EN: 0
; COMPUTE_PGM_RSRC2:TIDIG_COMP_CNT: 0
	.section	.text._ZN7rocprim17ROCPRIM_304000_NS6detail35device_block_merge_mergepath_kernelINS1_37wrapped_merge_sort_block_merge_configINS0_14default_configEsN2at4cuda3cub6detail10OpaqueTypeILi8EEEEEPsSC_PSA_SD_jNS1_19radix_merge_compareILb1ELb1EsNS0_19identity_decomposerEEEEEvT0_T1_T2_T3_T4_SL_jT5_PKSL_NS1_7vsmem_tE,"axG",@progbits,_ZN7rocprim17ROCPRIM_304000_NS6detail35device_block_merge_mergepath_kernelINS1_37wrapped_merge_sort_block_merge_configINS0_14default_configEsN2at4cuda3cub6detail10OpaqueTypeILi8EEEEEPsSC_PSA_SD_jNS1_19radix_merge_compareILb1ELb1EsNS0_19identity_decomposerEEEEEvT0_T1_T2_T3_T4_SL_jT5_PKSL_NS1_7vsmem_tE,comdat
	.protected	_ZN7rocprim17ROCPRIM_304000_NS6detail35device_block_merge_mergepath_kernelINS1_37wrapped_merge_sort_block_merge_configINS0_14default_configEsN2at4cuda3cub6detail10OpaqueTypeILi8EEEEEPsSC_PSA_SD_jNS1_19radix_merge_compareILb1ELb1EsNS0_19identity_decomposerEEEEEvT0_T1_T2_T3_T4_SL_jT5_PKSL_NS1_7vsmem_tE ; -- Begin function _ZN7rocprim17ROCPRIM_304000_NS6detail35device_block_merge_mergepath_kernelINS1_37wrapped_merge_sort_block_merge_configINS0_14default_configEsN2at4cuda3cub6detail10OpaqueTypeILi8EEEEEPsSC_PSA_SD_jNS1_19radix_merge_compareILb1ELb1EsNS0_19identity_decomposerEEEEEvT0_T1_T2_T3_T4_SL_jT5_PKSL_NS1_7vsmem_tE
	.globl	_ZN7rocprim17ROCPRIM_304000_NS6detail35device_block_merge_mergepath_kernelINS1_37wrapped_merge_sort_block_merge_configINS0_14default_configEsN2at4cuda3cub6detail10OpaqueTypeILi8EEEEEPsSC_PSA_SD_jNS1_19radix_merge_compareILb1ELb1EsNS0_19identity_decomposerEEEEEvT0_T1_T2_T3_T4_SL_jT5_PKSL_NS1_7vsmem_tE
	.p2align	8
	.type	_ZN7rocprim17ROCPRIM_304000_NS6detail35device_block_merge_mergepath_kernelINS1_37wrapped_merge_sort_block_merge_configINS0_14default_configEsN2at4cuda3cub6detail10OpaqueTypeILi8EEEEEPsSC_PSA_SD_jNS1_19radix_merge_compareILb1ELb1EsNS0_19identity_decomposerEEEEEvT0_T1_T2_T3_T4_SL_jT5_PKSL_NS1_7vsmem_tE,@function
_ZN7rocprim17ROCPRIM_304000_NS6detail35device_block_merge_mergepath_kernelINS1_37wrapped_merge_sort_block_merge_configINS0_14default_configEsN2at4cuda3cub6detail10OpaqueTypeILi8EEEEEPsSC_PSA_SD_jNS1_19radix_merge_compareILb1ELb1EsNS0_19identity_decomposerEEEEEvT0_T1_T2_T3_T4_SL_jT5_PKSL_NS1_7vsmem_tE: ; @_ZN7rocprim17ROCPRIM_304000_NS6detail35device_block_merge_mergepath_kernelINS1_37wrapped_merge_sort_block_merge_configINS0_14default_configEsN2at4cuda3cub6detail10OpaqueTypeILi8EEEEEPsSC_PSA_SD_jNS1_19radix_merge_compareILb1ELb1EsNS0_19identity_decomposerEEEEEvT0_T1_T2_T3_T4_SL_jT5_PKSL_NS1_7vsmem_tE
; %bb.0:
	s_load_dwordx2 s[10:11], s[4:5], 0x40
	s_load_dwordx4 s[20:23], s[4:5], 0x20
	s_add_u32 s2, s4, 64
	s_addc_u32 s3, s5, 0
	s_waitcnt lgkmcnt(0)
	s_mul_i32 s0, s11, s8
	s_add_i32 s0, s0, s7
	s_mul_i32 s0, s0, s10
	s_add_i32 s0, s0, s6
	s_cmp_ge_u32 s0, s22
	s_cbranch_scc1 .LBB57_105
; %bb.1:
	s_load_dwordx8 s[12:19], s[4:5], 0x0
	s_load_dwordx2 s[8:9], s[4:5], 0x30
	s_lshr_b32 s11, s20, 10
	s_cmp_lg_u32 s0, s11
	s_mov_b32 s1, 0
	s_cselect_b64 s[24:25], -1, 0
	s_lshl_b64 s[4:5], s[0:1], 2
	s_waitcnt lgkmcnt(0)
	s_add_u32 s4, s8, s4
	s_addc_u32 s5, s9, s5
	s_load_dwordx2 s[26:27], s[4:5], 0x0
	s_lshr_b32 s4, s21, 9
	s_and_b32 s4, s4, 0x7ffffe
	s_sub_i32 s4, 0, s4
	s_and_b32 s5, s0, s4
	s_lshl_b32 s7, s5, 10
	s_lshl_b32 s22, s0, 10
	;; [unrolled: 1-line block ×3, first 2 shown]
	s_sub_i32 s8, s22, s7
	s_add_i32 s5, s5, s21
	s_add_i32 s8, s5, s8
	s_waitcnt lgkmcnt(0)
	s_sub_i32 s9, s8, s26
	s_sub_i32 s8, s8, s27
	;; [unrolled: 1-line block ×3, first 2 shown]
	s_min_u32 s28, s20, s9
	s_addk_i32 s8, 0x400
	s_or_b32 s4, s0, s4
	s_min_u32 s7, s20, s5
	s_add_i32 s5, s5, s21
	s_cmp_eq_u32 s4, -1
	s_cselect_b32 s4, s5, s8
	s_cselect_b32 s5, s7, s27
	s_min_u32 s4, s4, s20
	s_mov_b32 s27, s1
	s_sub_i32 s33, s5, s26
	s_sub_i32 s34, s4, s28
	s_lshl_b64 s[8:9], s[26:27], 1
	s_add_u32 s5, s12, s8
	s_mov_b32 s29, s1
	s_addc_u32 s7, s13, s9
	s_lshl_b64 s[8:9], s[28:29], 1
	s_add_u32 s4, s12, s8
	v_mov_b32_e32 v6, 0
	global_load_dword v1, v6, s[2:3] offset:14
	s_addc_u32 s8, s13, s9
	s_cmp_lt_u32 s6, s10
	s_cselect_b32 s1, 12, 18
	s_add_u32 s2, s2, s1
	s_addc_u32 s3, s3, 0
	global_load_ushort v2, v6, s[2:3]
	s_cmp_eq_u32 s0, s11
	v_cmp_gt_u32_e32 vcc, s33, v0
	v_lshlrev_b32_e32 v9, 1, v0
	s_waitcnt vmcnt(1)
	v_lshrrev_b32_e32 v3, 16, v1
	v_and_b32_e32 v1, 0xffff, v1
	v_mul_lo_u32 v1, v1, v3
	s_waitcnt vmcnt(0)
	v_mul_lo_u32 v7, v1, v2
	v_add_u32_e32 v5, v7, v0
	s_cbranch_scc1 .LBB57_3
; %bb.2:
	v_mov_b32_e32 v1, s7
	v_add_co_u32_e64 v3, s[0:1], s5, v9
	v_subrev_u32_e32 v2, s33, v0
	v_addc_co_u32_e64 v1, s[0:1], 0, v1, s[0:1]
	v_lshlrev_b32_e32 v2, 1, v2
	v_mov_b32_e32 v4, s8
	v_add_co_u32_e64 v8, s[0:1], s4, v2
	v_addc_co_u32_e64 v2, s[0:1], 0, v4, s[0:1]
	v_cndmask_b32_e32 v2, v2, v1, vcc
	v_cndmask_b32_e32 v1, v8, v3, vcc
	global_load_ushort v4, v[1:2], off
	v_lshlrev_b64 v[1:2], 1, v[5:6]
	v_mov_b32_e32 v3, s7
	v_add_co_u32_e32 v8, vcc, s5, v1
	v_addc_co_u32_e32 v3, vcc, v3, v2, vcc
	v_subrev_co_u32_e32 v1, vcc, s33, v5
	v_mov_b32_e32 v2, v6
	v_lshlrev_b64 v[1:2], 1, v[1:2]
	v_mov_b32_e32 v10, s8
	v_add_co_u32_e64 v1, s[0:1], s4, v1
	v_addc_co_u32_e64 v2, s[0:1], v10, v2, s[0:1]
	v_cndmask_b32_e32 v2, v2, v3, vcc
	v_cndmask_b32_e32 v1, v1, v8, vcc
	global_load_ushort v8, v[1:2], off
	v_add_u32_e32 v1, v5, v7
	v_mov_b32_e32 v2, v6
	v_lshlrev_b64 v[2:3], 1, v[1:2]
	v_mov_b32_e32 v10, s7
	v_add_co_u32_e32 v11, vcc, s5, v2
	v_addc_co_u32_e32 v10, vcc, v10, v3, vcc
	v_subrev_co_u32_e32 v2, vcc, s33, v1
	v_mov_b32_e32 v3, v6
	v_lshlrev_b64 v[2:3], 1, v[2:3]
	v_mov_b32_e32 v12, s8
	v_add_co_u32_e64 v2, s[0:1], s4, v2
	v_addc_co_u32_e64 v3, s[0:1], v12, v3, s[0:1]
	v_cndmask_b32_e32 v3, v3, v10, vcc
	v_cndmask_b32_e32 v2, v2, v11, vcc
	global_load_ushort v10, v[2:3], off
	v_add_u32_e32 v1, v1, v7
	v_mov_b32_e32 v2, v6
	;; [unrolled: 15-line block ×6, first 2 shown]
	v_lshlrev_b64 v[2:3], 1, v[1:2]
	v_mov_b32_e32 v15, s7
	v_add_co_u32_e32 v16, vcc, s5, v2
	v_addc_co_u32_e32 v3, vcc, v15, v3, vcc
	v_subrev_co_u32_e32 v1, vcc, s33, v1
	v_mov_b32_e32 v2, v6
	v_lshlrev_b64 v[1:2], 1, v[1:2]
	v_mov_b32_e32 v6, s8
	v_add_co_u32_e64 v1, s[0:1], s4, v1
	v_addc_co_u32_e64 v2, s[0:1], v6, v2, s[0:1]
	v_cndmask_b32_e32 v2, v2, v3, vcc
	v_cndmask_b32_e32 v1, v1, v16, vcc
	global_load_ushort v6, v[1:2], off
	s_mov_b32 s0, 0x5040100
	s_waitcnt vmcnt(6)
	v_perm_b32 v1, v8, v4, s0
	s_waitcnt vmcnt(4)
	v_perm_b32 v2, v11, v10, s0
	s_add_i32 s21, s34, s33
	s_waitcnt vmcnt(2)
	v_perm_b32 v3, v13, v12, s0
	s_waitcnt vmcnt(0)
	v_perm_b32 v4, v6, v14, s0
	s_cbranch_execz .LBB57_4
	s_branch .LBB57_21
.LBB57_3:
                                        ; implicit-def: $vgpr1_vgpr2_vgpr3_vgpr4
                                        ; implicit-def: $sgpr21
.LBB57_4:
	s_add_i32 s21, s34, s33
	v_mov_b32_e32 v1, 0
	v_cmp_gt_u32_e32 vcc, s21, v0
	v_mov_b32_e32 v2, v1
	v_mov_b32_e32 v3, v1
	;; [unrolled: 1-line block ×3, first 2 shown]
	s_and_saveexec_b64 s[0:1], vcc
	s_cbranch_execz .LBB57_6
; %bb.5:
	v_mov_b32_e32 v2, s7
	v_add_co_u32_e32 v4, vcc, s5, v9
	v_subrev_u32_e32 v3, s33, v0
	v_addc_co_u32_e32 v2, vcc, 0, v2, vcc
	v_lshlrev_b32_e32 v3, 1, v3
	v_mov_b32_e32 v6, s8
	v_add_co_u32_e32 v8, vcc, s4, v3
	v_addc_co_u32_e32 v3, vcc, 0, v6, vcc
	v_cmp_gt_u32_e32 vcc, s33, v0
	v_cndmask_b32_e32 v3, v3, v2, vcc
	v_cndmask_b32_e32 v2, v8, v4, vcc
	global_load_ushort v2, v[2:3], off
	v_mov_b32_e32 v11, v1
	v_mov_b32_e32 v12, v1
	;; [unrolled: 1-line block ×3, first 2 shown]
	s_waitcnt vmcnt(0)
	v_and_b32_e32 v10, 0xffff, v2
	v_mov_b32_e32 v1, v10
	v_mov_b32_e32 v2, v11
	;; [unrolled: 1-line block ×4, first 2 shown]
.LBB57_6:
	s_or_b64 exec, exec, s[0:1]
	v_cmp_gt_u32_e32 vcc, s21, v5
	s_and_saveexec_b64 s[2:3], vcc
	s_cbranch_execz .LBB57_8
; %bb.7:
	v_mov_b32_e32 v6, 0
	v_lshlrev_b64 v[10:11], 1, v[5:6]
	v_mov_b32_e32 v8, s7
	v_add_co_u32_e32 v12, vcc, s5, v10
	v_addc_co_u32_e32 v8, vcc, v8, v11, vcc
	v_subrev_co_u32_e32 v10, vcc, s33, v5
	v_mov_b32_e32 v11, v6
	v_lshlrev_b64 v[10:11], 1, v[10:11]
	v_mov_b32_e32 v6, s8
	v_add_co_u32_e64 v10, s[0:1], s4, v10
	v_addc_co_u32_e64 v6, s[0:1], v6, v11, s[0:1]
	v_cndmask_b32_e32 v11, v6, v8, vcc
	v_cndmask_b32_e32 v10, v10, v12, vcc
	global_load_ushort v6, v[10:11], off
	s_mov_b32 s0, 0x5040100
	s_waitcnt vmcnt(0)
	v_perm_b32 v1, v6, v1, s0
.LBB57_8:
	s_or_b64 exec, exec, s[2:3]
	v_add_u32_e32 v5, v5, v7
	v_cmp_gt_u32_e32 vcc, s21, v5
	s_and_saveexec_b64 s[2:3], vcc
	s_cbranch_execz .LBB57_10
; %bb.9:
	v_mov_b32_e32 v6, 0
	v_lshlrev_b64 v[10:11], 1, v[5:6]
	v_mov_b32_e32 v8, s7
	v_add_co_u32_e32 v12, vcc, s5, v10
	v_addc_co_u32_e32 v8, vcc, v8, v11, vcc
	v_subrev_co_u32_e32 v10, vcc, s33, v5
	v_mov_b32_e32 v11, v6
	v_lshlrev_b64 v[10:11], 1, v[10:11]
	v_mov_b32_e32 v6, s8
	v_add_co_u32_e64 v10, s[0:1], s4, v10
	v_addc_co_u32_e64 v6, s[0:1], v6, v11, s[0:1]
	v_cndmask_b32_e32 v11, v6, v8, vcc
	v_cndmask_b32_e32 v10, v10, v12, vcc
	global_load_ushort v6, v[10:11], off
	s_mov_b32 s0, 0xffff
	s_waitcnt vmcnt(0)
	v_bfi_b32 v2, s0, v6, v2
.LBB57_10:
	s_or_b64 exec, exec, s[2:3]
	v_add_u32_e32 v5, v5, v7
	v_cmp_gt_u32_e32 vcc, s21, v5
	s_and_saveexec_b64 s[2:3], vcc
	s_cbranch_execz .LBB57_12
; %bb.11:
	v_mov_b32_e32 v6, 0
	v_lshlrev_b64 v[10:11], 1, v[5:6]
	v_mov_b32_e32 v8, s7
	v_add_co_u32_e32 v12, vcc, s5, v10
	v_addc_co_u32_e32 v8, vcc, v8, v11, vcc
	v_subrev_co_u32_e32 v10, vcc, s33, v5
	v_mov_b32_e32 v11, v6
	v_lshlrev_b64 v[10:11], 1, v[10:11]
	v_mov_b32_e32 v6, s8
	v_add_co_u32_e64 v10, s[0:1], s4, v10
	v_addc_co_u32_e64 v6, s[0:1], v6, v11, s[0:1]
	v_cndmask_b32_e32 v11, v6, v8, vcc
	v_cndmask_b32_e32 v10, v10, v12, vcc
	global_load_ushort v6, v[10:11], off
	s_mov_b32 s0, 0x5040100
	s_waitcnt vmcnt(0)
	v_perm_b32 v2, v6, v2, s0
.LBB57_12:
	s_or_b64 exec, exec, s[2:3]
	v_add_u32_e32 v5, v5, v7
	v_cmp_gt_u32_e32 vcc, s21, v5
	s_and_saveexec_b64 s[2:3], vcc
	s_cbranch_execz .LBB57_14
; %bb.13:
	v_mov_b32_e32 v6, 0
	v_lshlrev_b64 v[10:11], 1, v[5:6]
	v_mov_b32_e32 v8, s7
	v_add_co_u32_e32 v12, vcc, s5, v10
	v_addc_co_u32_e32 v8, vcc, v8, v11, vcc
	v_subrev_co_u32_e32 v10, vcc, s33, v5
	v_mov_b32_e32 v11, v6
	v_lshlrev_b64 v[10:11], 1, v[10:11]
	v_mov_b32_e32 v6, s8
	v_add_co_u32_e64 v10, s[0:1], s4, v10
	v_addc_co_u32_e64 v6, s[0:1], v6, v11, s[0:1]
	v_cndmask_b32_e32 v11, v6, v8, vcc
	v_cndmask_b32_e32 v10, v10, v12, vcc
	global_load_ushort v6, v[10:11], off
	s_mov_b32 s0, 0xffff
	s_waitcnt vmcnt(0)
	v_bfi_b32 v3, s0, v6, v3
.LBB57_14:
	s_or_b64 exec, exec, s[2:3]
	v_add_u32_e32 v5, v5, v7
	;; [unrolled: 48-line block ×3, first 2 shown]
	v_cmp_gt_u32_e32 vcc, s21, v5
	s_and_saveexec_b64 s[2:3], vcc
	s_cbranch_execz .LBB57_20
; %bb.19:
	v_mov_b32_e32 v6, 0
	v_lshlrev_b64 v[7:8], 1, v[5:6]
	v_mov_b32_e32 v10, s7
	v_add_co_u32_e32 v7, vcc, s5, v7
	v_addc_co_u32_e32 v8, vcc, v10, v8, vcc
	v_subrev_co_u32_e32 v5, vcc, s33, v5
	v_lshlrev_b64 v[5:6], 1, v[5:6]
	v_mov_b32_e32 v10, s8
	v_add_co_u32_e64 v5, s[0:1], s4, v5
	v_addc_co_u32_e64 v6, s[0:1], v10, v6, s[0:1]
	v_cndmask_b32_e32 v6, v6, v8, vcc
	v_cndmask_b32_e32 v5, v5, v7, vcc
	global_load_ushort v5, v[5:6], off
	s_mov_b32 s0, 0x5040100
	s_waitcnt vmcnt(0)
	v_perm_b32 v4, v5, v4, s0
.LBB57_20:
	s_or_b64 exec, exec, s[2:3]
.LBB57_21:
	v_lshlrev_b32_e32 v10, 3, v0
	v_min_u32_e32 v6, s21, v10
	v_sub_u32_e64 v5, v6, s34 clamp
	v_min_u32_e32 v7, s33, v6
	v_cmp_lt_u32_e32 vcc, v5, v7
	ds_write_b16 v9, v1
	ds_write_b16_d16_hi v9, v1 offset:256
	ds_write_b16 v9, v2 offset:512
	ds_write_b16_d16_hi v9, v2 offset:768
	ds_write_b16 v9, v3 offset:1024
	;; [unrolled: 2-line block ×3, first 2 shown]
	ds_write_b16_d16_hi v9, v4 offset:1792
	s_waitcnt lgkmcnt(0)
	s_barrier
	s_and_saveexec_b64 s[0:1], vcc
	s_cbranch_execz .LBB57_25
; %bb.22:
	v_lshlrev_b32_e32 v8, 1, v6
	v_lshl_add_u32 v8, s33, 1, v8
	s_mov_b64 s[2:3], 0
.LBB57_23:                              ; =>This Inner Loop Header: Depth=1
	v_add_u32_e32 v11, v7, v5
	v_lshrrev_b32_e32 v12, 1, v11
	v_not_b32_e32 v13, v12
	v_and_b32_e32 v11, -2, v11
	v_lshl_add_u32 v13, v13, 1, v8
	ds_read_u16 v11, v11
	ds_read_u16 v13, v13
	v_add_u32_e32 v14, 1, v12
	s_waitcnt lgkmcnt(1)
	v_and_b32_e32 v11, s23, v11
	s_waitcnt lgkmcnt(0)
	v_and_b32_e32 v13, s23, v13
	v_cmp_gt_i16_e32 vcc, v13, v11
	v_cndmask_b32_e32 v7, v7, v12, vcc
	v_cndmask_b32_e32 v5, v14, v5, vcc
	v_cmp_ge_u32_e32 vcc, v5, v7
	s_or_b64 s[2:3], vcc, s[2:3]
	s_andn2_b64 exec, exec, s[2:3]
	s_cbranch_execnz .LBB57_23
; %bb.24:
	s_or_b64 exec, exec, s[2:3]
.LBB57_25:
	s_or_b64 exec, exec, s[0:1]
	v_sub_u32_e32 v6, v6, v5
	v_add_u32_e32 v6, s33, v6
	v_cmp_ge_u32_e32 vcc, s33, v5
	v_cmp_ge_u32_e64 s[0:1], s21, v6
	s_or_b64 s[0:1], vcc, s[0:1]
	v_mov_b32_e32 v11, 0
	v_mov_b32_e32 v12, 0
	;; [unrolled: 1-line block ×8, first 2 shown]
	s_and_saveexec_b64 s[30:31], s[0:1]
	s_cbranch_execz .LBB57_31
; %bb.26:
	v_cmp_gt_u32_e32 vcc, s33, v5
                                        ; implicit-def: $vgpr1
	s_and_saveexec_b64 s[0:1], vcc
; %bb.27:
	v_lshlrev_b32_e32 v1, 1, v5
	ds_read_u16 v1, v1
; %bb.28:
	s_or_b64 exec, exec, s[0:1]
	v_cmp_le_u32_e64 s[0:1], s21, v6
	v_cmp_gt_u32_e64 s[2:3], s21, v6
                                        ; implicit-def: $vgpr2
	s_and_saveexec_b64 s[4:5], s[2:3]
; %bb.29:
	v_lshlrev_b32_e32 v2, 1, v6
	ds_read_u16 v2, v2
; %bb.30:
	s_or_b64 exec, exec, s[4:5]
	s_waitcnt lgkmcnt(0)
	v_and_b32_e32 v3, s23, v2
	v_and_b32_e32 v4, s23, v1
	v_cmp_le_i16_e64 s[2:3], v3, v4
	s_and_b64 s[2:3], vcc, s[2:3]
	s_or_b64 vcc, s[0:1], s[2:3]
	v_mov_b32_e32 v3, s21
	v_mov_b32_e32 v4, s33
	v_cndmask_b32_e32 v18, v6, v5, vcc
	v_cndmask_b32_e32 v7, v3, v4, vcc
	v_add_u32_e32 v8, 1, v18
	v_add_u32_e32 v7, -1, v7
	v_min_u32_e32 v7, v8, v7
	v_lshlrev_b32_e32 v7, 1, v7
	ds_read_u16 v7, v7
	v_cndmask_b32_e32 v6, v8, v6, vcc
	v_cndmask_b32_e32 v5, v5, v8, vcc
	v_cmp_gt_u32_e64 s[2:3], s33, v5
	v_cmp_le_u32_e64 s[0:1], s21, v6
	s_waitcnt lgkmcnt(0)
	v_cndmask_b32_e32 v11, v7, v2, vcc
	v_cndmask_b32_e32 v7, v1, v7, vcc
	v_and_b32_e32 v8, s23, v11
	v_and_b32_e32 v12, s23, v7
	v_cmp_le_i16_e64 s[4:5], v8, v12
	s_and_b64 s[2:3], s[2:3], s[4:5]
	s_or_b64 s[0:1], s[0:1], s[2:3]
	v_cndmask_b32_e64 v17, v6, v5, s[0:1]
	v_cndmask_b32_e64 v8, v3, v4, s[0:1]
	v_add_u32_e32 v12, 1, v17
	v_add_u32_e32 v8, -1, v8
	v_min_u32_e32 v8, v12, v8
	v_lshlrev_b32_e32 v8, 1, v8
	ds_read_u16 v8, v8
	v_cndmask_b32_e64 v6, v12, v6, s[0:1]
	v_cndmask_b32_e64 v5, v5, v12, s[0:1]
	v_cmp_gt_u32_e64 s[4:5], s33, v5
	v_cmp_le_u32_e64 s[2:3], s21, v6
	s_waitcnt lgkmcnt(0)
	v_cndmask_b32_e64 v19, v8, v11, s[0:1]
	v_cndmask_b32_e64 v8, v7, v8, s[0:1]
	v_and_b32_e32 v12, s23, v19
	v_and_b32_e32 v13, s23, v8
	v_cmp_le_i16_e64 s[6:7], v12, v13
	s_and_b64 s[4:5], s[4:5], s[6:7]
	s_or_b64 s[2:3], s[2:3], s[4:5]
	v_cndmask_b32_e64 v16, v6, v5, s[2:3]
	v_cndmask_b32_e64 v12, v3, v4, s[2:3]
	v_add_u32_e32 v13, 1, v16
	v_add_u32_e32 v12, -1, v12
	v_min_u32_e32 v12, v13, v12
	v_lshlrev_b32_e32 v12, 1, v12
	ds_read_u16 v12, v12
	v_cndmask_b32_e64 v6, v13, v6, s[2:3]
	v_cndmask_b32_e64 v5, v5, v13, s[2:3]
	v_cmp_gt_u32_e64 s[6:7], s33, v5
	v_cmp_le_u32_e64 s[4:5], s21, v6
	s_waitcnt lgkmcnt(0)
	v_cndmask_b32_e64 v20, v12, v19, s[2:3]
	v_cndmask_b32_e64 v21, v8, v12, s[2:3]
	;; [unrolled: 19-line block ×4, first 2 shown]
	v_and_b32_e32 v12, s23, v24
	v_and_b32_e32 v13, s23, v25
	v_cmp_le_i16_e64 s[12:13], v12, v13
	s_and_b64 s[10:11], s[10:11], s[12:13]
	s_or_b64 s[8:9], s[8:9], s[10:11]
	v_cndmask_b32_e64 v13, v6, v5, s[8:9]
	v_cndmask_b32_e64 v12, v3, v4, s[8:9]
	v_add_u32_e32 v26, 1, v13
	v_add_u32_e32 v12, -1, v12
	v_min_u32_e32 v12, v26, v12
	v_lshlrev_b32_e32 v12, 1, v12
	ds_read_u16 v12, v12
	v_cndmask_b32_e32 v1, v2, v1, vcc
	v_cndmask_b32_e64 v7, v11, v7, s[0:1]
	v_cndmask_b32_e64 v2, v19, v8, s[2:3]
	v_cndmask_b32_e64 v5, v5, v26, s[8:9]
	s_waitcnt lgkmcnt(0)
	v_cndmask_b32_e64 v8, v12, v24, s[8:9]
	v_cndmask_b32_e64 v11, v25, v12, s[8:9]
	v_and_b32_e32 v12, s23, v8
	v_and_b32_e32 v19, s23, v11
	v_cndmask_b32_e64 v6, v26, v6, s[8:9]
	v_cmp_gt_u32_e64 s[0:1], s33, v5
	v_cmp_le_i16_e64 s[2:3], v12, v19
	v_cmp_le_u32_e32 vcc, s21, v6
	s_and_b64 s[0:1], s[0:1], s[2:3]
	s_or_b64 vcc, vcc, s[0:1]
	v_cndmask_b32_e32 v12, v6, v5, vcc
	v_cndmask_b32_e32 v3, v3, v4, vcc
	v_add_u32_e32 v4, 1, v12
	v_add_u32_e32 v3, -1, v3
	v_min_u32_e32 v3, v4, v3
	v_lshlrev_b32_e32 v3, 1, v3
	ds_read_u16 v3, v3
	v_cndmask_b32_e64 v19, v20, v21, s[4:5]
	v_cndmask_b32_e64 v20, v22, v23, s[6:7]
	v_cndmask_b32_e32 v22, v8, v11, vcc
	v_cndmask_b32_e32 v6, v4, v6, vcc
	s_waitcnt lgkmcnt(0)
	v_cndmask_b32_e32 v8, v3, v8, vcc
	v_cndmask_b32_e32 v3, v11, v3, vcc
	;; [unrolled: 1-line block ×3, first 2 shown]
	v_and_b32_e32 v5, s23, v8
	v_and_b32_e32 v11, s23, v3
	v_cmp_gt_u32_e64 s[0:1], s33, v4
	v_cmp_le_i16_e64 s[2:3], v5, v11
	v_cmp_le_u32_e32 vcc, s21, v6
	s_and_b64 s[0:1], s[0:1], s[2:3]
	s_or_b64 vcc, vcc, s[0:1]
	v_cndmask_b32_e64 v21, v24, v25, s[8:9]
	v_cndmask_b32_e32 v3, v8, v3, vcc
	s_mov_b32 s0, 0x5040100
	v_cndmask_b32_e32 v11, v6, v4, vcc
	v_perm_b32 v4, v3, v22, s0
	v_perm_b32 v3, v21, v20, s0
	;; [unrolled: 1-line block ×4, first 2 shown]
.LBB57_31:
	s_or_b64 exec, exec, s[30:31]
	s_lshl_b64 s[0:1], s[26:27], 3
	s_add_u32 s8, s16, s0
	s_addc_u32 s9, s17, s1
	s_lshl_b64 s[0:1], s[28:29], 3
	s_add_u32 s6, s16, s0
	v_cndmask_b32_e64 v5, 0, 1, s[24:25]
	s_addc_u32 s7, s17, s1
	v_cmp_gt_u32_e64 s[4:5], s33, v0
	v_cmp_ne_u32_e64 s[0:1], 1, v5
	s_andn2_b64 vcc, exec, s[24:25]
	v_cmp_le_u32_e64 s[2:3], s33, v0
	s_barrier
	s_cbranch_vccnz .LBB57_33
; %bb.32:
	v_mov_b32_e32 v5, s9
	v_add_co_u32_e32 v7, vcc, s8, v10
	v_subrev_u32_e32 v6, s33, v0
	v_addc_co_u32_e32 v5, vcc, 0, v5, vcc
	v_lshlrev_b32_e32 v6, 3, v6
	v_mov_b32_e32 v8, s7
	v_add_co_u32_e32 v19, vcc, s6, v6
	v_addc_co_u32_e32 v6, vcc, 0, v8, vcc
	v_cndmask_b32_e64 v6, v6, v5, s[4:5]
	v_cndmask_b32_e64 v5, v19, v7, s[4:5]
	v_or_b32_e32 v7, 0x80, v0
	v_subrev_u32_e32 v8, s33, v7
	v_min_u32_e32 v8, v7, v8
	v_cmp_gt_u32_e32 vcc, s33, v7
	v_mov_b32_e32 v31, s6
	v_mov_b32_e32 v32, s8
	;; [unrolled: 1-line block ×4, first 2 shown]
	v_cndmask_b32_e32 v7, v31, v32, vcc
	v_lshlrev_b32_e32 v8, 3, v8
	v_cndmask_b32_e32 v19, v29, v30, vcc
	v_add_co_u32_e32 v7, vcc, v7, v8
	v_addc_co_u32_e32 v8, vcc, 0, v19, vcc
	v_or_b32_e32 v19, 0x100, v0
	v_subrev_u32_e32 v20, s33, v19
	v_min_u32_e32 v20, v19, v20
	v_cmp_gt_u32_e32 vcc, s33, v19
	v_cndmask_b32_e32 v19, v31, v32, vcc
	v_lshlrev_b32_e32 v20, 3, v20
	v_cndmask_b32_e32 v21, v29, v30, vcc
	v_add_co_u32_e32 v19, vcc, v19, v20
	v_addc_co_u32_e32 v20, vcc, 0, v21, vcc
	v_or_b32_e32 v21, 0x180, v0
	v_subrev_u32_e32 v22, s33, v21
	v_min_u32_e32 v22, v21, v22
	v_cmp_gt_u32_e32 vcc, s33, v21
	;; [unrolled: 9-line block ×5, first 2 shown]
	global_load_dwordx2 v[5:6], v[5:6], off
	v_cndmask_b32_e32 v27, v31, v32, vcc
	global_load_dwordx2 v[7:8], v[7:8], off
	v_lshlrev_b32_e32 v28, 3, v28
	global_load_dwordx2 v[19:20], v[19:20], off
	v_cndmask_b32_e32 v33, v29, v30, vcc
	global_load_dwordx2 v[21:22], v[21:22], off
	v_add_co_u32_e32 v27, vcc, v27, v28
	global_load_dwordx2 v[23:24], v[23:24], off
	v_addc_co_u32_e32 v28, vcc, 0, v33, vcc
	global_load_dwordx2 v[25:26], v[25:26], off
	s_nop 0
	global_load_dwordx2 v[27:28], v[27:28], off
	s_mov_b64 s[4:5], -1
	s_waitcnt vmcnt(5)
	ds_write2st64_b64 v10, v[5:6], v[7:8] offset1:2
	s_waitcnt vmcnt(3)
	ds_write2st64_b64 v10, v[19:20], v[21:22] offset0:4 offset1:6
	s_waitcnt vmcnt(1)
	ds_write2st64_b64 v10, v[23:24], v[25:26] offset0:8 offset1:10
	s_waitcnt vmcnt(0)
	ds_write_b64 v10, v[27:28] offset:6144
	v_or_b32_e32 v19, 0x380, v0
	v_subrev_u32_e32 v5, s33, v19
	v_cmp_gt_u32_e32 vcc, s33, v19
	v_min_u32_e32 v7, v19, v5
	v_cndmask_b32_e32 v6, v29, v30, vcc
	v_cndmask_b32_e32 v5, v31, v32, vcc
	s_cbranch_execz .LBB57_34
	s_branch .LBB57_67
.LBB57_33:
	s_mov_b64 s[4:5], 0
                                        ; implicit-def: $vgpr19
                                        ; implicit-def: $vgpr5_vgpr6
                                        ; implicit-def: $vgpr7
.LBB57_34:
	s_and_saveexec_b64 s[4:5], s[2:3]
	s_xor_b64 s[2:3], exec, s[4:5]
	s_cbranch_execz .LBB57_38
; %bb.35:
	v_subrev_u32_e32 v5, s33, v0
	v_cmp_gt_u32_e32 vcc, s34, v5
	s_and_saveexec_b64 s[4:5], vcc
	s_cbranch_execz .LBB57_37
; %bb.36:
	v_lshlrev_b32_e32 v5, 3, v5
	global_load_dwordx2 v[5:6], v5, s[6:7]
	s_waitcnt vmcnt(0)
	ds_write_b64 v10, v[5:6]
.LBB57_37:
	s_or_b64 exec, exec, s[4:5]
.LBB57_38:
	s_or_saveexec_b64 s[2:3], s[2:3]
	v_mad_u32_u24 v7, v0, 6, v9
	s_xor_b64 exec, exec, s[2:3]
	s_cbranch_execz .LBB57_40
; %bb.39:
	global_load_dwordx2 v[5:6], v10, s[8:9]
	s_waitcnt vmcnt(0)
	ds_write_b64 v7, v[5:6]
.LBB57_40:
	s_or_b64 exec, exec, s[2:3]
	v_or_b32_e32 v8, 0x80, v0
	v_mov_b32_e32 v5, s26
	v_cmp_le_u32_e32 vcc, s33, v8
	s_mov_b64 s[2:3], -1
	v_mov_b32_e32 v6, s27
	s_and_saveexec_b64 s[4:5], vcc
; %bb.41:
	v_subrev_u32_e32 v8, s33, v8
	v_cmp_gt_u32_e32 vcc, s34, v8
	v_mov_b32_e32 v5, s28
	v_mov_b32_e32 v6, s29
	s_orn2_b64 s[2:3], vcc, exec
; %bb.42:
	s_or_b64 exec, exec, s[4:5]
	s_and_saveexec_b64 s[4:5], s[2:3]
	s_cbranch_execz .LBB57_44
; %bb.43:
	v_lshlrev_b64 v[5:6], 3, v[5:6]
	v_mov_b32_e32 v19, s17
	v_add_co_u32_e32 v5, vcc, s16, v5
	v_addc_co_u32_e32 v6, vcc, v19, v6, vcc
	v_lshlrev_b32_e32 v8, 3, v8
	v_add_co_u32_e32 v5, vcc, v5, v8
	v_addc_co_u32_e32 v6, vcc, 0, v6, vcc
	global_load_dwordx2 v[5:6], v[5:6], off
	s_waitcnt vmcnt(0)
	ds_write_b64 v7, v[5:6] offset:1024
.LBB57_44:
	s_or_b64 exec, exec, s[4:5]
	v_or_b32_e32 v8, 0x100, v0
	v_mov_b32_e32 v5, s26
	v_cmp_le_u32_e32 vcc, s33, v8
	s_mov_b64 s[2:3], -1
	v_mov_b32_e32 v6, s27
	s_and_saveexec_b64 s[4:5], vcc
; %bb.45:
	v_subrev_u32_e32 v8, s33, v8
	v_cmp_gt_u32_e32 vcc, s34, v8
	v_mov_b32_e32 v5, s28
	v_mov_b32_e32 v6, s29
	s_orn2_b64 s[2:3], vcc, exec
; %bb.46:
	s_or_b64 exec, exec, s[4:5]
	s_and_saveexec_b64 s[4:5], s[2:3]
	s_cbranch_execz .LBB57_48
; %bb.47:
	v_lshlrev_b64 v[5:6], 3, v[5:6]
	v_mov_b32_e32 v19, s17
	v_add_co_u32_e32 v5, vcc, s16, v5
	v_addc_co_u32_e32 v6, vcc, v19, v6, vcc
	v_lshlrev_b32_e32 v8, 3, v8
	v_add_co_u32_e32 v5, vcc, v5, v8
	v_addc_co_u32_e32 v6, vcc, 0, v6, vcc
	global_load_dwordx2 v[5:6], v[5:6], off
	s_waitcnt vmcnt(0)
	ds_write_b64 v7, v[5:6] offset:2048
.LBB57_48:
	;; [unrolled: 29-line block ×6, first 2 shown]
	s_or_b64 exec, exec, s[4:5]
	v_or_b32_e32 v19, 0x380, v0
	v_mov_b32_e32 v5, s8
	v_cmp_le_u32_e32 vcc, s33, v19
	s_mov_b64 s[4:5], -1
	v_mov_b32_e32 v6, s9
	v_mov_b32_e32 v7, v19
	s_and_saveexec_b64 s[2:3], vcc
; %bb.65:
	v_subrev_u32_e32 v7, s33, v19
	v_cmp_gt_u32_e32 vcc, s34, v7
	v_mov_b32_e32 v5, s6
	v_mov_b32_e32 v6, s7
	s_orn2_b64 s[4:5], vcc, exec
; %bb.66:
	s_or_b64 exec, exec, s[2:3]
.LBB57_67:
	s_and_saveexec_b64 s[2:3], s[4:5]
	s_cbranch_execz .LBB57_69
; %bb.68:
	v_mov_b32_e32 v8, 0
	v_lshlrev_b64 v[7:8], 3, v[7:8]
	v_add_co_u32_e32 v5, vcc, v5, v7
	v_addc_co_u32_e32 v6, vcc, v6, v8, vcc
	global_load_dwordx2 v[5:6], v[5:6], off
	v_lshlrev_b32_e32 v7, 3, v19
	s_waitcnt vmcnt(0)
	ds_write_b64 v7, v[5:6]
.LBB57_69:
	s_or_b64 exec, exec, s[2:3]
	s_and_b64 vcc, exec, s[0:1]
	v_add_u32_e32 v5, s22, v10
	s_waitcnt lgkmcnt(0)
	s_barrier
	s_cbranch_vccnz .LBB57_71
; %bb.70:
	v_lshlrev_b32_e32 v19, 3, v18
	v_lshlrev_b32_e32 v21, 3, v17
	;; [unrolled: 1-line block ×7, first 2 shown]
	v_mov_b32_e32 v6, 0
	ds_read_b64 v[19:20], v19
	ds_read_b64 v[21:22], v21
	;; [unrolled: 1-line block ×7, first 2 shown]
	v_lshlrev_b64 v[7:8], 3, v[5:6]
	v_mov_b32_e32 v33, s19
	v_add_co_u32_e32 v7, vcc, s18, v7
	v_addc_co_u32_e32 v8, vcc, v33, v8, vcc
	s_mov_b64 s[0:1], -1
	s_waitcnt lgkmcnt(5)
	global_store_dwordx4 v[7:8], v[19:22], off
	s_waitcnt lgkmcnt(3)
	global_store_dwordx4 v[7:8], v[23:26], off offset:16
	s_waitcnt lgkmcnt(1)
	global_store_dwordx4 v[7:8], v[27:30], off offset:32
	s_waitcnt lgkmcnt(0)
	global_store_dwordx2 v[7:8], v[31:32], off offset:48
	s_cbranch_execz .LBB57_72
	s_branch .LBB57_89
.LBB57_71:
	s_mov_b64 s[0:1], 0
.LBB57_72:
	v_cmp_gt_u32_e32 vcc, s21, v10
	s_and_saveexec_b64 s[2:3], vcc
	s_cbranch_execz .LBB57_74
; %bb.73:
	v_lshlrev_b32_e32 v8, 3, v18
	v_mov_b32_e32 v6, 0
	ds_read_b64 v[18:19], v8
	v_lshlrev_b64 v[6:7], 3, v[5:6]
	v_mov_b32_e32 v20, s19
	v_add_co_u32_e32 v6, vcc, s18, v6
	v_addc_co_u32_e32 v7, vcc, v20, v7, vcc
	s_waitcnt lgkmcnt(0)
	global_store_dwordx2 v[6:7], v[18:19], off
.LBB57_74:
	s_or_b64 exec, exec, s[2:3]
	v_or_b32_e32 v6, 1, v10
	v_cmp_gt_u32_e32 vcc, s21, v6
	s_and_saveexec_b64 s[2:3], vcc
	s_cbranch_execz .LBB57_76
; %bb.75:
	v_lshlrev_b32_e32 v8, 3, v17
	v_mov_b32_e32 v6, 0
	ds_read_b64 v[17:18], v8
	v_lshlrev_b64 v[6:7], 3, v[5:6]
	v_mov_b32_e32 v19, s19
	v_add_co_u32_e32 v6, vcc, s18, v6
	v_addc_co_u32_e32 v7, vcc, v19, v7, vcc
	s_waitcnt lgkmcnt(0)
	global_store_dwordx2 v[6:7], v[17:18], off offset:8
.LBB57_76:
	s_or_b64 exec, exec, s[2:3]
	v_or_b32_e32 v6, 2, v10
	v_cmp_gt_u32_e32 vcc, s21, v6
	s_and_saveexec_b64 s[2:3], vcc
	s_cbranch_execz .LBB57_78
; %bb.77:
	v_lshlrev_b32_e32 v8, 3, v16
	v_mov_b32_e32 v6, 0
	ds_read_b64 v[16:17], v8
	v_lshlrev_b64 v[6:7], 3, v[5:6]
	v_mov_b32_e32 v18, s19
	v_add_co_u32_e32 v6, vcc, s18, v6
	v_addc_co_u32_e32 v7, vcc, v18, v7, vcc
	s_waitcnt lgkmcnt(0)
	global_store_dwordx2 v[6:7], v[16:17], off offset:16
.LBB57_78:
	;; [unrolled: 16-line block ×6, first 2 shown]
	s_or_b64 exec, exec, s[2:3]
	v_or_b32_e32 v6, 7, v10
	v_cmp_gt_u32_e32 vcc, s21, v6
	s_and_saveexec_b64 s[2:3], vcc
; %bb.87:
	v_mov_b32_e32 v6, 0
	s_or_b64 s[0:1], s[0:1], exec
; %bb.88:
	s_or_b64 exec, exec, s[2:3]
.LBB57_89:
	s_and_saveexec_b64 s[2:3], s[0:1]
	s_cbranch_execz .LBB57_91
; %bb.90:
	v_lshlrev_b32_e32 v7, 3, v11
	ds_read_b64 v[7:8], v7
	v_lshlrev_b64 v[5:6], 3, v[5:6]
	v_mov_b32_e32 v11, s19
	v_add_co_u32_e32 v5, vcc, s18, v5
	v_addc_co_u32_e32 v6, vcc, v11, v6, vcc
	s_waitcnt lgkmcnt(0)
	global_store_dwordx2 v[5:6], v[7:8], off offset:56
.LBB57_91:
	s_or_b64 exec, exec, s[2:3]
	v_lshrrev_b32_e32 v5, 1, v0
	v_and_b32_e32 v5, 60, v5
	v_lshl_add_u32 v5, v10, 1, v5
	s_waitcnt vmcnt(0)
	s_barrier
	s_barrier
	ds_write2_b32 v5, v1, v2 offset1:1
	ds_write2_b32 v5, v3, v4 offset0:2 offset1:3
	v_lshrrev_b32_e32 v1, 4, v0
	v_and_b32_e32 v1, 4, v1
	v_or_b32_e32 v11, 0x80, v0
	v_add_u32_e32 v12, v1, v9
	v_lshrrev_b32_e32 v1, 4, v11
	v_and_b32_e32 v1, 12, v1
	v_or_b32_e32 v10, 0x100, v0
	v_add_u32_e32 v13, v1, v9
	v_lshrrev_b32_e32 v1, 4, v10
	v_and_b32_e32 v1, 20, v1
	v_or_b32_e32 v8, 0x180, v0
	v_add_u32_e32 v14, v1, v9
	v_lshrrev_b32_e32 v1, 4, v8
	v_and_b32_e32 v1, 28, v1
	v_or_b32_e32 v6, 0x200, v0
	v_add_u32_e32 v15, v1, v9
	v_lshrrev_b32_e32 v1, 4, v6
	v_and_b32_e32 v1, 36, v1
	v_or_b32_e32 v5, 0x280, v0
	v_add_u32_e32 v16, v1, v9
	v_lshrrev_b32_e32 v1, 4, v5
	v_and_b32_e32 v1, 44, v1
	v_or_b32_e32 v4, 0x300, v0
	s_mov_b32 s23, 0
	v_add_u32_e32 v17, v1, v9
	v_lshrrev_b32_e32 v1, 4, v4
	s_lshl_b64 s[0:1], s[22:23], 1
	v_and_b32_e32 v1, 52, v1
	v_or_b32_e32 v3, 0x380, v0
	s_add_u32 s0, s14, s0
	v_add_u32_e32 v18, v1, v9
	v_lshrrev_b32_e32 v1, 4, v3
	s_addc_u32 s1, s15, s1
	v_and_b32_e32 v1, 60, v1
	v_add_u32_e32 v19, v1, v9
	v_mov_b32_e32 v2, s1
	v_add_co_u32_e32 v1, vcc, s0, v9
	v_addc_co_u32_e32 v2, vcc, 0, v2, vcc
	s_and_b64 vcc, exec, s[24:25]
	s_waitcnt lgkmcnt(0)
	s_cbranch_vccz .LBB57_93
; %bb.92:
	s_barrier
	ds_read_u16 v9, v12
	ds_read_u16 v20, v13 offset:256
	ds_read_u16 v21, v14 offset:512
	;; [unrolled: 1-line block ×7, first 2 shown]
	s_waitcnt lgkmcnt(7)
	global_store_short v[1:2], v9, off
	s_waitcnt lgkmcnt(6)
	global_store_short v[1:2], v20, off offset:256
	s_waitcnt lgkmcnt(5)
	global_store_short v[1:2], v21, off offset:512
	;; [unrolled: 2-line block ×6, first 2 shown]
	s_mov_b64 s[0:1], -1
	s_cbranch_execz .LBB57_94
	s_branch .LBB57_103
.LBB57_93:
	s_mov_b64 s[0:1], 0
                                        ; implicit-def: $vgpr7
.LBB57_94:
	s_waitcnt vmcnt(0) lgkmcnt(0)
	s_barrier
	ds_read_u16 v21, v13 offset:256
	ds_read_u16 v20, v14 offset:512
	;; [unrolled: 1-line block ×7, first 2 shown]
	s_sub_i32 s2, s20, s22
	v_cmp_gt_u32_e32 vcc, s2, v0
	s_and_saveexec_b64 s[0:1], vcc
	s_cbranch_execnz .LBB57_106
; %bb.95:
	s_or_b64 exec, exec, s[0:1]
	v_cmp_gt_u32_e32 vcc, s2, v11
	s_and_saveexec_b64 s[0:1], vcc
	s_cbranch_execnz .LBB57_107
.LBB57_96:
	s_or_b64 exec, exec, s[0:1]
	v_cmp_gt_u32_e32 vcc, s2, v10
	s_and_saveexec_b64 s[0:1], vcc
	s_cbranch_execnz .LBB57_108
.LBB57_97:
	s_or_b64 exec, exec, s[0:1]
	v_cmp_gt_u32_e32 vcc, s2, v8
	s_and_saveexec_b64 s[0:1], vcc
	s_cbranch_execnz .LBB57_109
.LBB57_98:
	s_or_b64 exec, exec, s[0:1]
	v_cmp_gt_u32_e32 vcc, s2, v6
	s_and_saveexec_b64 s[0:1], vcc
	s_cbranch_execnz .LBB57_110
.LBB57_99:
	s_or_b64 exec, exec, s[0:1]
	v_cmp_gt_u32_e32 vcc, s2, v5
	s_and_saveexec_b64 s[0:1], vcc
	s_cbranch_execnz .LBB57_111
.LBB57_100:
	s_or_b64 exec, exec, s[0:1]
	v_cmp_gt_u32_e32 vcc, s2, v4
	s_and_saveexec_b64 s[0:1], vcc
	s_cbranch_execz .LBB57_102
.LBB57_101:
	s_waitcnt lgkmcnt(1)
	global_store_short v[1:2], v9, off offset:1536
.LBB57_102:
	s_or_b64 exec, exec, s[0:1]
	v_cmp_gt_u32_e64 s[0:1], s2, v3
.LBB57_103:
	s_and_saveexec_b64 s[2:3], s[0:1]
	s_cbranch_execz .LBB57_105
; %bb.104:
	s_waitcnt lgkmcnt(0)
	global_store_short v[1:2], v7, off offset:1792
.LBB57_105:
	s_endpgm
.LBB57_106:
	ds_read_u16 v0, v12
	s_waitcnt lgkmcnt(0)
	global_store_short v[1:2], v0, off
	s_or_b64 exec, exec, s[0:1]
	v_cmp_gt_u32_e32 vcc, s2, v11
	s_and_saveexec_b64 s[0:1], vcc
	s_cbranch_execz .LBB57_96
.LBB57_107:
	s_waitcnt lgkmcnt(6)
	global_store_short v[1:2], v21, off offset:256
	s_or_b64 exec, exec, s[0:1]
	v_cmp_gt_u32_e32 vcc, s2, v10
	s_and_saveexec_b64 s[0:1], vcc
	s_cbranch_execz .LBB57_97
.LBB57_108:
	s_waitcnt lgkmcnt(5)
	global_store_short v[1:2], v20, off offset:512
	s_or_b64 exec, exec, s[0:1]
	v_cmp_gt_u32_e32 vcc, s2, v8
	s_and_saveexec_b64 s[0:1], vcc
	s_cbranch_execz .LBB57_98
.LBB57_109:
	s_waitcnt lgkmcnt(4)
	global_store_short v[1:2], v15, off offset:768
	s_or_b64 exec, exec, s[0:1]
	v_cmp_gt_u32_e32 vcc, s2, v6
	s_and_saveexec_b64 s[0:1], vcc
	s_cbranch_execz .LBB57_99
.LBB57_110:
	s_waitcnt lgkmcnt(3)
	global_store_short v[1:2], v14, off offset:1024
	s_or_b64 exec, exec, s[0:1]
	v_cmp_gt_u32_e32 vcc, s2, v5
	s_and_saveexec_b64 s[0:1], vcc
	s_cbranch_execz .LBB57_100
.LBB57_111:
	s_waitcnt lgkmcnt(2)
	global_store_short v[1:2], v13, off offset:1280
	s_or_b64 exec, exec, s[0:1]
	v_cmp_gt_u32_e32 vcc, s2, v4
	s_and_saveexec_b64 s[0:1], vcc
	s_cbranch_execnz .LBB57_101
	s_branch .LBB57_102
	.section	.rodata,"a",@progbits
	.p2align	6, 0x0
	.amdhsa_kernel _ZN7rocprim17ROCPRIM_304000_NS6detail35device_block_merge_mergepath_kernelINS1_37wrapped_merge_sort_block_merge_configINS0_14default_configEsN2at4cuda3cub6detail10OpaqueTypeILi8EEEEEPsSC_PSA_SD_jNS1_19radix_merge_compareILb1ELb1EsNS0_19identity_decomposerEEEEEvT0_T1_T2_T3_T4_SL_jT5_PKSL_NS1_7vsmem_tE
		.amdhsa_group_segment_fixed_size 8208
		.amdhsa_private_segment_fixed_size 0
		.amdhsa_kernarg_size 320
		.amdhsa_user_sgpr_count 6
		.amdhsa_user_sgpr_private_segment_buffer 1
		.amdhsa_user_sgpr_dispatch_ptr 0
		.amdhsa_user_sgpr_queue_ptr 0
		.amdhsa_user_sgpr_kernarg_segment_ptr 1
		.amdhsa_user_sgpr_dispatch_id 0
		.amdhsa_user_sgpr_flat_scratch_init 0
		.amdhsa_user_sgpr_private_segment_size 0
		.amdhsa_uses_dynamic_stack 0
		.amdhsa_system_sgpr_private_segment_wavefront_offset 0
		.amdhsa_system_sgpr_workgroup_id_x 1
		.amdhsa_system_sgpr_workgroup_id_y 1
		.amdhsa_system_sgpr_workgroup_id_z 1
		.amdhsa_system_sgpr_workgroup_info 0
		.amdhsa_system_vgpr_workitem_id 0
		.amdhsa_next_free_vgpr 49
		.amdhsa_next_free_sgpr 98
		.amdhsa_reserve_vcc 1
		.amdhsa_reserve_flat_scratch 0
		.amdhsa_float_round_mode_32 0
		.amdhsa_float_round_mode_16_64 0
		.amdhsa_float_denorm_mode_32 3
		.amdhsa_float_denorm_mode_16_64 3
		.amdhsa_dx10_clamp 1
		.amdhsa_ieee_mode 1
		.amdhsa_fp16_overflow 0
		.amdhsa_exception_fp_ieee_invalid_op 0
		.amdhsa_exception_fp_denorm_src 0
		.amdhsa_exception_fp_ieee_div_zero 0
		.amdhsa_exception_fp_ieee_overflow 0
		.amdhsa_exception_fp_ieee_underflow 0
		.amdhsa_exception_fp_ieee_inexact 0
		.amdhsa_exception_int_div_zero 0
	.end_amdhsa_kernel
	.section	.text._ZN7rocprim17ROCPRIM_304000_NS6detail35device_block_merge_mergepath_kernelINS1_37wrapped_merge_sort_block_merge_configINS0_14default_configEsN2at4cuda3cub6detail10OpaqueTypeILi8EEEEEPsSC_PSA_SD_jNS1_19radix_merge_compareILb1ELb1EsNS0_19identity_decomposerEEEEEvT0_T1_T2_T3_T4_SL_jT5_PKSL_NS1_7vsmem_tE,"axG",@progbits,_ZN7rocprim17ROCPRIM_304000_NS6detail35device_block_merge_mergepath_kernelINS1_37wrapped_merge_sort_block_merge_configINS0_14default_configEsN2at4cuda3cub6detail10OpaqueTypeILi8EEEEEPsSC_PSA_SD_jNS1_19radix_merge_compareILb1ELb1EsNS0_19identity_decomposerEEEEEvT0_T1_T2_T3_T4_SL_jT5_PKSL_NS1_7vsmem_tE,comdat
.Lfunc_end57:
	.size	_ZN7rocprim17ROCPRIM_304000_NS6detail35device_block_merge_mergepath_kernelINS1_37wrapped_merge_sort_block_merge_configINS0_14default_configEsN2at4cuda3cub6detail10OpaqueTypeILi8EEEEEPsSC_PSA_SD_jNS1_19radix_merge_compareILb1ELb1EsNS0_19identity_decomposerEEEEEvT0_T1_T2_T3_T4_SL_jT5_PKSL_NS1_7vsmem_tE, .Lfunc_end57-_ZN7rocprim17ROCPRIM_304000_NS6detail35device_block_merge_mergepath_kernelINS1_37wrapped_merge_sort_block_merge_configINS0_14default_configEsN2at4cuda3cub6detail10OpaqueTypeILi8EEEEEPsSC_PSA_SD_jNS1_19radix_merge_compareILb1ELb1EsNS0_19identity_decomposerEEEEEvT0_T1_T2_T3_T4_SL_jT5_PKSL_NS1_7vsmem_tE
                                        ; -- End function
	.set _ZN7rocprim17ROCPRIM_304000_NS6detail35device_block_merge_mergepath_kernelINS1_37wrapped_merge_sort_block_merge_configINS0_14default_configEsN2at4cuda3cub6detail10OpaqueTypeILi8EEEEEPsSC_PSA_SD_jNS1_19radix_merge_compareILb1ELb1EsNS0_19identity_decomposerEEEEEvT0_T1_T2_T3_T4_SL_jT5_PKSL_NS1_7vsmem_tE.num_vgpr, 34
	.set _ZN7rocprim17ROCPRIM_304000_NS6detail35device_block_merge_mergepath_kernelINS1_37wrapped_merge_sort_block_merge_configINS0_14default_configEsN2at4cuda3cub6detail10OpaqueTypeILi8EEEEEPsSC_PSA_SD_jNS1_19radix_merge_compareILb1ELb1EsNS0_19identity_decomposerEEEEEvT0_T1_T2_T3_T4_SL_jT5_PKSL_NS1_7vsmem_tE.num_agpr, 0
	.set _ZN7rocprim17ROCPRIM_304000_NS6detail35device_block_merge_mergepath_kernelINS1_37wrapped_merge_sort_block_merge_configINS0_14default_configEsN2at4cuda3cub6detail10OpaqueTypeILi8EEEEEPsSC_PSA_SD_jNS1_19radix_merge_compareILb1ELb1EsNS0_19identity_decomposerEEEEEvT0_T1_T2_T3_T4_SL_jT5_PKSL_NS1_7vsmem_tE.numbered_sgpr, 35
	.set _ZN7rocprim17ROCPRIM_304000_NS6detail35device_block_merge_mergepath_kernelINS1_37wrapped_merge_sort_block_merge_configINS0_14default_configEsN2at4cuda3cub6detail10OpaqueTypeILi8EEEEEPsSC_PSA_SD_jNS1_19radix_merge_compareILb1ELb1EsNS0_19identity_decomposerEEEEEvT0_T1_T2_T3_T4_SL_jT5_PKSL_NS1_7vsmem_tE.num_named_barrier, 0
	.set _ZN7rocprim17ROCPRIM_304000_NS6detail35device_block_merge_mergepath_kernelINS1_37wrapped_merge_sort_block_merge_configINS0_14default_configEsN2at4cuda3cub6detail10OpaqueTypeILi8EEEEEPsSC_PSA_SD_jNS1_19radix_merge_compareILb1ELb1EsNS0_19identity_decomposerEEEEEvT0_T1_T2_T3_T4_SL_jT5_PKSL_NS1_7vsmem_tE.private_seg_size, 0
	.set _ZN7rocprim17ROCPRIM_304000_NS6detail35device_block_merge_mergepath_kernelINS1_37wrapped_merge_sort_block_merge_configINS0_14default_configEsN2at4cuda3cub6detail10OpaqueTypeILi8EEEEEPsSC_PSA_SD_jNS1_19radix_merge_compareILb1ELb1EsNS0_19identity_decomposerEEEEEvT0_T1_T2_T3_T4_SL_jT5_PKSL_NS1_7vsmem_tE.uses_vcc, 1
	.set _ZN7rocprim17ROCPRIM_304000_NS6detail35device_block_merge_mergepath_kernelINS1_37wrapped_merge_sort_block_merge_configINS0_14default_configEsN2at4cuda3cub6detail10OpaqueTypeILi8EEEEEPsSC_PSA_SD_jNS1_19radix_merge_compareILb1ELb1EsNS0_19identity_decomposerEEEEEvT0_T1_T2_T3_T4_SL_jT5_PKSL_NS1_7vsmem_tE.uses_flat_scratch, 0
	.set _ZN7rocprim17ROCPRIM_304000_NS6detail35device_block_merge_mergepath_kernelINS1_37wrapped_merge_sort_block_merge_configINS0_14default_configEsN2at4cuda3cub6detail10OpaqueTypeILi8EEEEEPsSC_PSA_SD_jNS1_19radix_merge_compareILb1ELb1EsNS0_19identity_decomposerEEEEEvT0_T1_T2_T3_T4_SL_jT5_PKSL_NS1_7vsmem_tE.has_dyn_sized_stack, 0
	.set _ZN7rocprim17ROCPRIM_304000_NS6detail35device_block_merge_mergepath_kernelINS1_37wrapped_merge_sort_block_merge_configINS0_14default_configEsN2at4cuda3cub6detail10OpaqueTypeILi8EEEEEPsSC_PSA_SD_jNS1_19radix_merge_compareILb1ELb1EsNS0_19identity_decomposerEEEEEvT0_T1_T2_T3_T4_SL_jT5_PKSL_NS1_7vsmem_tE.has_recursion, 0
	.set _ZN7rocprim17ROCPRIM_304000_NS6detail35device_block_merge_mergepath_kernelINS1_37wrapped_merge_sort_block_merge_configINS0_14default_configEsN2at4cuda3cub6detail10OpaqueTypeILi8EEEEEPsSC_PSA_SD_jNS1_19radix_merge_compareILb1ELb1EsNS0_19identity_decomposerEEEEEvT0_T1_T2_T3_T4_SL_jT5_PKSL_NS1_7vsmem_tE.has_indirect_call, 0
	.section	.AMDGPU.csdata,"",@progbits
; Kernel info:
; codeLenInByte = 6168
; TotalNumSgprs: 39
; NumVgprs: 34
; ScratchSize: 0
; MemoryBound: 0
; FloatMode: 240
; IeeeMode: 1
; LDSByteSize: 8208 bytes/workgroup (compile time only)
; SGPRBlocks: 12
; VGPRBlocks: 12
; NumSGPRsForWavesPerEU: 102
; NumVGPRsForWavesPerEU: 49
; Occupancy: 4
; WaveLimiterHint : 1
; COMPUTE_PGM_RSRC2:SCRATCH_EN: 0
; COMPUTE_PGM_RSRC2:USER_SGPR: 6
; COMPUTE_PGM_RSRC2:TRAP_HANDLER: 0
; COMPUTE_PGM_RSRC2:TGID_X_EN: 1
; COMPUTE_PGM_RSRC2:TGID_Y_EN: 1
; COMPUTE_PGM_RSRC2:TGID_Z_EN: 1
; COMPUTE_PGM_RSRC2:TIDIG_COMP_CNT: 0
	.section	.text._ZN7rocprim17ROCPRIM_304000_NS6detail33device_block_merge_oddeven_kernelINS1_37wrapped_merge_sort_block_merge_configINS0_14default_configEsN2at4cuda3cub6detail10OpaqueTypeILi8EEEEEPsSC_PSA_SD_jNS1_19radix_merge_compareILb1ELb1EsNS0_19identity_decomposerEEEEEvT0_T1_T2_T3_T4_SL_T5_,"axG",@progbits,_ZN7rocprim17ROCPRIM_304000_NS6detail33device_block_merge_oddeven_kernelINS1_37wrapped_merge_sort_block_merge_configINS0_14default_configEsN2at4cuda3cub6detail10OpaqueTypeILi8EEEEEPsSC_PSA_SD_jNS1_19radix_merge_compareILb1ELb1EsNS0_19identity_decomposerEEEEEvT0_T1_T2_T3_T4_SL_T5_,comdat
	.protected	_ZN7rocprim17ROCPRIM_304000_NS6detail33device_block_merge_oddeven_kernelINS1_37wrapped_merge_sort_block_merge_configINS0_14default_configEsN2at4cuda3cub6detail10OpaqueTypeILi8EEEEEPsSC_PSA_SD_jNS1_19radix_merge_compareILb1ELb1EsNS0_19identity_decomposerEEEEEvT0_T1_T2_T3_T4_SL_T5_ ; -- Begin function _ZN7rocprim17ROCPRIM_304000_NS6detail33device_block_merge_oddeven_kernelINS1_37wrapped_merge_sort_block_merge_configINS0_14default_configEsN2at4cuda3cub6detail10OpaqueTypeILi8EEEEEPsSC_PSA_SD_jNS1_19radix_merge_compareILb1ELb1EsNS0_19identity_decomposerEEEEEvT0_T1_T2_T3_T4_SL_T5_
	.globl	_ZN7rocprim17ROCPRIM_304000_NS6detail33device_block_merge_oddeven_kernelINS1_37wrapped_merge_sort_block_merge_configINS0_14default_configEsN2at4cuda3cub6detail10OpaqueTypeILi8EEEEEPsSC_PSA_SD_jNS1_19radix_merge_compareILb1ELb1EsNS0_19identity_decomposerEEEEEvT0_T1_T2_T3_T4_SL_T5_
	.p2align	8
	.type	_ZN7rocprim17ROCPRIM_304000_NS6detail33device_block_merge_oddeven_kernelINS1_37wrapped_merge_sort_block_merge_configINS0_14default_configEsN2at4cuda3cub6detail10OpaqueTypeILi8EEEEEPsSC_PSA_SD_jNS1_19radix_merge_compareILb1ELb1EsNS0_19identity_decomposerEEEEEvT0_T1_T2_T3_T4_SL_T5_,@function
_ZN7rocprim17ROCPRIM_304000_NS6detail33device_block_merge_oddeven_kernelINS1_37wrapped_merge_sort_block_merge_configINS0_14default_configEsN2at4cuda3cub6detail10OpaqueTypeILi8EEEEEPsSC_PSA_SD_jNS1_19radix_merge_compareILb1ELb1EsNS0_19identity_decomposerEEEEEvT0_T1_T2_T3_T4_SL_T5_: ; @_ZN7rocprim17ROCPRIM_304000_NS6detail33device_block_merge_oddeven_kernelINS1_37wrapped_merge_sort_block_merge_configINS0_14default_configEsN2at4cuda3cub6detail10OpaqueTypeILi8EEEEEPsSC_PSA_SD_jNS1_19radix_merge_compareILb1ELb1EsNS0_19identity_decomposerEEEEEvT0_T1_T2_T3_T4_SL_T5_
; %bb.0:
	s_load_dwordx4 s[16:19], s[4:5], 0x20
	s_waitcnt lgkmcnt(0)
	s_lshr_b32 s0, s16, 8
	s_cmp_eq_u32 s6, s0
	s_cselect_b64 s[20:21], -1, 0
	s_cmp_lg_u32 s6, s0
	s_cselect_b64 s[0:1], -1, 0
	s_lshl_b32 s22, s6, 8
	s_sub_i32 s2, s16, s22
	v_cmp_gt_u32_e64 s[2:3], s2, v0
	s_or_b64 s[0:1], s[0:1], s[2:3]
	s_and_saveexec_b64 s[8:9], s[0:1]
	s_cbranch_execz .LBB58_24
; %bb.1:
	s_load_dwordx8 s[8:15], s[4:5], 0x0
	s_mov_b32 s23, 0
	s_lshl_b64 s[0:1], s[22:23], 1
	v_lshlrev_b32_e32 v4, 3, v0
	v_lshlrev_b32_e32 v3, 1, v0
	s_waitcnt lgkmcnt(0)
	s_add_u32 s0, s8, s0
	s_addc_u32 s1, s9, s1
	s_lshl_b64 s[4:5], s[22:23], 3
	s_add_u32 s4, s12, s4
	s_addc_u32 s5, s13, s5
	global_load_dwordx2 v[1:2], v4, s[4:5]
	global_load_ushort v5, v3, s[0:1]
	s_lshr_b32 s0, s17, 8
	s_sub_i32 s1, 0, s0
	s_and_b32 s1, s6, s1
	s_and_b32 s0, s1, s0
	s_lshl_b32 s13, s1, 8
	s_sub_i32 s6, 0, s17
	s_cmp_eq_u32 s0, 0
	s_cselect_b64 s[0:1], -1, 0
	s_and_b64 s[4:5], s[0:1], exec
	s_cselect_b32 s6, s17, s6
	s_add_i32 s6, s6, s13
	s_mov_b64 s[4:5], -1
	s_cmp_gt_u32 s16, s6
	v_add_u32_e32 v3, s22, v0
	s_cbranch_scc1 .LBB58_9
; %bb.2:
	s_and_b64 vcc, exec, s[20:21]
	s_cbranch_vccz .LBB58_6
; %bb.3:
	v_cmp_gt_u32_e32 vcc, s16, v3
	s_and_saveexec_b64 s[4:5], vcc
	s_cbranch_execz .LBB58_5
; %bb.4:
	v_mov_b32_e32 v4, 0
	v_lshlrev_b64 v[6:7], 3, v[3:4]
	v_mov_b32_e32 v0, s15
	v_add_co_u32_e32 v6, vcc, s14, v6
	v_lshlrev_b64 v[8:9], 1, v[3:4]
	v_addc_co_u32_e32 v7, vcc, v0, v7, vcc
	v_mov_b32_e32 v0, s11
	v_add_co_u32_e32 v8, vcc, s10, v8
	v_addc_co_u32_e32 v9, vcc, v0, v9, vcc
	s_waitcnt vmcnt(0)
	global_store_short v[8:9], v5, off
	global_store_dwordx2 v[6:7], v[1:2], off
.LBB58_5:
	s_or_b64 exec, exec, s[4:5]
	s_mov_b64 s[4:5], 0
.LBB58_6:
	s_andn2_b64 vcc, exec, s[4:5]
	s_cbranch_vccnz .LBB58_8
; %bb.7:
	v_mov_b32_e32 v4, 0
	v_lshlrev_b64 v[6:7], 1, v[3:4]
	v_mov_b32_e32 v0, s11
	v_add_co_u32_e32 v6, vcc, s10, v6
	v_lshlrev_b64 v[8:9], 3, v[3:4]
	v_addc_co_u32_e32 v7, vcc, v0, v7, vcc
	v_mov_b32_e32 v0, s15
	v_add_co_u32_e32 v8, vcc, s14, v8
	v_addc_co_u32_e32 v9, vcc, v0, v9, vcc
	s_waitcnt vmcnt(0)
	global_store_short v[6:7], v5, off
	global_store_dwordx2 v[8:9], v[1:2], off
.LBB58_8:
	s_mov_b64 s[4:5], 0
.LBB58_9:
	s_andn2_b64 vcc, exec, s[4:5]
	s_cbranch_vccnz .LBB58_24
; %bb.10:
	s_min_u32 s7, s6, s16
	s_add_i32 s4, s7, s17
	s_min_u32 s12, s4, s16
	s_min_u32 s4, s13, s7
	s_add_i32 s13, s13, s7
	v_subrev_u32_e32 v0, s13, v3
	v_add_u32_e32 v0, s4, v0
	s_waitcnt vmcnt(0)
	v_and_b32_e32 v3, s18, v5
	s_mov_b64 s[4:5], -1
	s_and_b64 vcc, exec, s[20:21]
	s_cbranch_vccz .LBB58_18
; %bb.11:
	s_and_saveexec_b64 s[4:5], s[2:3]
	s_cbranch_execz .LBB58_17
; %bb.12:
	s_cmp_ge_u32 s6, s12
	v_mov_b32_e32 v4, s7
	s_cbranch_scc1 .LBB58_16
; %bb.13:
	s_mov_b64 s[2:3], 0
	v_mov_b32_e32 v6, s12
	v_mov_b32_e32 v4, s7
.LBB58_14:                              ; =>This Inner Loop Header: Depth=1
	v_add_u32_e32 v7, v4, v6
	v_and_b32_e32 v8, -2, v7
	global_load_ushort v8, v8, s[8:9]
	v_lshrrev_b32_e32 v7, 1, v7
	v_add_u32_e32 v9, 1, v7
	s_waitcnt vmcnt(0)
	v_and_b32_e32 v8, s18, v8
	v_cmp_gt_i16_e32 vcc, v8, v3
	v_cndmask_b32_e64 v10, 0, 1, vcc
	v_cmp_le_i16_e32 vcc, v3, v8
	v_cndmask_b32_e64 v8, 0, 1, vcc
	v_cndmask_b32_e64 v8, v8, v10, s[0:1]
	v_and_b32_e32 v8, 1, v8
	v_cmp_eq_u32_e32 vcc, 1, v8
	v_cndmask_b32_e32 v6, v7, v6, vcc
	v_cndmask_b32_e32 v4, v4, v9, vcc
	v_cmp_ge_u32_e32 vcc, v4, v6
	s_or_b64 s[2:3], vcc, s[2:3]
	s_andn2_b64 exec, exec, s[2:3]
	s_cbranch_execnz .LBB58_14
; %bb.15:
	s_or_b64 exec, exec, s[2:3]
.LBB58_16:
	v_add_u32_e32 v6, v4, v0
	v_mov_b32_e32 v7, 0
	v_lshlrev_b64 v[8:9], 1, v[6:7]
	v_mov_b32_e32 v4, s11
	v_add_co_u32_e32 v8, vcc, s10, v8
	v_lshlrev_b64 v[6:7], 3, v[6:7]
	v_addc_co_u32_e32 v9, vcc, v4, v9, vcc
	v_mov_b32_e32 v4, s15
	v_add_co_u32_e32 v6, vcc, s14, v6
	v_addc_co_u32_e32 v7, vcc, v4, v7, vcc
	global_store_short v[8:9], v5, off
	global_store_dwordx2 v[6:7], v[1:2], off
.LBB58_17:
	s_or_b64 exec, exec, s[4:5]
	s_mov_b64 s[4:5], 0
.LBB58_18:
	s_andn2_b64 vcc, exec, s[4:5]
	s_cbranch_vccnz .LBB58_24
; %bb.19:
	s_cmp_ge_u32 s6, s12
	v_mov_b32_e32 v4, s7
	s_cbranch_scc1 .LBB58_23
; %bb.20:
	s_mov_b64 s[2:3], 0
	v_mov_b32_e32 v6, s12
	v_mov_b32_e32 v4, s7
.LBB58_21:                              ; =>This Inner Loop Header: Depth=1
	v_add_u32_e32 v7, v4, v6
	v_and_b32_e32 v8, -2, v7
	global_load_ushort v8, v8, s[8:9]
	v_lshrrev_b32_e32 v7, 1, v7
	v_add_u32_e32 v9, 1, v7
	s_waitcnt vmcnt(0)
	v_and_b32_e32 v8, s18, v8
	v_cmp_gt_i16_e32 vcc, v8, v3
	v_cndmask_b32_e64 v10, 0, 1, vcc
	v_cmp_le_i16_e32 vcc, v3, v8
	v_cndmask_b32_e64 v8, 0, 1, vcc
	v_cndmask_b32_e64 v8, v8, v10, s[0:1]
	v_and_b32_e32 v8, 1, v8
	v_cmp_eq_u32_e32 vcc, 1, v8
	v_cndmask_b32_e32 v6, v7, v6, vcc
	v_cndmask_b32_e32 v4, v4, v9, vcc
	v_cmp_ge_u32_e32 vcc, v4, v6
	s_or_b64 s[2:3], vcc, s[2:3]
	s_andn2_b64 exec, exec, s[2:3]
	s_cbranch_execnz .LBB58_21
; %bb.22:
	s_or_b64 exec, exec, s[2:3]
.LBB58_23:
	v_add_u32_e32 v3, v4, v0
	v_mov_b32_e32 v4, 0
	v_lshlrev_b64 v[6:7], 1, v[3:4]
	v_mov_b32_e32 v0, s11
	v_add_co_u32_e32 v6, vcc, s10, v6
	v_lshlrev_b64 v[3:4], 3, v[3:4]
	v_addc_co_u32_e32 v7, vcc, v0, v7, vcc
	v_mov_b32_e32 v0, s15
	v_add_co_u32_e32 v3, vcc, s14, v3
	v_addc_co_u32_e32 v4, vcc, v0, v4, vcc
	global_store_short v[6:7], v5, off
	global_store_dwordx2 v[3:4], v[1:2], off
.LBB58_24:
	s_endpgm
	.section	.rodata,"a",@progbits
	.p2align	6, 0x0
	.amdhsa_kernel _ZN7rocprim17ROCPRIM_304000_NS6detail33device_block_merge_oddeven_kernelINS1_37wrapped_merge_sort_block_merge_configINS0_14default_configEsN2at4cuda3cub6detail10OpaqueTypeILi8EEEEEPsSC_PSA_SD_jNS1_19radix_merge_compareILb1ELb1EsNS0_19identity_decomposerEEEEEvT0_T1_T2_T3_T4_SL_T5_
		.amdhsa_group_segment_fixed_size 0
		.amdhsa_private_segment_fixed_size 0
		.amdhsa_kernarg_size 44
		.amdhsa_user_sgpr_count 6
		.amdhsa_user_sgpr_private_segment_buffer 1
		.amdhsa_user_sgpr_dispatch_ptr 0
		.amdhsa_user_sgpr_queue_ptr 0
		.amdhsa_user_sgpr_kernarg_segment_ptr 1
		.amdhsa_user_sgpr_dispatch_id 0
		.amdhsa_user_sgpr_flat_scratch_init 0
		.amdhsa_user_sgpr_private_segment_size 0
		.amdhsa_uses_dynamic_stack 0
		.amdhsa_system_sgpr_private_segment_wavefront_offset 0
		.amdhsa_system_sgpr_workgroup_id_x 1
		.amdhsa_system_sgpr_workgroup_id_y 0
		.amdhsa_system_sgpr_workgroup_id_z 0
		.amdhsa_system_sgpr_workgroup_info 0
		.amdhsa_system_vgpr_workitem_id 0
		.amdhsa_next_free_vgpr 11
		.amdhsa_next_free_sgpr 24
		.amdhsa_reserve_vcc 1
		.amdhsa_reserve_flat_scratch 0
		.amdhsa_float_round_mode_32 0
		.amdhsa_float_round_mode_16_64 0
		.amdhsa_float_denorm_mode_32 3
		.amdhsa_float_denorm_mode_16_64 3
		.amdhsa_dx10_clamp 1
		.amdhsa_ieee_mode 1
		.amdhsa_fp16_overflow 0
		.amdhsa_exception_fp_ieee_invalid_op 0
		.amdhsa_exception_fp_denorm_src 0
		.amdhsa_exception_fp_ieee_div_zero 0
		.amdhsa_exception_fp_ieee_overflow 0
		.amdhsa_exception_fp_ieee_underflow 0
		.amdhsa_exception_fp_ieee_inexact 0
		.amdhsa_exception_int_div_zero 0
	.end_amdhsa_kernel
	.section	.text._ZN7rocprim17ROCPRIM_304000_NS6detail33device_block_merge_oddeven_kernelINS1_37wrapped_merge_sort_block_merge_configINS0_14default_configEsN2at4cuda3cub6detail10OpaqueTypeILi8EEEEEPsSC_PSA_SD_jNS1_19radix_merge_compareILb1ELb1EsNS0_19identity_decomposerEEEEEvT0_T1_T2_T3_T4_SL_T5_,"axG",@progbits,_ZN7rocprim17ROCPRIM_304000_NS6detail33device_block_merge_oddeven_kernelINS1_37wrapped_merge_sort_block_merge_configINS0_14default_configEsN2at4cuda3cub6detail10OpaqueTypeILi8EEEEEPsSC_PSA_SD_jNS1_19radix_merge_compareILb1ELb1EsNS0_19identity_decomposerEEEEEvT0_T1_T2_T3_T4_SL_T5_,comdat
.Lfunc_end58:
	.size	_ZN7rocprim17ROCPRIM_304000_NS6detail33device_block_merge_oddeven_kernelINS1_37wrapped_merge_sort_block_merge_configINS0_14default_configEsN2at4cuda3cub6detail10OpaqueTypeILi8EEEEEPsSC_PSA_SD_jNS1_19radix_merge_compareILb1ELb1EsNS0_19identity_decomposerEEEEEvT0_T1_T2_T3_T4_SL_T5_, .Lfunc_end58-_ZN7rocprim17ROCPRIM_304000_NS6detail33device_block_merge_oddeven_kernelINS1_37wrapped_merge_sort_block_merge_configINS0_14default_configEsN2at4cuda3cub6detail10OpaqueTypeILi8EEEEEPsSC_PSA_SD_jNS1_19radix_merge_compareILb1ELb1EsNS0_19identity_decomposerEEEEEvT0_T1_T2_T3_T4_SL_T5_
                                        ; -- End function
	.set _ZN7rocprim17ROCPRIM_304000_NS6detail33device_block_merge_oddeven_kernelINS1_37wrapped_merge_sort_block_merge_configINS0_14default_configEsN2at4cuda3cub6detail10OpaqueTypeILi8EEEEEPsSC_PSA_SD_jNS1_19radix_merge_compareILb1ELb1EsNS0_19identity_decomposerEEEEEvT0_T1_T2_T3_T4_SL_T5_.num_vgpr, 11
	.set _ZN7rocprim17ROCPRIM_304000_NS6detail33device_block_merge_oddeven_kernelINS1_37wrapped_merge_sort_block_merge_configINS0_14default_configEsN2at4cuda3cub6detail10OpaqueTypeILi8EEEEEPsSC_PSA_SD_jNS1_19radix_merge_compareILb1ELb1EsNS0_19identity_decomposerEEEEEvT0_T1_T2_T3_T4_SL_T5_.num_agpr, 0
	.set _ZN7rocprim17ROCPRIM_304000_NS6detail33device_block_merge_oddeven_kernelINS1_37wrapped_merge_sort_block_merge_configINS0_14default_configEsN2at4cuda3cub6detail10OpaqueTypeILi8EEEEEPsSC_PSA_SD_jNS1_19radix_merge_compareILb1ELb1EsNS0_19identity_decomposerEEEEEvT0_T1_T2_T3_T4_SL_T5_.numbered_sgpr, 24
	.set _ZN7rocprim17ROCPRIM_304000_NS6detail33device_block_merge_oddeven_kernelINS1_37wrapped_merge_sort_block_merge_configINS0_14default_configEsN2at4cuda3cub6detail10OpaqueTypeILi8EEEEEPsSC_PSA_SD_jNS1_19radix_merge_compareILb1ELb1EsNS0_19identity_decomposerEEEEEvT0_T1_T2_T3_T4_SL_T5_.num_named_barrier, 0
	.set _ZN7rocprim17ROCPRIM_304000_NS6detail33device_block_merge_oddeven_kernelINS1_37wrapped_merge_sort_block_merge_configINS0_14default_configEsN2at4cuda3cub6detail10OpaqueTypeILi8EEEEEPsSC_PSA_SD_jNS1_19radix_merge_compareILb1ELb1EsNS0_19identity_decomposerEEEEEvT0_T1_T2_T3_T4_SL_T5_.private_seg_size, 0
	.set _ZN7rocprim17ROCPRIM_304000_NS6detail33device_block_merge_oddeven_kernelINS1_37wrapped_merge_sort_block_merge_configINS0_14default_configEsN2at4cuda3cub6detail10OpaqueTypeILi8EEEEEPsSC_PSA_SD_jNS1_19radix_merge_compareILb1ELb1EsNS0_19identity_decomposerEEEEEvT0_T1_T2_T3_T4_SL_T5_.uses_vcc, 1
	.set _ZN7rocprim17ROCPRIM_304000_NS6detail33device_block_merge_oddeven_kernelINS1_37wrapped_merge_sort_block_merge_configINS0_14default_configEsN2at4cuda3cub6detail10OpaqueTypeILi8EEEEEPsSC_PSA_SD_jNS1_19radix_merge_compareILb1ELb1EsNS0_19identity_decomposerEEEEEvT0_T1_T2_T3_T4_SL_T5_.uses_flat_scratch, 0
	.set _ZN7rocprim17ROCPRIM_304000_NS6detail33device_block_merge_oddeven_kernelINS1_37wrapped_merge_sort_block_merge_configINS0_14default_configEsN2at4cuda3cub6detail10OpaqueTypeILi8EEEEEPsSC_PSA_SD_jNS1_19radix_merge_compareILb1ELb1EsNS0_19identity_decomposerEEEEEvT0_T1_T2_T3_T4_SL_T5_.has_dyn_sized_stack, 0
	.set _ZN7rocprim17ROCPRIM_304000_NS6detail33device_block_merge_oddeven_kernelINS1_37wrapped_merge_sort_block_merge_configINS0_14default_configEsN2at4cuda3cub6detail10OpaqueTypeILi8EEEEEPsSC_PSA_SD_jNS1_19radix_merge_compareILb1ELb1EsNS0_19identity_decomposerEEEEEvT0_T1_T2_T3_T4_SL_T5_.has_recursion, 0
	.set _ZN7rocprim17ROCPRIM_304000_NS6detail33device_block_merge_oddeven_kernelINS1_37wrapped_merge_sort_block_merge_configINS0_14default_configEsN2at4cuda3cub6detail10OpaqueTypeILi8EEEEEPsSC_PSA_SD_jNS1_19radix_merge_compareILb1ELb1EsNS0_19identity_decomposerEEEEEvT0_T1_T2_T3_T4_SL_T5_.has_indirect_call, 0
	.section	.AMDGPU.csdata,"",@progbits
; Kernel info:
; codeLenInByte = 812
; TotalNumSgprs: 28
; NumVgprs: 11
; ScratchSize: 0
; MemoryBound: 0
; FloatMode: 240
; IeeeMode: 1
; LDSByteSize: 0 bytes/workgroup (compile time only)
; SGPRBlocks: 3
; VGPRBlocks: 2
; NumSGPRsForWavesPerEU: 28
; NumVGPRsForWavesPerEU: 11
; Occupancy: 10
; WaveLimiterHint : 0
; COMPUTE_PGM_RSRC2:SCRATCH_EN: 0
; COMPUTE_PGM_RSRC2:USER_SGPR: 6
; COMPUTE_PGM_RSRC2:TRAP_HANDLER: 0
; COMPUTE_PGM_RSRC2:TGID_X_EN: 1
; COMPUTE_PGM_RSRC2:TGID_Y_EN: 0
; COMPUTE_PGM_RSRC2:TGID_Z_EN: 0
; COMPUTE_PGM_RSRC2:TIDIG_COMP_CNT: 0
	.section	.text._ZN7rocprim17ROCPRIM_304000_NS6detail26onesweep_histograms_kernelINS1_34wrapped_radix_sort_onesweep_configINS0_14default_configEsN2at4cuda3cub6detail10OpaqueTypeILi8EEEEELb1EPKsmNS0_19identity_decomposerEEEvT1_PT2_SG_SG_T3_jj,"axG",@progbits,_ZN7rocprim17ROCPRIM_304000_NS6detail26onesweep_histograms_kernelINS1_34wrapped_radix_sort_onesweep_configINS0_14default_configEsN2at4cuda3cub6detail10OpaqueTypeILi8EEEEELb1EPKsmNS0_19identity_decomposerEEEvT1_PT2_SG_SG_T3_jj,comdat
	.protected	_ZN7rocprim17ROCPRIM_304000_NS6detail26onesweep_histograms_kernelINS1_34wrapped_radix_sort_onesweep_configINS0_14default_configEsN2at4cuda3cub6detail10OpaqueTypeILi8EEEEELb1EPKsmNS0_19identity_decomposerEEEvT1_PT2_SG_SG_T3_jj ; -- Begin function _ZN7rocprim17ROCPRIM_304000_NS6detail26onesweep_histograms_kernelINS1_34wrapped_radix_sort_onesweep_configINS0_14default_configEsN2at4cuda3cub6detail10OpaqueTypeILi8EEEEELb1EPKsmNS0_19identity_decomposerEEEvT1_PT2_SG_SG_T3_jj
	.globl	_ZN7rocprim17ROCPRIM_304000_NS6detail26onesweep_histograms_kernelINS1_34wrapped_radix_sort_onesweep_configINS0_14default_configEsN2at4cuda3cub6detail10OpaqueTypeILi8EEEEELb1EPKsmNS0_19identity_decomposerEEEvT1_PT2_SG_SG_T3_jj
	.p2align	8
	.type	_ZN7rocprim17ROCPRIM_304000_NS6detail26onesweep_histograms_kernelINS1_34wrapped_radix_sort_onesweep_configINS0_14default_configEsN2at4cuda3cub6detail10OpaqueTypeILi8EEEEELb1EPKsmNS0_19identity_decomposerEEEvT1_PT2_SG_SG_T3_jj,@function
_ZN7rocprim17ROCPRIM_304000_NS6detail26onesweep_histograms_kernelINS1_34wrapped_radix_sort_onesweep_configINS0_14default_configEsN2at4cuda3cub6detail10OpaqueTypeILi8EEEEELb1EPKsmNS0_19identity_decomposerEEEvT1_PT2_SG_SG_T3_jj: ; @_ZN7rocprim17ROCPRIM_304000_NS6detail26onesweep_histograms_kernelINS1_34wrapped_radix_sort_onesweep_configINS0_14default_configEsN2at4cuda3cub6detail10OpaqueTypeILi8EEEEELb1EPKsmNS0_19identity_decomposerEEEvT1_PT2_SG_SG_T3_jj
; %bb.0:
	s_load_dwordx8 s[24:31], s[4:5], 0x0
	s_load_dwordx2 s[34:35], s[4:5], 0x24
	v_mov_b32_e32 v1, 0
	v_mov_b32_e32 v2, s6
	;; [unrolled: 1-line block ×3, first 2 shown]
	s_waitcnt lgkmcnt(0)
	v_cmp_le_u64_e32 vcc, s[30:31], v[2:3]
	s_mul_hi_u32 s0, s6, 0x1800
	s_mulk_i32 s6, 0x1800
	s_add_u32 s24, s24, s6
	s_addc_u32 s25, s25, s0
	s_mov_b64 s[0:1], -1
	v_lshlrev_b32_e32 v11, 1, v0
	s_cbranch_vccz .LBB59_84
; %bb.1:
	s_mul_i32 s0, s30, 0xfffff400
	s_add_i32 s28, s0, s28
	v_mov_b32_e32 v2, s25
	v_add_co_u32_e32 v9, vcc, s24, v11
	v_addc_co_u32_e32 v10, vcc, 0, v2, vcc
	v_cmp_gt_u32_e64 s[22:23], s28, v0
	v_mov_b32_e32 v2, v1
	v_mov_b32_e32 v3, v1
	v_mov_b32_e32 v4, v1
	v_mov_b32_e32 v5, v1
	v_mov_b32_e32 v6, v1
	s_and_saveexec_b64 s[0:1], s[22:23]
	s_cbranch_execz .LBB59_3
; %bb.2:
	global_load_ushort v2, v[9:10], off
	v_mov_b32_e32 v3, v1
	v_mov_b32_e32 v4, v1
	;; [unrolled: 1-line block ×5, first 2 shown]
	s_waitcnt vmcnt(0)
	v_and_b32_e32 v2, 0xffff, v2
	v_mov_b32_e32 v1, v2
	v_mov_b32_e32 v2, v3
	;; [unrolled: 1-line block ×8, first 2 shown]
.LBB59_3:
	s_or_b64 exec, exec, s[0:1]
	v_or_b32_e32 v7, 0x100, v0
	v_cmp_gt_u32_e64 s[20:21], s28, v7
	s_and_saveexec_b64 s[0:1], s[20:21]
	s_cbranch_execz .LBB59_5
; %bb.4:
	global_load_ushort v7, v[9:10], off offset:512
	s_mov_b32 s2, 0x5040100
	s_waitcnt vmcnt(0)
	v_perm_b32 v1, v7, v1, s2
.LBB59_5:
	s_or_b64 exec, exec, s[0:1]
	v_or_b32_e32 v7, 0x200, v0
	v_cmp_gt_u32_e64 s[18:19], s28, v7
	s_and_saveexec_b64 s[0:1], s[18:19]
	s_cbranch_execz .LBB59_7
; %bb.6:
	global_load_ushort v7, v[9:10], off offset:1024
	s_mov_b32 s2, 0xffff
	s_waitcnt vmcnt(0)
	v_bfi_b32 v2, s2, v7, v2
.LBB59_7:
	s_or_b64 exec, exec, s[0:1]
	v_or_b32_e32 v7, 0x300, v0
	v_cmp_gt_u32_e64 s[16:17], s28, v7
	s_and_saveexec_b64 s[0:1], s[16:17]
	s_cbranch_execz .LBB59_9
; %bb.8:
	global_load_ushort v7, v[9:10], off offset:1536
	s_mov_b32 s2, 0x5040100
	s_waitcnt vmcnt(0)
	v_perm_b32 v2, v7, v2, s2
.LBB59_9:
	s_or_b64 exec, exec, s[0:1]
	v_or_b32_e32 v7, 0x400, v0
	v_cmp_gt_u32_e64 s[14:15], s28, v7
	s_and_saveexec_b64 s[0:1], s[14:15]
	s_cbranch_execz .LBB59_11
; %bb.10:
	global_load_ushort v8, v[9:10], off offset:2048
	s_mov_b32 s2, 0xffff
	s_waitcnt vmcnt(0)
	v_bfi_b32 v3, s2, v8, v3
.LBB59_11:
	;; [unrolled: 22-line block ×3, first 2 shown]
	s_or_b64 exec, exec, s[0:1]
	v_or_b32_e32 v8, 0x700, v0
	v_cmp_gt_u32_e64 s[8:9], s28, v8
	s_and_saveexec_b64 s[0:1], s[8:9]
	s_cbranch_execz .LBB59_17
; %bb.16:
	global_load_ushort v8, v[9:10], off offset:3584
	s_mov_b32 s2, 0x5040100
	s_waitcnt vmcnt(0)
	v_perm_b32 v4, v8, v4, s2
.LBB59_17:
	s_or_b64 exec, exec, s[0:1]
	v_or_b32_e32 v8, 0x800, v0
	v_cmp_gt_u32_e64 s[6:7], s28, v8
	s_and_saveexec_b64 s[0:1], s[6:7]
	s_cbranch_execz .LBB59_19
; %bb.18:
	v_add_co_u32_e32 v12, vcc, 0x1000, v9
	v_addc_co_u32_e32 v13, vcc, 0, v10, vcc
	global_load_ushort v8, v[12:13], off
	s_mov_b32 s2, 0xffff
	s_waitcnt vmcnt(0)
	v_bfi_b32 v5, s2, v8, v5
.LBB59_19:
	s_or_b64 exec, exec, s[0:1]
	v_or_b32_e32 v8, 0x900, v0
	v_cmp_gt_u32_e64 s[4:5], s28, v8
	s_and_saveexec_b64 s[0:1], s[4:5]
	s_cbranch_execz .LBB59_21
; %bb.20:
	v_add_co_u32_e32 v12, vcc, 0x1000, v9
	v_addc_co_u32_e32 v13, vcc, 0, v10, vcc
	global_load_ushort v8, v[12:13], off offset:512
	s_mov_b32 s2, 0x5040100
	s_waitcnt vmcnt(0)
	v_perm_b32 v5, v8, v5, s2
.LBB59_21:
	s_or_b64 exec, exec, s[0:1]
	v_or_b32_e32 v8, 0xa00, v0
	v_cmp_gt_u32_e64 s[2:3], s28, v8
	s_and_saveexec_b64 s[0:1], s[2:3]
	s_cbranch_execz .LBB59_23
; %bb.22:
	v_add_co_u32_e32 v12, vcc, 0x1000, v9
	v_addc_co_u32_e32 v13, vcc, 0, v10, vcc
	global_load_ushort v8, v[12:13], off offset:1024
	s_mov_b32 s29, 0xffff
	s_waitcnt vmcnt(0)
	v_bfi_b32 v6, s29, v8, v6
.LBB59_23:
	s_or_b64 exec, exec, s[0:1]
	v_or_b32_e32 v8, 0xb00, v0
	v_cmp_gt_u32_e64 s[0:1], s28, v8
	s_and_saveexec_b64 s[28:29], s[0:1]
	s_cbranch_execz .LBB59_25
; %bb.24:
	v_add_co_u32_e32 v8, vcc, 0x1000, v9
	v_addc_co_u32_e32 v9, vcc, 0, v10, vcc
	global_load_ushort v8, v[8:9], off offset:1536
	s_mov_b32 s30, 0x5040100
	s_waitcnt vmcnt(0)
	v_perm_b32 v6, v8, v6, s30
.LBB59_25:
	s_or_b64 exec, exec, s[28:29]
	s_movk_i32 s28, 0x700
	v_lshlrev_b32_e32 v8, 2, v0
	v_mov_b32_e32 v9, 0
	v_cmp_gt_u32_e32 vcc, s28, v7
	ds_write2st64_b32 v8, v9, v9 offset1:4
	ds_write2st64_b32 v8, v9, v9 offset0:8 offset1:12
	ds_write_b32 v8, v9 offset:4096
	s_and_saveexec_b64 s[28:29], vcc
	s_cbranch_execz .LBB59_29
; %bb.26:
	s_movk_i32 s30, 0x200
	v_cmp_gt_u32_e32 vcc, s30, v0
	ds_write_b32 v8, v9 offset:5120
	s_and_b64 exec, exec, vcc
	s_cbranch_execz .LBB59_29
; %bb.27:
	s_movk_i32 s30, 0x100
	v_mov_b32_e32 v7, 0
	v_cmp_gt_u32_e32 vcc, s30, v0
	ds_write_b32 v8, v7 offset:6144
	s_and_b64 exec, exec, vcc
; %bb.28:
	ds_write_b32 v8, v7 offset:7168
.LBB59_29:
	s_or_b64 exec, exec, s[28:29]
	s_cmp_gt_u32 s35, s34
	s_cselect_b64 s[28:29], -1, 0
	s_cmp_le_u32 s35, s34
	s_waitcnt lgkmcnt(0)
	s_barrier
	s_cbranch_scc1 .LBB59_78
; %bb.30:
	v_and_b32_e32 v7, 3, v0
	v_lshlrev_b32_e32 v7, 2, v7
	s_sub_i32 s33, s35, s34
	v_xor_b32_e32 v8, 0x7fff, v1
	v_mov_b32_e32 v9, 1
	s_mov_b32 s36, s33
	v_mov_b32_e32 v10, v7
	s_mov_b32 s37, s34
	s_branch .LBB59_32
.LBB59_31:                              ;   in Loop: Header=BB59_32 Depth=1
	s_or_b64 exec, exec, s[30:31]
	s_add_i32 s37, s37, 8
	s_add_i32 s36, s36, -8
	s_cmp_ge_u32 s37, s35
	v_add_u32_e32 v10, 0x1000, v10
	s_cbranch_scc1 .LBB59_34
.LBB59_32:                              ; =>This Inner Loop Header: Depth=1
	s_and_saveexec_b64 s[30:31], s[22:23]
	s_cbranch_execz .LBB59_31
; %bb.33:                               ;   in Loop: Header=BB59_32 Depth=1
	s_min_u32 s38, s36, 8
	v_lshrrev_b32_sdwa v12, s37, v8 dst_sel:DWORD dst_unused:UNUSED_PAD src0_sel:DWORD src1_sel:WORD_0
	v_bfe_u32 v12, v12, 0, s38
	v_lshl_add_u32 v12, v12, 4, v10
	ds_add_u32 v12, v9
	s_branch .LBB59_31
.LBB59_34:
	s_movk_i32 s22, 0x7fff
	v_xor_b32_sdwa v1, v1, s22 dst_sel:DWORD dst_unused:UNUSED_PAD src0_sel:WORD_1 src1_sel:DWORD
	v_mov_b32_e32 v8, 1
	s_mov_b32 s30, s33
	v_mov_b32_e32 v9, v7
	s_mov_b32 s31, s34
	s_branch .LBB59_36
.LBB59_35:                              ;   in Loop: Header=BB59_36 Depth=1
	s_or_b64 exec, exec, s[22:23]
	s_add_i32 s31, s31, 8
	s_add_i32 s30, s30, -8
	s_cmp_lt_u32 s31, s35
	v_add_u32_e32 v9, 0x1000, v9
	s_cbranch_scc0 .LBB59_38
.LBB59_36:                              ; =>This Inner Loop Header: Depth=1
	s_and_saveexec_b64 s[22:23], s[20:21]
	s_cbranch_execz .LBB59_35
; %bb.37:                               ;   in Loop: Header=BB59_36 Depth=1
	s_min_u32 s36, s30, 8
	v_lshrrev_b32_sdwa v10, s31, v1 dst_sel:DWORD dst_unused:UNUSED_PAD src0_sel:DWORD src1_sel:WORD_0
	v_bfe_u32 v10, v10, 0, s36
	v_lshl_add_u32 v10, v10, 4, v9
	ds_add_u32 v10, v8
	s_branch .LBB59_35
.LBB59_38:
	v_xor_b32_e32 v1, 0x7fff, v2
	v_mov_b32_e32 v8, 1
	s_mov_b32 s22, s33
	v_mov_b32_e32 v9, v7
	s_mov_b32 s23, s34
	s_branch .LBB59_40
.LBB59_39:                              ;   in Loop: Header=BB59_40 Depth=1
	s_or_b64 exec, exec, s[20:21]
	s_add_i32 s23, s23, 8
	s_add_i32 s22, s22, -8
	s_cmp_lt_u32 s23, s35
	v_add_u32_e32 v9, 0x1000, v9
	s_cbranch_scc0 .LBB59_42
.LBB59_40:                              ; =>This Inner Loop Header: Depth=1
	s_and_saveexec_b64 s[20:21], s[18:19]
	s_cbranch_execz .LBB59_39
; %bb.41:                               ;   in Loop: Header=BB59_40 Depth=1
	s_min_u32 s30, s22, 8
	v_lshrrev_b32_sdwa v10, s23, v1 dst_sel:DWORD dst_unused:UNUSED_PAD src0_sel:DWORD src1_sel:WORD_0
	v_bfe_u32 v10, v10, 0, s30
	v_lshl_add_u32 v10, v10, 4, v9
	ds_add_u32 v10, v8
	s_branch .LBB59_39
.LBB59_42:
	s_movk_i32 s18, 0x7fff
	v_xor_b32_sdwa v1, v2, s18 dst_sel:DWORD dst_unused:UNUSED_PAD src0_sel:WORD_1 src1_sel:DWORD
	v_mov_b32_e32 v2, 1
	s_mov_b32 s20, s33
	v_mov_b32_e32 v8, v7
	s_mov_b32 s21, s34
	s_branch .LBB59_44
.LBB59_43:                              ;   in Loop: Header=BB59_44 Depth=1
	s_or_b64 exec, exec, s[18:19]
	s_add_i32 s21, s21, 8
	s_add_i32 s20, s20, -8
	s_cmp_lt_u32 s21, s35
	v_add_u32_e32 v8, 0x1000, v8
	s_cbranch_scc0 .LBB59_46
.LBB59_44:                              ; =>This Inner Loop Header: Depth=1
	s_and_saveexec_b64 s[18:19], s[16:17]
	s_cbranch_execz .LBB59_43
; %bb.45:                               ;   in Loop: Header=BB59_44 Depth=1
	s_min_u32 s22, s20, 8
	v_lshrrev_b32_sdwa v9, s21, v1 dst_sel:DWORD dst_unused:UNUSED_PAD src0_sel:DWORD src1_sel:WORD_0
	v_bfe_u32 v9, v9, 0, s22
	v_lshl_add_u32 v9, v9, 4, v8
	ds_add_u32 v9, v2
	s_branch .LBB59_43
.LBB59_46:
	v_xor_b32_e32 v1, 0x7fff, v3
	v_mov_b32_e32 v2, 1
	s_mov_b32 s18, s33
	v_mov_b32_e32 v8, v7
	s_mov_b32 s19, s34
	s_branch .LBB59_48
.LBB59_47:                              ;   in Loop: Header=BB59_48 Depth=1
	s_or_b64 exec, exec, s[16:17]
	s_add_i32 s19, s19, 8
	s_add_i32 s18, s18, -8
	s_cmp_lt_u32 s19, s35
	v_add_u32_e32 v8, 0x1000, v8
	s_cbranch_scc0 .LBB59_50
.LBB59_48:                              ; =>This Inner Loop Header: Depth=1
	s_and_saveexec_b64 s[16:17], s[14:15]
	s_cbranch_execz .LBB59_47
; %bb.49:                               ;   in Loop: Header=BB59_48 Depth=1
	s_min_u32 s20, s18, 8
	v_lshrrev_b32_sdwa v9, s19, v1 dst_sel:DWORD dst_unused:UNUSED_PAD src0_sel:DWORD src1_sel:WORD_0
	v_bfe_u32 v9, v9, 0, s20
	v_lshl_add_u32 v9, v9, 4, v8
	ds_add_u32 v9, v2
	s_branch .LBB59_47
.LBB59_50:
	;; [unrolled: 49-line block ×5, first 2 shown]
	s_movk_i32 s2, 0x7fff
	v_xor_b32_sdwa v1, v6, s2 dst_sel:DWORD dst_unused:UNUSED_PAD src0_sel:WORD_1 src1_sel:DWORD
	v_mov_b32_e32 v2, 1
	s_mov_b32 s4, s34
	s_branch .LBB59_76
.LBB59_75:                              ;   in Loop: Header=BB59_76 Depth=1
	s_or_b64 exec, exec, s[2:3]
	s_add_i32 s4, s4, 8
	s_add_i32 s33, s33, -8
	s_cmp_lt_u32 s4, s35
	v_add_u32_e32 v7, 0x1000, v7
	s_cbranch_scc0 .LBB59_78
.LBB59_76:                              ; =>This Inner Loop Header: Depth=1
	s_and_saveexec_b64 s[2:3], s[0:1]
	s_cbranch_execz .LBB59_75
; %bb.77:                               ;   in Loop: Header=BB59_76 Depth=1
	s_min_u32 s5, s33, 8
	v_lshrrev_b32_sdwa v3, s4, v1 dst_sel:DWORD dst_unused:UNUSED_PAD src0_sel:DWORD src1_sel:WORD_0
	v_bfe_u32 v3, v3, 0, s5
	v_lshl_add_u32 v3, v3, 4, v7
	ds_add_u32 v3, v2
	s_branch .LBB59_75
.LBB59_78:
	s_and_b64 vcc, exec, s[28:29]
	s_waitcnt lgkmcnt(0)
	s_barrier
	s_cbranch_vccz .LBB59_83
; %bb.79:
	s_movk_i32 s0, 0x100
	v_cmp_gt_u32_e32 vcc, s0, v0
	v_lshlrev_b32_e32 v3, 4, v0
	v_mov_b32_e32 v2, 0
	v_mov_b32_e32 v1, v0
	s_mov_b32 s4, s34
	s_branch .LBB59_81
.LBB59_80:                              ;   in Loop: Header=BB59_81 Depth=1
	s_or_b64 exec, exec, s[2:3]
	s_add_i32 s4, s4, 8
	v_add_u32_e32 v1, 0x100, v1
	s_cmp_lt_u32 s4, s35
	v_add_u32_e32 v3, 0x1000, v3
	s_cbranch_scc0 .LBB59_83
.LBB59_81:                              ; =>This Inner Loop Header: Depth=1
	s_and_saveexec_b64 s[2:3], vcc
	s_cbranch_execz .LBB59_80
; %bb.82:                               ;   in Loop: Header=BB59_81 Depth=1
	ds_read2_b32 v[4:5], v3 offset1:1
	ds_read2_b32 v[6:7], v3 offset0:2 offset1:3
	v_lshlrev_b64 v[8:9], 3, v[1:2]
	v_mov_b32_e32 v10, s27
	s_waitcnt lgkmcnt(1)
	v_add_u32_e32 v4, v5, v4
	s_waitcnt lgkmcnt(0)
	v_add3_u32 v4, v4, v6, v7
	v_add_co_u32_e64 v6, s[0:1], s26, v8
	v_addc_co_u32_e64 v7, s[0:1], v10, v9, s[0:1]
	v_mov_b32_e32 v5, v2
	global_atomic_add_x2 v[6:7], v[4:5], off
	s_branch .LBB59_80
.LBB59_83:
	s_mov_b64 s[0:1], 0
.LBB59_84:
	s_and_b64 vcc, exec, s[0:1]
	s_cbranch_vccz .LBB59_128
; %bb.85:
	v_mov_b32_e32 v1, s25
	v_add_co_u32_e32 v2, vcc, s24, v11
	v_addc_co_u32_e32 v7, vcc, 0, v1, vcc
	v_add_co_u32_e32 v1, vcc, 0x1000, v2
	global_load_ushort v3, v11, s[24:25] offset:2048
	global_load_ushort v4, v11, s[24:25] offset:2560
	;; [unrolled: 1-line block ×4, first 2 shown]
	v_addc_co_u32_e32 v2, vcc, 0, v7, vcc
	global_load_ushort v12, v11, s[24:25]
	global_load_ushort v13, v11, s[24:25] offset:512
	global_load_ushort v14, v11, s[24:25] offset:1024
	;; [unrolled: 1-line block ×3, first 2 shown]
	global_load_ushort v7, v[1:2], off
	global_load_ushort v8, v[1:2], off offset:512
	global_load_ushort v9, v[1:2], off offset:1024
	;; [unrolled: 1-line block ×3, first 2 shown]
	s_cmp_lg_u32 s34, 0
	s_cselect_b64 s[0:1], -1, 0
	s_cmp_lg_u32 s35, 16
	s_cselect_b64 s[2:3], -1, 0
	s_or_b64 s[2:3], s[0:1], s[2:3]
	v_mov_b32_e32 v1, 0
	s_mov_b64 s[0:1], -1
	s_and_b64 vcc, exec, s[2:3]
	v_lshlrev_b32_e32 v11, 2, v0
	s_cbranch_vccz .LBB59_121
; %bb.86:
	v_or_b32_e32 v2, 0x400, v0
	s_movk_i32 s0, 0x700
	v_cmp_gt_u32_e32 vcc, s0, v2
	ds_write2st64_b32 v11, v1, v1 offset1:4
	ds_write2st64_b32 v11, v1, v1 offset0:8 offset1:12
	ds_write_b32 v11, v1 offset:4096
	s_and_saveexec_b64 s[0:1], vcc
	s_cbranch_execz .LBB59_90
; %bb.87:
	s_movk_i32 s2, 0x200
	v_mov_b32_e32 v1, 0
	v_cmp_gt_u32_e32 vcc, s2, v0
	ds_write_b32 v11, v1 offset:5120
	s_and_b64 exec, exec, vcc
	s_cbranch_execz .LBB59_90
; %bb.88:
	s_movk_i32 s2, 0x100
	v_cmp_gt_u32_e32 vcc, s2, v0
	ds_write_b32 v11, v1 offset:6144
	s_and_b64 exec, exec, vcc
; %bb.89:
	v_mov_b32_e32 v1, 0
	ds_write_b32 v11, v1 offset:7168
.LBB59_90:
	s_or_b64 exec, exec, s[0:1]
	s_cmp_gt_u32 s35, s34
	s_cselect_b64 s[0:1], -1, 0
	s_cmp_le_u32 s35, s34
	s_waitcnt vmcnt(0) lgkmcnt(0)
	s_barrier
	s_cbranch_scc1 .LBB59_115
; %bb.91:
	v_and_b32_e32 v1, 3, v0
	v_lshlrev_b32_e32 v1, 2, v1
	s_sub_i32 s2, s35, s34
	v_xor_b32_e32 v2, 0x7fff, v12
	v_mov_b32_e32 v16, 1
	s_mov_b32 s3, s2
	v_mov_b32_e32 v17, v1
	s_mov_b32 s4, s34
.LBB59_92:                              ; =>This Inner Loop Header: Depth=1
	s_min_u32 s5, s3, 8
	v_lshrrev_b32_sdwa v18, s4, v2 dst_sel:DWORD dst_unused:UNUSED_PAD src0_sel:DWORD src1_sel:WORD_0
	v_bfe_u32 v18, v18, 0, s5
	v_lshl_add_u32 v18, v18, 4, v17
	ds_add_u32 v18, v16
	s_add_i32 s4, s4, 8
	s_add_i32 s3, s3, -8
	s_cmp_ge_u32 s4, s35
	v_add_u32_e32 v17, 0x1000, v17
	s_cbranch_scc0 .LBB59_92
; %bb.93:
	v_xor_b32_e32 v2, 0x7fff, v13
	v_mov_b32_e32 v16, 1
	s_mov_b32 s3, s2
	v_mov_b32_e32 v17, v1
	s_mov_b32 s4, s34
.LBB59_94:                              ; =>This Inner Loop Header: Depth=1
	s_min_u32 s5, s3, 8
	v_lshrrev_b32_sdwa v18, s4, v2 dst_sel:DWORD dst_unused:UNUSED_PAD src0_sel:DWORD src1_sel:WORD_0
	v_bfe_u32 v18, v18, 0, s5
	v_lshl_add_u32 v18, v18, 4, v17
	ds_add_u32 v18, v16
	s_add_i32 s4, s4, 8
	s_add_i32 s3, s3, -8
	s_cmp_lt_u32 s4, s35
	v_add_u32_e32 v17, 0x1000, v17
	s_cbranch_scc1 .LBB59_94
; %bb.95:
	v_xor_b32_e32 v2, 0x7fff, v14
	v_mov_b32_e32 v16, 1
	s_mov_b32 s3, s2
	v_mov_b32_e32 v17, v1
	s_mov_b32 s4, s34
.LBB59_96:                              ; =>This Inner Loop Header: Depth=1
	s_min_u32 s5, s3, 8
	v_lshrrev_b32_sdwa v18, s4, v2 dst_sel:DWORD dst_unused:UNUSED_PAD src0_sel:DWORD src1_sel:WORD_0
	v_bfe_u32 v18, v18, 0, s5
	v_lshl_add_u32 v18, v18, 4, v17
	ds_add_u32 v18, v16
	s_add_i32 s4, s4, 8
	s_add_i32 s3, s3, -8
	s_cmp_lt_u32 s4, s35
	v_add_u32_e32 v17, 0x1000, v17
	s_cbranch_scc1 .LBB59_96
	;; [unrolled: 17-line block ×3, first 2 shown]
; %bb.99:
	v_xor_b32_e32 v2, 0x7fff, v3
	v_mov_b32_e32 v16, 1
	s_mov_b32 s3, s2
	v_mov_b32_e32 v17, v1
	s_mov_b32 s4, s34
.LBB59_100:                             ; =>This Inner Loop Header: Depth=1
	s_min_u32 s5, s3, 8
	v_lshrrev_b32_sdwa v18, s4, v2 dst_sel:DWORD dst_unused:UNUSED_PAD src0_sel:DWORD src1_sel:WORD_0
	v_bfe_u32 v18, v18, 0, s5
	v_lshl_add_u32 v18, v18, 4, v17
	ds_add_u32 v18, v16
	s_add_i32 s4, s4, 8
	s_add_i32 s3, s3, -8
	s_cmp_lt_u32 s4, s35
	v_add_u32_e32 v17, 0x1000, v17
	s_cbranch_scc1 .LBB59_100
; %bb.101:
	v_xor_b32_e32 v2, 0x7fff, v4
	v_mov_b32_e32 v16, 1
	s_mov_b32 s3, s2
	v_mov_b32_e32 v17, v1
	s_mov_b32 s4, s34
.LBB59_102:                             ; =>This Inner Loop Header: Depth=1
	s_min_u32 s5, s3, 8
	v_lshrrev_b32_sdwa v18, s4, v2 dst_sel:DWORD dst_unused:UNUSED_PAD src0_sel:DWORD src1_sel:WORD_0
	v_bfe_u32 v18, v18, 0, s5
	v_lshl_add_u32 v18, v18, 4, v17
	ds_add_u32 v18, v16
	s_add_i32 s4, s4, 8
	s_add_i32 s3, s3, -8
	s_cmp_lt_u32 s4, s35
	v_add_u32_e32 v17, 0x1000, v17
	s_cbranch_scc1 .LBB59_102
	;; [unrolled: 17-line block ×7, first 2 shown]
; %bb.113:
	v_xor_b32_e32 v2, 0x7fff, v10
	v_mov_b32_e32 v16, 1
	s_mov_b32 s3, s34
.LBB59_114:                             ; =>This Inner Loop Header: Depth=1
	s_min_u32 s4, s2, 8
	v_lshrrev_b32_sdwa v17, s3, v2 dst_sel:DWORD dst_unused:UNUSED_PAD src0_sel:DWORD src1_sel:WORD_0
	v_bfe_u32 v17, v17, 0, s4
	v_lshl_add_u32 v17, v17, 4, v1
	ds_add_u32 v17, v16
	s_add_i32 s3, s3, 8
	s_add_i32 s2, s2, -8
	s_cmp_lt_u32 s3, s35
	v_add_u32_e32 v1, 0x1000, v1
	s_cbranch_scc1 .LBB59_114
.LBB59_115:
	s_and_b64 vcc, exec, s[0:1]
	s_waitcnt lgkmcnt(0)
	s_barrier
	s_cbranch_vccz .LBB59_120
; %bb.116:
	s_movk_i32 s0, 0x100
	v_cmp_gt_u32_e32 vcc, s0, v0
	v_lshlrev_b32_e32 v16, 4, v0
	v_mov_b32_e32 v2, 0
	v_mov_b32_e32 v1, v0
	s_branch .LBB59_118
.LBB59_117:                             ;   in Loop: Header=BB59_118 Depth=1
	s_or_b64 exec, exec, s[2:3]
	s_add_i32 s34, s34, 8
	v_add_u32_e32 v1, 0x100, v1
	s_cmp_ge_u32 s34, s35
	v_add_u32_e32 v16, 0x1000, v16
	s_cbranch_scc1 .LBB59_120
.LBB59_118:                             ; =>This Inner Loop Header: Depth=1
	s_and_saveexec_b64 s[2:3], vcc
	s_cbranch_execz .LBB59_117
; %bb.119:                              ;   in Loop: Header=BB59_118 Depth=1
	ds_read2_b32 v[17:18], v16 offset1:1
	ds_read2_b32 v[19:20], v16 offset0:2 offset1:3
	v_lshlrev_b64 v[21:22], 3, v[1:2]
	v_mov_b32_e32 v23, s27
	s_waitcnt lgkmcnt(1)
	v_add_u32_e32 v17, v18, v17
	s_waitcnt lgkmcnt(0)
	v_add3_u32 v17, v17, v19, v20
	v_add_co_u32_e64 v19, s[0:1], s26, v21
	v_addc_co_u32_e64 v20, s[0:1], v23, v22, s[0:1]
	v_mov_b32_e32 v18, v2
	global_atomic_add_x2 v[19:20], v[17:18], off
	s_branch .LBB59_117
.LBB59_120:
	s_mov_b64 s[0:1], 0
.LBB59_121:
	s_and_b64 vcc, exec, s[0:1]
	s_cbranch_vccz .LBB59_128
; %bb.122:
	v_or_b32_e32 v2, 0x400, v0
	s_movk_i32 s0, 0x700
	v_mov_b32_e32 v1, 0
	v_cmp_gt_u32_e32 vcc, s0, v2
	ds_write2st64_b32 v11, v1, v1 offset1:4
	ds_write2st64_b32 v11, v1, v1 offset0:8 offset1:12
	ds_write_b32 v11, v1 offset:4096
	s_and_saveexec_b64 s[0:1], vcc
	s_cbranch_execz .LBB59_126
; %bb.123:
	s_movk_i32 s2, 0x200
	v_cmp_gt_u32_e32 vcc, s2, v0
	ds_write_b32 v11, v1 offset:5120
	s_and_b64 exec, exec, vcc
	s_cbranch_execz .LBB59_126
; %bb.124:
	s_movk_i32 s2, 0x100
	v_mov_b32_e32 v1, 0
	v_cmp_gt_u32_e32 vcc, s2, v0
	ds_write_b32 v11, v1 offset:6144
	s_and_b64 exec, exec, vcc
; %bb.125:
	ds_write_b32 v11, v1 offset:7168
.LBB59_126:
	s_or_b64 exec, exec, s[0:1]
	s_waitcnt vmcnt(7)
	v_xor_b32_e32 v1, 0x7fff, v12
	s_waitcnt vmcnt(6)
	v_xor_b32_e32 v2, 0x7fff, v13
	v_and_b32_e32 v13, 3, v0
	v_and_b32_e32 v1, 0xffff, v1
	s_waitcnt vmcnt(5)
	v_xor_b32_e32 v11, 0x7fff, v14
	v_lshlrev_b32_e32 v14, 4, v1
	v_lshlrev_b32_e32 v13, 2, v13
	s_movk_i32 s0, 0xff0
	s_waitcnt vmcnt(4)
	v_xor_b32_e32 v12, 0x7fff, v15
	v_and_or_b32 v14, v14, s0, v13
	v_mov_b32_e32 v15, 1
	v_bfe_u32 v1, v1, 8, 8
	s_waitcnt vmcnt(0) lgkmcnt(0)
	s_barrier
	ds_add_u32 v14, v15
	v_lshl_or_b32 v1, v1, 4, v13
	ds_add_u32 v1, v15 offset:4096
	v_and_b32_e32 v1, 0xffff, v2
	v_lshlrev_b32_e32 v2, 4, v1
	v_and_or_b32 v2, v2, s0, v13
	v_bfe_u32 v1, v1, 8, 8
	ds_add_u32 v2, v15
	v_lshl_or_b32 v1, v1, 4, v13
	ds_add_u32 v1, v15 offset:4096
	v_and_b32_e32 v1, 0xffff, v11
	v_lshlrev_b32_e32 v2, 4, v1
	v_and_or_b32 v2, v2, s0, v13
	v_bfe_u32 v1, v1, 8, 8
	;; [unrolled: 7-line block ×3, first 2 shown]
	v_xor_b32_e32 v3, 0x7fff, v3
	ds_add_u32 v2, v15
	v_lshl_or_b32 v1, v1, 4, v13
	ds_add_u32 v1, v15 offset:4096
	v_and_b32_e32 v1, 0xffff, v3
	v_lshlrev_b32_e32 v2, 4, v1
	v_and_or_b32 v2, v2, s0, v13
	v_bfe_u32 v1, v1, 8, 8
	v_xor_b32_e32 v4, 0x7fff, v4
	ds_add_u32 v2, v15
	v_lshl_or_b32 v1, v1, 4, v13
	ds_add_u32 v1, v15 offset:4096
	v_and_b32_e32 v1, 0xffff, v4
	v_lshlrev_b32_e32 v2, 4, v1
	v_and_or_b32 v2, v2, s0, v13
	v_bfe_u32 v1, v1, 8, 8
	;; [unrolled: 8-line block ×8, first 2 shown]
	ds_add_u32 v2, v15
	v_lshl_or_b32 v1, v1, 4, v13
	ds_add_u32 v1, v15 offset:4096
	s_movk_i32 s0, 0x100
	v_cmp_gt_u32_e32 vcc, s0, v0
	s_waitcnt lgkmcnt(0)
	s_barrier
	s_and_saveexec_b64 s[0:1], vcc
	s_cbranch_execz .LBB59_128
; %bb.127:
	v_lshlrev_b32_e32 v6, 4, v0
	ds_read2_b32 v[1:2], v6 offset1:1
	ds_read2_b32 v[3:4], v6 offset0:2 offset1:3
	v_lshlrev_b32_e32 v7, 3, v0
	v_mov_b32_e32 v5, 0
	v_or_b32_e32 v0, 0x1000, v6
	s_waitcnt lgkmcnt(1)
	v_add_u32_e32 v1, v2, v1
	s_waitcnt lgkmcnt(0)
	v_add3_u32 v4, v1, v3, v4
	global_atomic_add_x2 v7, v[4:5], s[26:27]
	v_or_b32_e32 v2, 0x1008, v6
	ds_read2_b32 v[0:1], v0 offset1:1
	ds_read2_b32 v[2:3], v2 offset1:1
	s_waitcnt lgkmcnt(1)
	v_add_u32_e32 v0, v1, v0
	s_waitcnt lgkmcnt(0)
	v_add3_u32 v4, v0, v2, v3
	global_atomic_add_x2 v7, v[4:5], s[26:27] offset:2048
.LBB59_128:
	s_endpgm
	.section	.rodata,"a",@progbits
	.p2align	6, 0x0
	.amdhsa_kernel _ZN7rocprim17ROCPRIM_304000_NS6detail26onesweep_histograms_kernelINS1_34wrapped_radix_sort_onesweep_configINS0_14default_configEsN2at4cuda3cub6detail10OpaqueTypeILi8EEEEELb1EPKsmNS0_19identity_decomposerEEEvT1_PT2_SG_SG_T3_jj
		.amdhsa_group_segment_fixed_size 8192
		.amdhsa_private_segment_fixed_size 0
		.amdhsa_kernarg_size 44
		.amdhsa_user_sgpr_count 6
		.amdhsa_user_sgpr_private_segment_buffer 1
		.amdhsa_user_sgpr_dispatch_ptr 0
		.amdhsa_user_sgpr_queue_ptr 0
		.amdhsa_user_sgpr_kernarg_segment_ptr 1
		.amdhsa_user_sgpr_dispatch_id 0
		.amdhsa_user_sgpr_flat_scratch_init 0
		.amdhsa_user_sgpr_private_segment_size 0
		.amdhsa_uses_dynamic_stack 0
		.amdhsa_system_sgpr_private_segment_wavefront_offset 0
		.amdhsa_system_sgpr_workgroup_id_x 1
		.amdhsa_system_sgpr_workgroup_id_y 0
		.amdhsa_system_sgpr_workgroup_id_z 0
		.amdhsa_system_sgpr_workgroup_info 0
		.amdhsa_system_vgpr_workitem_id 0
		.amdhsa_next_free_vgpr 29
		.amdhsa_next_free_sgpr 61
		.amdhsa_reserve_vcc 1
		.amdhsa_reserve_flat_scratch 0
		.amdhsa_float_round_mode_32 0
		.amdhsa_float_round_mode_16_64 0
		.amdhsa_float_denorm_mode_32 3
		.amdhsa_float_denorm_mode_16_64 3
		.amdhsa_dx10_clamp 1
		.amdhsa_ieee_mode 1
		.amdhsa_fp16_overflow 0
		.amdhsa_exception_fp_ieee_invalid_op 0
		.amdhsa_exception_fp_denorm_src 0
		.amdhsa_exception_fp_ieee_div_zero 0
		.amdhsa_exception_fp_ieee_overflow 0
		.amdhsa_exception_fp_ieee_underflow 0
		.amdhsa_exception_fp_ieee_inexact 0
		.amdhsa_exception_int_div_zero 0
	.end_amdhsa_kernel
	.section	.text._ZN7rocprim17ROCPRIM_304000_NS6detail26onesweep_histograms_kernelINS1_34wrapped_radix_sort_onesweep_configINS0_14default_configEsN2at4cuda3cub6detail10OpaqueTypeILi8EEEEELb1EPKsmNS0_19identity_decomposerEEEvT1_PT2_SG_SG_T3_jj,"axG",@progbits,_ZN7rocprim17ROCPRIM_304000_NS6detail26onesweep_histograms_kernelINS1_34wrapped_radix_sort_onesweep_configINS0_14default_configEsN2at4cuda3cub6detail10OpaqueTypeILi8EEEEELb1EPKsmNS0_19identity_decomposerEEEvT1_PT2_SG_SG_T3_jj,comdat
.Lfunc_end59:
	.size	_ZN7rocprim17ROCPRIM_304000_NS6detail26onesweep_histograms_kernelINS1_34wrapped_radix_sort_onesweep_configINS0_14default_configEsN2at4cuda3cub6detail10OpaqueTypeILi8EEEEELb1EPKsmNS0_19identity_decomposerEEEvT1_PT2_SG_SG_T3_jj, .Lfunc_end59-_ZN7rocprim17ROCPRIM_304000_NS6detail26onesweep_histograms_kernelINS1_34wrapped_radix_sort_onesweep_configINS0_14default_configEsN2at4cuda3cub6detail10OpaqueTypeILi8EEEEELb1EPKsmNS0_19identity_decomposerEEEvT1_PT2_SG_SG_T3_jj
                                        ; -- End function
	.set _ZN7rocprim17ROCPRIM_304000_NS6detail26onesweep_histograms_kernelINS1_34wrapped_radix_sort_onesweep_configINS0_14default_configEsN2at4cuda3cub6detail10OpaqueTypeILi8EEEEELb1EPKsmNS0_19identity_decomposerEEEvT1_PT2_SG_SG_T3_jj.num_vgpr, 24
	.set _ZN7rocprim17ROCPRIM_304000_NS6detail26onesweep_histograms_kernelINS1_34wrapped_radix_sort_onesweep_configINS0_14default_configEsN2at4cuda3cub6detail10OpaqueTypeILi8EEEEELb1EPKsmNS0_19identity_decomposerEEEvT1_PT2_SG_SG_T3_jj.num_agpr, 0
	.set _ZN7rocprim17ROCPRIM_304000_NS6detail26onesweep_histograms_kernelINS1_34wrapped_radix_sort_onesweep_configINS0_14default_configEsN2at4cuda3cub6detail10OpaqueTypeILi8EEEEELb1EPKsmNS0_19identity_decomposerEEEvT1_PT2_SG_SG_T3_jj.numbered_sgpr, 39
	.set _ZN7rocprim17ROCPRIM_304000_NS6detail26onesweep_histograms_kernelINS1_34wrapped_radix_sort_onesweep_configINS0_14default_configEsN2at4cuda3cub6detail10OpaqueTypeILi8EEEEELb1EPKsmNS0_19identity_decomposerEEEvT1_PT2_SG_SG_T3_jj.num_named_barrier, 0
	.set _ZN7rocprim17ROCPRIM_304000_NS6detail26onesweep_histograms_kernelINS1_34wrapped_radix_sort_onesweep_configINS0_14default_configEsN2at4cuda3cub6detail10OpaqueTypeILi8EEEEELb1EPKsmNS0_19identity_decomposerEEEvT1_PT2_SG_SG_T3_jj.private_seg_size, 0
	.set _ZN7rocprim17ROCPRIM_304000_NS6detail26onesweep_histograms_kernelINS1_34wrapped_radix_sort_onesweep_configINS0_14default_configEsN2at4cuda3cub6detail10OpaqueTypeILi8EEEEELb1EPKsmNS0_19identity_decomposerEEEvT1_PT2_SG_SG_T3_jj.uses_vcc, 1
	.set _ZN7rocprim17ROCPRIM_304000_NS6detail26onesweep_histograms_kernelINS1_34wrapped_radix_sort_onesweep_configINS0_14default_configEsN2at4cuda3cub6detail10OpaqueTypeILi8EEEEELb1EPKsmNS0_19identity_decomposerEEEvT1_PT2_SG_SG_T3_jj.uses_flat_scratch, 0
	.set _ZN7rocprim17ROCPRIM_304000_NS6detail26onesweep_histograms_kernelINS1_34wrapped_radix_sort_onesweep_configINS0_14default_configEsN2at4cuda3cub6detail10OpaqueTypeILi8EEEEELb1EPKsmNS0_19identity_decomposerEEEvT1_PT2_SG_SG_T3_jj.has_dyn_sized_stack, 0
	.set _ZN7rocprim17ROCPRIM_304000_NS6detail26onesweep_histograms_kernelINS1_34wrapped_radix_sort_onesweep_configINS0_14default_configEsN2at4cuda3cub6detail10OpaqueTypeILi8EEEEELb1EPKsmNS0_19identity_decomposerEEEvT1_PT2_SG_SG_T3_jj.has_recursion, 0
	.set _ZN7rocprim17ROCPRIM_304000_NS6detail26onesweep_histograms_kernelINS1_34wrapped_radix_sort_onesweep_configINS0_14default_configEsN2at4cuda3cub6detail10OpaqueTypeILi8EEEEELb1EPKsmNS0_19identity_decomposerEEEvT1_PT2_SG_SG_T3_jj.has_indirect_call, 0
	.section	.AMDGPU.csdata,"",@progbits
; Kernel info:
; codeLenInByte = 4948
; TotalNumSgprs: 43
; NumVgprs: 24
; ScratchSize: 0
; MemoryBound: 0
; FloatMode: 240
; IeeeMode: 1
; LDSByteSize: 8192 bytes/workgroup (compile time only)
; SGPRBlocks: 8
; VGPRBlocks: 7
; NumSGPRsForWavesPerEU: 65
; NumVGPRsForWavesPerEU: 29
; Occupancy: 8
; WaveLimiterHint : 1
; COMPUTE_PGM_RSRC2:SCRATCH_EN: 0
; COMPUTE_PGM_RSRC2:USER_SGPR: 6
; COMPUTE_PGM_RSRC2:TRAP_HANDLER: 0
; COMPUTE_PGM_RSRC2:TGID_X_EN: 1
; COMPUTE_PGM_RSRC2:TGID_Y_EN: 0
; COMPUTE_PGM_RSRC2:TGID_Z_EN: 0
; COMPUTE_PGM_RSRC2:TIDIG_COMP_CNT: 0
	.section	.text._ZN7rocprim17ROCPRIM_304000_NS6detail31onesweep_scan_histograms_kernelINS1_34wrapped_radix_sort_onesweep_configINS0_14default_configEsN2at4cuda3cub6detail10OpaqueTypeILi8EEEEEmEEvPT0_,"axG",@progbits,_ZN7rocprim17ROCPRIM_304000_NS6detail31onesweep_scan_histograms_kernelINS1_34wrapped_radix_sort_onesweep_configINS0_14default_configEsN2at4cuda3cub6detail10OpaqueTypeILi8EEEEEmEEvPT0_,comdat
	.protected	_ZN7rocprim17ROCPRIM_304000_NS6detail31onesweep_scan_histograms_kernelINS1_34wrapped_radix_sort_onesweep_configINS0_14default_configEsN2at4cuda3cub6detail10OpaqueTypeILi8EEEEEmEEvPT0_ ; -- Begin function _ZN7rocprim17ROCPRIM_304000_NS6detail31onesweep_scan_histograms_kernelINS1_34wrapped_radix_sort_onesweep_configINS0_14default_configEsN2at4cuda3cub6detail10OpaqueTypeILi8EEEEEmEEvPT0_
	.globl	_ZN7rocprim17ROCPRIM_304000_NS6detail31onesweep_scan_histograms_kernelINS1_34wrapped_radix_sort_onesweep_configINS0_14default_configEsN2at4cuda3cub6detail10OpaqueTypeILi8EEEEEmEEvPT0_
	.p2align	8
	.type	_ZN7rocprim17ROCPRIM_304000_NS6detail31onesweep_scan_histograms_kernelINS1_34wrapped_radix_sort_onesweep_configINS0_14default_configEsN2at4cuda3cub6detail10OpaqueTypeILi8EEEEEmEEvPT0_,@function
_ZN7rocprim17ROCPRIM_304000_NS6detail31onesweep_scan_histograms_kernelINS1_34wrapped_radix_sort_onesweep_configINS0_14default_configEsN2at4cuda3cub6detail10OpaqueTypeILi8EEEEEmEEvPT0_: ; @_ZN7rocprim17ROCPRIM_304000_NS6detail31onesweep_scan_histograms_kernelINS1_34wrapped_radix_sort_onesweep_configINS0_14default_configEsN2at4cuda3cub6detail10OpaqueTypeILi8EEEEEmEEvPT0_
; %bb.0:
	s_load_dwordx2 s[0:1], s[4:5], 0x0
	s_lshl_b32 s2, s6, 8
	s_mov_b32 s3, 0
	s_lshl_b64 s[2:3], s[2:3], 3
	v_lshlrev_b32_e32 v5, 3, v0
	s_waitcnt lgkmcnt(0)
	s_add_u32 s2, s0, s2
	s_movk_i32 s0, 0x100
	s_addc_u32 s3, s1, s3
	v_cmp_gt_u32_e32 vcc, s0, v0
                                        ; implicit-def: $vgpr1_vgpr2
	s_and_saveexec_b64 s[0:1], vcc
	s_cbranch_execz .LBB60_2
; %bb.1:
	global_load_dwordx2 v[1:2], v5, s[2:3]
.LBB60_2:
	s_or_b64 exec, exec, s[0:1]
	v_mbcnt_lo_u32_b32 v3, -1, 0
	v_mbcnt_hi_u32_b32 v6, -1, v3
	v_and_b32_e32 v4, 15, v6
	s_waitcnt vmcnt(0)
	v_mov_b32_dpp v8, v1 row_shr:1 row_mask:0xf bank_mask:0xf
	v_mov_b32_dpp v7, v2 row_shr:1 row_mask:0xf bank_mask:0xf
	v_cmp_ne_u32_e64 s[0:1], 0, v4
	v_mov_b32_e32 v3, v1
	s_and_saveexec_b64 s[4:5], s[0:1]
; %bb.3:
	v_add_co_u32_e64 v3, s[0:1], v1, v8
	v_addc_co_u32_e64 v2, s[0:1], 0, v2, s[0:1]
	v_add_co_u32_e64 v1, s[0:1], 0, v3
	v_addc_co_u32_e64 v2, s[0:1], v7, v2, s[0:1]
; %bb.4:
	s_or_b64 exec, exec, s[4:5]
	v_mov_b32_dpp v8, v3 row_shr:2 row_mask:0xf bank_mask:0xf
	v_mov_b32_dpp v7, v2 row_shr:2 row_mask:0xf bank_mask:0xf
	v_cmp_lt_u32_e64 s[0:1], 1, v4
	s_and_saveexec_b64 s[4:5], s[0:1]
; %bb.5:
	v_add_co_u32_e64 v3, s[0:1], v1, v8
	v_addc_co_u32_e64 v2, s[0:1], 0, v2, s[0:1]
	v_add_co_u32_e64 v1, s[0:1], 0, v3
	v_addc_co_u32_e64 v2, s[0:1], v7, v2, s[0:1]
; %bb.6:
	s_or_b64 exec, exec, s[4:5]
	v_mov_b32_dpp v8, v3 row_shr:4 row_mask:0xf bank_mask:0xf
	v_mov_b32_dpp v7, v2 row_shr:4 row_mask:0xf bank_mask:0xf
	v_cmp_lt_u32_e64 s[0:1], 3, v4
	;; [unrolled: 11-line block ×3, first 2 shown]
	s_and_saveexec_b64 s[4:5], s[0:1]
; %bb.9:
	v_add_co_u32_e64 v3, s[0:1], v1, v8
	v_addc_co_u32_e64 v2, s[0:1], 0, v2, s[0:1]
	v_add_co_u32_e64 v1, s[0:1], 0, v3
	v_addc_co_u32_e64 v2, s[0:1], v7, v2, s[0:1]
; %bb.10:
	s_or_b64 exec, exec, s[4:5]
	v_and_b32_e32 v8, 16, v6
	v_mov_b32_dpp v7, v3 row_bcast:15 row_mask:0xf bank_mask:0xf
	v_mov_b32_dpp v4, v2 row_bcast:15 row_mask:0xf bank_mask:0xf
	v_cmp_ne_u32_e64 s[0:1], 0, v8
	s_and_saveexec_b64 s[4:5], s[0:1]
; %bb.11:
	v_add_co_u32_e64 v3, s[0:1], v1, v7
	v_addc_co_u32_e64 v2, s[0:1], 0, v2, s[0:1]
	v_add_co_u32_e64 v1, s[0:1], 0, v3
	v_addc_co_u32_e64 v2, s[0:1], v4, v2, s[0:1]
; %bb.12:
	s_or_b64 exec, exec, s[4:5]
	v_mov_b32_dpp v3, v3 row_bcast:31 row_mask:0xf bank_mask:0xf
	v_add_co_u32_e64 v3, s[0:1], v1, v3
	v_addc_co_u32_e64 v7, s[0:1], 0, v2, s[0:1]
	v_mov_b32_dpp v4, v2 row_bcast:31 row_mask:0xf bank_mask:0xf
	v_add_co_u32_e64 v3, s[0:1], 0, v3
	v_addc_co_u32_e64 v4, s[0:1], v7, v4, s[0:1]
	v_cmp_lt_u32_e64 s[0:1], 31, v6
	v_cndmask_b32_e64 v1, v1, v3, s[0:1]
	v_or_b32_e32 v3, 63, v0
	v_cndmask_b32_e64 v2, v2, v4, s[0:1]
	v_lshrrev_b32_e32 v7, 6, v0
	v_cmp_eq_u32_e64 s[0:1], v0, v3
	s_and_saveexec_b64 s[4:5], s[0:1]
; %bb.13:
	v_lshlrev_b32_e32 v3, 3, v7
	ds_write_b64 v3, v[1:2]
; %bb.14:
	s_or_b64 exec, exec, s[4:5]
	v_cmp_gt_u32_e64 s[0:1], 4, v0
	s_waitcnt lgkmcnt(0)
	s_barrier
	s_and_saveexec_b64 s[4:5], s[0:1]
	s_cbranch_execz .LBB60_18
; %bb.15:
	ds_read_b64 v[3:4], v5
	v_and_b32_e32 v8, 3, v6
	v_cmp_ne_u32_e64 s[0:1], 0, v8
	s_waitcnt lgkmcnt(0)
	v_mov_b32_dpp v11, v3 row_shr:1 row_mask:0xf bank_mask:0xf
	v_mov_b32_dpp v10, v4 row_shr:1 row_mask:0xf bank_mask:0xf
	v_mov_b32_e32 v9, v3
	s_and_saveexec_b64 s[6:7], s[0:1]
; %bb.16:
	v_add_co_u32_e64 v9, s[0:1], v3, v11
	v_addc_co_u32_e64 v4, s[0:1], 0, v4, s[0:1]
	v_add_co_u32_e64 v3, s[0:1], 0, v9
	v_addc_co_u32_e64 v4, s[0:1], v10, v4, s[0:1]
; %bb.17:
	s_or_b64 exec, exec, s[6:7]
	v_mov_b32_dpp v9, v9 row_shr:2 row_mask:0xf bank_mask:0xf
	v_cmp_lt_u32_e64 s[0:1], 1, v8
	v_mov_b32_dpp v10, v4 row_shr:2 row_mask:0xf bank_mask:0xf
	v_cndmask_b32_e64 v9, 0, v9, s[0:1]
	v_cndmask_b32_e64 v8, 0, v10, s[0:1]
	v_add_co_u32_e64 v3, s[0:1], v9, v3
	v_addc_co_u32_e64 v4, s[0:1], v8, v4, s[0:1]
	ds_write_b64 v5, v[3:4]
.LBB60_18:
	s_or_b64 exec, exec, s[4:5]
	v_mov_b32_e32 v3, 0
	v_mov_b32_e32 v4, 0
	v_cmp_lt_u32_e64 s[0:1], 63, v0
	s_waitcnt lgkmcnt(0)
	s_barrier
	s_and_saveexec_b64 s[4:5], s[0:1]
; %bb.19:
	v_lshl_add_u32 v0, v7, 3, -8
	ds_read_b64 v[3:4], v0
; %bb.20:
	s_or_b64 exec, exec, s[4:5]
	s_waitcnt lgkmcnt(0)
	v_add_co_u32_e64 v0, s[0:1], v3, v1
	v_addc_co_u32_e64 v1, s[0:1], v4, v2, s[0:1]
	v_add_u32_e32 v2, -1, v6
	v_and_b32_e32 v7, 64, v6
	v_cmp_lt_i32_e64 s[0:1], v2, v7
	v_cndmask_b32_e64 v2, v2, v6, s[0:1]
	v_lshlrev_b32_e32 v2, 2, v2
	ds_bpermute_b32 v0, v2, v0
	ds_bpermute_b32 v1, v2, v1
	s_and_saveexec_b64 s[0:1], vcc
	s_cbranch_execz .LBB60_22
; %bb.21:
	v_cmp_eq_u32_e32 vcc, 0, v6
	s_waitcnt lgkmcnt(0)
	v_cndmask_b32_e32 v1, v1, v4, vcc
	v_cndmask_b32_e32 v0, v0, v3, vcc
	global_store_dwordx2 v5, v[0:1], s[2:3]
.LBB60_22:
	s_endpgm
	.section	.rodata,"a",@progbits
	.p2align	6, 0x0
	.amdhsa_kernel _ZN7rocprim17ROCPRIM_304000_NS6detail31onesweep_scan_histograms_kernelINS1_34wrapped_radix_sort_onesweep_configINS0_14default_configEsN2at4cuda3cub6detail10OpaqueTypeILi8EEEEEmEEvPT0_
		.amdhsa_group_segment_fixed_size 32
		.amdhsa_private_segment_fixed_size 0
		.amdhsa_kernarg_size 8
		.amdhsa_user_sgpr_count 6
		.amdhsa_user_sgpr_private_segment_buffer 1
		.amdhsa_user_sgpr_dispatch_ptr 0
		.amdhsa_user_sgpr_queue_ptr 0
		.amdhsa_user_sgpr_kernarg_segment_ptr 1
		.amdhsa_user_sgpr_dispatch_id 0
		.amdhsa_user_sgpr_flat_scratch_init 0
		.amdhsa_user_sgpr_private_segment_size 0
		.amdhsa_uses_dynamic_stack 0
		.amdhsa_system_sgpr_private_segment_wavefront_offset 0
		.amdhsa_system_sgpr_workgroup_id_x 1
		.amdhsa_system_sgpr_workgroup_id_y 0
		.amdhsa_system_sgpr_workgroup_id_z 0
		.amdhsa_system_sgpr_workgroup_info 0
		.amdhsa_system_vgpr_workitem_id 0
		.amdhsa_next_free_vgpr 12
		.amdhsa_next_free_sgpr 8
		.amdhsa_reserve_vcc 1
		.amdhsa_reserve_flat_scratch 0
		.amdhsa_float_round_mode_32 0
		.amdhsa_float_round_mode_16_64 0
		.amdhsa_float_denorm_mode_32 3
		.amdhsa_float_denorm_mode_16_64 3
		.amdhsa_dx10_clamp 1
		.amdhsa_ieee_mode 1
		.amdhsa_fp16_overflow 0
		.amdhsa_exception_fp_ieee_invalid_op 0
		.amdhsa_exception_fp_denorm_src 0
		.amdhsa_exception_fp_ieee_div_zero 0
		.amdhsa_exception_fp_ieee_overflow 0
		.amdhsa_exception_fp_ieee_underflow 0
		.amdhsa_exception_fp_ieee_inexact 0
		.amdhsa_exception_int_div_zero 0
	.end_amdhsa_kernel
	.section	.text._ZN7rocprim17ROCPRIM_304000_NS6detail31onesweep_scan_histograms_kernelINS1_34wrapped_radix_sort_onesweep_configINS0_14default_configEsN2at4cuda3cub6detail10OpaqueTypeILi8EEEEEmEEvPT0_,"axG",@progbits,_ZN7rocprim17ROCPRIM_304000_NS6detail31onesweep_scan_histograms_kernelINS1_34wrapped_radix_sort_onesweep_configINS0_14default_configEsN2at4cuda3cub6detail10OpaqueTypeILi8EEEEEmEEvPT0_,comdat
.Lfunc_end60:
	.size	_ZN7rocprim17ROCPRIM_304000_NS6detail31onesweep_scan_histograms_kernelINS1_34wrapped_radix_sort_onesweep_configINS0_14default_configEsN2at4cuda3cub6detail10OpaqueTypeILi8EEEEEmEEvPT0_, .Lfunc_end60-_ZN7rocprim17ROCPRIM_304000_NS6detail31onesweep_scan_histograms_kernelINS1_34wrapped_radix_sort_onesweep_configINS0_14default_configEsN2at4cuda3cub6detail10OpaqueTypeILi8EEEEEmEEvPT0_
                                        ; -- End function
	.set _ZN7rocprim17ROCPRIM_304000_NS6detail31onesweep_scan_histograms_kernelINS1_34wrapped_radix_sort_onesweep_configINS0_14default_configEsN2at4cuda3cub6detail10OpaqueTypeILi8EEEEEmEEvPT0_.num_vgpr, 12
	.set _ZN7rocprim17ROCPRIM_304000_NS6detail31onesweep_scan_histograms_kernelINS1_34wrapped_radix_sort_onesweep_configINS0_14default_configEsN2at4cuda3cub6detail10OpaqueTypeILi8EEEEEmEEvPT0_.num_agpr, 0
	.set _ZN7rocprim17ROCPRIM_304000_NS6detail31onesweep_scan_histograms_kernelINS1_34wrapped_radix_sort_onesweep_configINS0_14default_configEsN2at4cuda3cub6detail10OpaqueTypeILi8EEEEEmEEvPT0_.numbered_sgpr, 8
	.set _ZN7rocprim17ROCPRIM_304000_NS6detail31onesweep_scan_histograms_kernelINS1_34wrapped_radix_sort_onesweep_configINS0_14default_configEsN2at4cuda3cub6detail10OpaqueTypeILi8EEEEEmEEvPT0_.num_named_barrier, 0
	.set _ZN7rocprim17ROCPRIM_304000_NS6detail31onesweep_scan_histograms_kernelINS1_34wrapped_radix_sort_onesweep_configINS0_14default_configEsN2at4cuda3cub6detail10OpaqueTypeILi8EEEEEmEEvPT0_.private_seg_size, 0
	.set _ZN7rocprim17ROCPRIM_304000_NS6detail31onesweep_scan_histograms_kernelINS1_34wrapped_radix_sort_onesweep_configINS0_14default_configEsN2at4cuda3cub6detail10OpaqueTypeILi8EEEEEmEEvPT0_.uses_vcc, 1
	.set _ZN7rocprim17ROCPRIM_304000_NS6detail31onesweep_scan_histograms_kernelINS1_34wrapped_radix_sort_onesweep_configINS0_14default_configEsN2at4cuda3cub6detail10OpaqueTypeILi8EEEEEmEEvPT0_.uses_flat_scratch, 0
	.set _ZN7rocprim17ROCPRIM_304000_NS6detail31onesweep_scan_histograms_kernelINS1_34wrapped_radix_sort_onesweep_configINS0_14default_configEsN2at4cuda3cub6detail10OpaqueTypeILi8EEEEEmEEvPT0_.has_dyn_sized_stack, 0
	.set _ZN7rocprim17ROCPRIM_304000_NS6detail31onesweep_scan_histograms_kernelINS1_34wrapped_radix_sort_onesweep_configINS0_14default_configEsN2at4cuda3cub6detail10OpaqueTypeILi8EEEEEmEEvPT0_.has_recursion, 0
	.set _ZN7rocprim17ROCPRIM_304000_NS6detail31onesweep_scan_histograms_kernelINS1_34wrapped_radix_sort_onesweep_configINS0_14default_configEsN2at4cuda3cub6detail10OpaqueTypeILi8EEEEEmEEvPT0_.has_indirect_call, 0
	.section	.AMDGPU.csdata,"",@progbits
; Kernel info:
; codeLenInByte = 848
; TotalNumSgprs: 12
; NumVgprs: 12
; ScratchSize: 0
; MemoryBound: 0
; FloatMode: 240
; IeeeMode: 1
; LDSByteSize: 32 bytes/workgroup (compile time only)
; SGPRBlocks: 1
; VGPRBlocks: 2
; NumSGPRsForWavesPerEU: 12
; NumVGPRsForWavesPerEU: 12
; Occupancy: 10
; WaveLimiterHint : 0
; COMPUTE_PGM_RSRC2:SCRATCH_EN: 0
; COMPUTE_PGM_RSRC2:USER_SGPR: 6
; COMPUTE_PGM_RSRC2:TRAP_HANDLER: 0
; COMPUTE_PGM_RSRC2:TGID_X_EN: 1
; COMPUTE_PGM_RSRC2:TGID_Y_EN: 0
; COMPUTE_PGM_RSRC2:TGID_Z_EN: 0
; COMPUTE_PGM_RSRC2:TIDIG_COMP_CNT: 0
	.section	.text._ZN7rocprim17ROCPRIM_304000_NS6detail16transform_kernelINS1_24wrapped_transform_configINS0_14default_configEsEEsPKsPsNS0_8identityIsEEEEvT1_mT2_T3_,"axG",@progbits,_ZN7rocprim17ROCPRIM_304000_NS6detail16transform_kernelINS1_24wrapped_transform_configINS0_14default_configEsEEsPKsPsNS0_8identityIsEEEEvT1_mT2_T3_,comdat
	.protected	_ZN7rocprim17ROCPRIM_304000_NS6detail16transform_kernelINS1_24wrapped_transform_configINS0_14default_configEsEEsPKsPsNS0_8identityIsEEEEvT1_mT2_T3_ ; -- Begin function _ZN7rocprim17ROCPRIM_304000_NS6detail16transform_kernelINS1_24wrapped_transform_configINS0_14default_configEsEEsPKsPsNS0_8identityIsEEEEvT1_mT2_T3_
	.globl	_ZN7rocprim17ROCPRIM_304000_NS6detail16transform_kernelINS1_24wrapped_transform_configINS0_14default_configEsEEsPKsPsNS0_8identityIsEEEEvT1_mT2_T3_
	.p2align	8
	.type	_ZN7rocprim17ROCPRIM_304000_NS6detail16transform_kernelINS1_24wrapped_transform_configINS0_14default_configEsEEsPKsPsNS0_8identityIsEEEEvT1_mT2_T3_,@function
_ZN7rocprim17ROCPRIM_304000_NS6detail16transform_kernelINS1_24wrapped_transform_configINS0_14default_configEsEEsPKsPsNS0_8identityIsEEEEvT1_mT2_T3_: ; @_ZN7rocprim17ROCPRIM_304000_NS6detail16transform_kernelINS1_24wrapped_transform_configINS0_14default_configEsEEsPKsPsNS0_8identityIsEEEEvT1_mT2_T3_
; %bb.0:
	s_load_dword s7, s[4:5], 0x20
	s_load_dwordx4 s[0:3], s[4:5], 0x0
	s_load_dwordx2 s[8:9], s[4:5], 0x10
	s_lshl_b32 s4, s6, 11
	s_mov_b32 s5, 0
	s_waitcnt lgkmcnt(0)
	s_add_i32 s7, s7, -1
	s_lshl_b64 s[10:11], s[4:5], 1
	s_add_u32 s0, s0, s10
	s_addc_u32 s1, s1, s11
	v_lshlrev_b32_e32 v5, 1, v0
	v_mov_b32_e32 v1, s1
	v_add_co_u32_e32 v3, vcc, s0, v5
	s_cmp_lg_u32 s6, s7
	v_addc_co_u32_e32 v4, vcc, 0, v1, vcc
	s_cbranch_scc0 .LBB61_2
; %bb.1:
	global_load_ushort v2, v[3:4], off
	global_load_ushort v6, v[3:4], off offset:1024
	global_load_ushort v7, v[3:4], off offset:2048
	;; [unrolled: 1-line block ×3, first 2 shown]
	s_add_u32 s6, s8, s10
	s_addc_u32 s7, s9, s11
	s_mov_b64 s[12:13], -1
	s_waitcnt vmcnt(3)
	global_store_short v5, v2, s[6:7]
	s_waitcnt vmcnt(3)
	global_store_short v5, v6, s[6:7] offset:1024
	s_waitcnt vmcnt(3)
	global_store_short v5, v7, s[6:7] offset:2048
	s_cbranch_execz .LBB61_3
	s_branch .LBB61_17
.LBB61_2:
	s_mov_b64 s[12:13], 0
                                        ; implicit-def: $vgpr1
.LBB61_3:
	s_sub_i32 s6, s2, s4
	s_waitcnt vmcnt(3)
	v_mov_b32_e32 v1, 0
	v_cmp_gt_u32_e32 vcc, s6, v0
	v_mov_b32_e32 v2, v1
	s_and_saveexec_b64 s[0:1], vcc
	s_cbranch_execz .LBB61_5
; %bb.4:
	global_load_ushort v2, v[3:4], off
	v_mov_b32_e32 v7, v1
	s_waitcnt vmcnt(0)
	v_and_b32_e32 v6, 0xffff, v2
	v_mov_b32_e32 v1, v6
	v_mov_b32_e32 v2, v7
.LBB61_5:
	s_or_b64 exec, exec, s[0:1]
	v_or_b32_e32 v6, 0x200, v0
	v_cmp_gt_u32_e64 s[0:1], s6, v6
	s_and_saveexec_b64 s[2:3], s[0:1]
	s_cbranch_execz .LBB61_7
; %bb.6:
	global_load_ushort v6, v[3:4], off offset:1024
	s_mov_b32 s4, 0x5040100
	s_waitcnt vmcnt(0)
	v_perm_b32 v1, v6, v1, s4
.LBB61_7:
	s_or_b64 exec, exec, s[2:3]
	v_or_b32_e32 v6, 0x400, v0
	v_cmp_gt_u32_e64 s[2:3], s6, v6
	s_and_saveexec_b64 s[4:5], s[2:3]
	s_cbranch_execz .LBB61_9
; %bb.8:
	global_load_ushort v6, v[3:4], off offset:2048
	s_mov_b32 s7, 0xffff
	s_waitcnt vmcnt(0)
	v_bfi_b32 v2, s7, v6, v2
.LBB61_9:
	s_or_b64 exec, exec, s[4:5]
	v_or_b32_e32 v0, 0x600, v0
	v_cmp_gt_u32_e64 s[4:5], s6, v0
	s_and_saveexec_b64 s[6:7], s[4:5]
	s_cbranch_execz .LBB61_11
; %bb.10:
	global_load_ushort v0, v[3:4], off offset:3072
	s_mov_b32 s14, 0x5040100
	s_waitcnt vmcnt(0)
	v_perm_b32 v2, v0, v2, s14
.LBB61_11:
	s_or_b64 exec, exec, s[6:7]
	s_add_u32 s6, s8, s10
	s_addc_u32 s7, s9, s11
	v_mov_b32_e32 v0, 0
	v_mov_b32_e32 v4, s7
	v_add_co_u32_e64 v3, s[6:7], s6, v5
	v_cndmask_b32_sdwa v0, v0, v1, vcc dst_sel:DWORD dst_unused:UNUSED_PAD src0_sel:DWORD src1_sel:WORD_0
	v_addc_co_u32_e64 v4, s[6:7], 0, v4, s[6:7]
	s_and_saveexec_b64 s[6:7], vcc
	s_cbranch_execnz .LBB61_20
; %bb.12:
	s_or_b64 exec, exec, s[6:7]
	v_cndmask_b32_e64 v0, v0, v1, s[0:1]
	s_and_saveexec_b64 s[6:7], s[0:1]
	s_cbranch_execnz .LBB61_21
.LBB61_13:
	s_or_b64 exec, exec, s[6:7]
	s_and_saveexec_b64 s[0:1], s[2:3]
	s_cbranch_execnz .LBB61_22
.LBB61_14:
	s_or_b64 exec, exec, s[0:1]
                                        ; implicit-def: $vgpr1
	s_and_saveexec_b64 s[0:1], s[4:5]
.LBB61_15:
	v_cndmask_b32_e64 v0, 0, v2, s[4:5]
	v_lshrrev_b32_e32 v1, 16, v0
	s_or_b64 s[12:13], s[12:13], exec
.LBB61_16:
	s_or_b64 exec, exec, s[0:1]
.LBB61_17:
	s_and_saveexec_b64 s[0:1], s[12:13]
	s_cbranch_execnz .LBB61_19
; %bb.18:
	s_endpgm
.LBB61_19:
	s_add_u32 s0, s8, s10
	s_addc_u32 s1, s9, s11
	s_waitcnt vmcnt(3)
	global_store_short v5, v1, s[0:1] offset:3072
	s_endpgm
.LBB61_20:
	global_store_short v[3:4], v0, off
	s_or_b64 exec, exec, s[6:7]
	v_cndmask_b32_e64 v0, v0, v1, s[0:1]
	s_and_saveexec_b64 s[6:7], s[0:1]
	s_cbranch_execz .LBB61_13
.LBB61_21:
	global_store_short_d16_hi v[3:4], v0, off offset:1024
	s_or_b64 exec, exec, s[6:7]
	s_and_saveexec_b64 s[0:1], s[2:3]
	s_cbranch_execz .LBB61_14
.LBB61_22:
	v_cndmask_b32_e64 v0, 0, v2, s[2:3]
	global_store_short v[3:4], v0, off offset:2048
	s_or_b64 exec, exec, s[0:1]
                                        ; implicit-def: $vgpr1
	s_and_saveexec_b64 s[0:1], s[4:5]
	s_cbranch_execnz .LBB61_15
	s_branch .LBB61_16
	.section	.rodata,"a",@progbits
	.p2align	6, 0x0
	.amdhsa_kernel _ZN7rocprim17ROCPRIM_304000_NS6detail16transform_kernelINS1_24wrapped_transform_configINS0_14default_configEsEEsPKsPsNS0_8identityIsEEEEvT1_mT2_T3_
		.amdhsa_group_segment_fixed_size 0
		.amdhsa_private_segment_fixed_size 0
		.amdhsa_kernarg_size 288
		.amdhsa_user_sgpr_count 6
		.amdhsa_user_sgpr_private_segment_buffer 1
		.amdhsa_user_sgpr_dispatch_ptr 0
		.amdhsa_user_sgpr_queue_ptr 0
		.amdhsa_user_sgpr_kernarg_segment_ptr 1
		.amdhsa_user_sgpr_dispatch_id 0
		.amdhsa_user_sgpr_flat_scratch_init 0
		.amdhsa_user_sgpr_private_segment_size 0
		.amdhsa_uses_dynamic_stack 0
		.amdhsa_system_sgpr_private_segment_wavefront_offset 0
		.amdhsa_system_sgpr_workgroup_id_x 1
		.amdhsa_system_sgpr_workgroup_id_y 0
		.amdhsa_system_sgpr_workgroup_id_z 0
		.amdhsa_system_sgpr_workgroup_info 0
		.amdhsa_system_vgpr_workitem_id 0
		.amdhsa_next_free_vgpr 8
		.amdhsa_next_free_sgpr 15
		.amdhsa_reserve_vcc 1
		.amdhsa_reserve_flat_scratch 0
		.amdhsa_float_round_mode_32 0
		.amdhsa_float_round_mode_16_64 0
		.amdhsa_float_denorm_mode_32 3
		.amdhsa_float_denorm_mode_16_64 3
		.amdhsa_dx10_clamp 1
		.amdhsa_ieee_mode 1
		.amdhsa_fp16_overflow 0
		.amdhsa_exception_fp_ieee_invalid_op 0
		.amdhsa_exception_fp_denorm_src 0
		.amdhsa_exception_fp_ieee_div_zero 0
		.amdhsa_exception_fp_ieee_overflow 0
		.amdhsa_exception_fp_ieee_underflow 0
		.amdhsa_exception_fp_ieee_inexact 0
		.amdhsa_exception_int_div_zero 0
	.end_amdhsa_kernel
	.section	.text._ZN7rocprim17ROCPRIM_304000_NS6detail16transform_kernelINS1_24wrapped_transform_configINS0_14default_configEsEEsPKsPsNS0_8identityIsEEEEvT1_mT2_T3_,"axG",@progbits,_ZN7rocprim17ROCPRIM_304000_NS6detail16transform_kernelINS1_24wrapped_transform_configINS0_14default_configEsEEsPKsPsNS0_8identityIsEEEEvT1_mT2_T3_,comdat
.Lfunc_end61:
	.size	_ZN7rocprim17ROCPRIM_304000_NS6detail16transform_kernelINS1_24wrapped_transform_configINS0_14default_configEsEEsPKsPsNS0_8identityIsEEEEvT1_mT2_T3_, .Lfunc_end61-_ZN7rocprim17ROCPRIM_304000_NS6detail16transform_kernelINS1_24wrapped_transform_configINS0_14default_configEsEEsPKsPsNS0_8identityIsEEEEvT1_mT2_T3_
                                        ; -- End function
	.set _ZN7rocprim17ROCPRIM_304000_NS6detail16transform_kernelINS1_24wrapped_transform_configINS0_14default_configEsEEsPKsPsNS0_8identityIsEEEEvT1_mT2_T3_.num_vgpr, 8
	.set _ZN7rocprim17ROCPRIM_304000_NS6detail16transform_kernelINS1_24wrapped_transform_configINS0_14default_configEsEEsPKsPsNS0_8identityIsEEEEvT1_mT2_T3_.num_agpr, 0
	.set _ZN7rocprim17ROCPRIM_304000_NS6detail16transform_kernelINS1_24wrapped_transform_configINS0_14default_configEsEEsPKsPsNS0_8identityIsEEEEvT1_mT2_T3_.numbered_sgpr, 15
	.set _ZN7rocprim17ROCPRIM_304000_NS6detail16transform_kernelINS1_24wrapped_transform_configINS0_14default_configEsEEsPKsPsNS0_8identityIsEEEEvT1_mT2_T3_.num_named_barrier, 0
	.set _ZN7rocprim17ROCPRIM_304000_NS6detail16transform_kernelINS1_24wrapped_transform_configINS0_14default_configEsEEsPKsPsNS0_8identityIsEEEEvT1_mT2_T3_.private_seg_size, 0
	.set _ZN7rocprim17ROCPRIM_304000_NS6detail16transform_kernelINS1_24wrapped_transform_configINS0_14default_configEsEEsPKsPsNS0_8identityIsEEEEvT1_mT2_T3_.uses_vcc, 1
	.set _ZN7rocprim17ROCPRIM_304000_NS6detail16transform_kernelINS1_24wrapped_transform_configINS0_14default_configEsEEsPKsPsNS0_8identityIsEEEEvT1_mT2_T3_.uses_flat_scratch, 0
	.set _ZN7rocprim17ROCPRIM_304000_NS6detail16transform_kernelINS1_24wrapped_transform_configINS0_14default_configEsEEsPKsPsNS0_8identityIsEEEEvT1_mT2_T3_.has_dyn_sized_stack, 0
	.set _ZN7rocprim17ROCPRIM_304000_NS6detail16transform_kernelINS1_24wrapped_transform_configINS0_14default_configEsEEsPKsPsNS0_8identityIsEEEEvT1_mT2_T3_.has_recursion, 0
	.set _ZN7rocprim17ROCPRIM_304000_NS6detail16transform_kernelINS1_24wrapped_transform_configINS0_14default_configEsEEsPKsPsNS0_8identityIsEEEEvT1_mT2_T3_.has_indirect_call, 0
	.section	.AMDGPU.csdata,"",@progbits
; Kernel info:
; codeLenInByte = 624
; TotalNumSgprs: 19
; NumVgprs: 8
; ScratchSize: 0
; MemoryBound: 0
; FloatMode: 240
; IeeeMode: 1
; LDSByteSize: 0 bytes/workgroup (compile time only)
; SGPRBlocks: 2
; VGPRBlocks: 1
; NumSGPRsForWavesPerEU: 19
; NumVGPRsForWavesPerEU: 8
; Occupancy: 10
; WaveLimiterHint : 1
; COMPUTE_PGM_RSRC2:SCRATCH_EN: 0
; COMPUTE_PGM_RSRC2:USER_SGPR: 6
; COMPUTE_PGM_RSRC2:TRAP_HANDLER: 0
; COMPUTE_PGM_RSRC2:TGID_X_EN: 1
; COMPUTE_PGM_RSRC2:TGID_Y_EN: 0
; COMPUTE_PGM_RSRC2:TGID_Z_EN: 0
; COMPUTE_PGM_RSRC2:TIDIG_COMP_CNT: 0
	.section	.text._ZN7rocprim17ROCPRIM_304000_NS6detail25onesweep_iteration_kernelINS1_34wrapped_radix_sort_onesweep_configINS0_14default_configEsN2at4cuda3cub6detail10OpaqueTypeILi8EEEEELb1EPKsPsPKSA_PSA_mNS0_19identity_decomposerEEEvT1_T2_T3_T4_jPT5_SO_PNS1_23onesweep_lookback_stateET6_jjj,"axG",@progbits,_ZN7rocprim17ROCPRIM_304000_NS6detail25onesweep_iteration_kernelINS1_34wrapped_radix_sort_onesweep_configINS0_14default_configEsN2at4cuda3cub6detail10OpaqueTypeILi8EEEEELb1EPKsPsPKSA_PSA_mNS0_19identity_decomposerEEEvT1_T2_T3_T4_jPT5_SO_PNS1_23onesweep_lookback_stateET6_jjj,comdat
	.protected	_ZN7rocprim17ROCPRIM_304000_NS6detail25onesweep_iteration_kernelINS1_34wrapped_radix_sort_onesweep_configINS0_14default_configEsN2at4cuda3cub6detail10OpaqueTypeILi8EEEEELb1EPKsPsPKSA_PSA_mNS0_19identity_decomposerEEEvT1_T2_T3_T4_jPT5_SO_PNS1_23onesweep_lookback_stateET6_jjj ; -- Begin function _ZN7rocprim17ROCPRIM_304000_NS6detail25onesweep_iteration_kernelINS1_34wrapped_radix_sort_onesweep_configINS0_14default_configEsN2at4cuda3cub6detail10OpaqueTypeILi8EEEEELb1EPKsPsPKSA_PSA_mNS0_19identity_decomposerEEEvT1_T2_T3_T4_jPT5_SO_PNS1_23onesweep_lookback_stateET6_jjj
	.globl	_ZN7rocprim17ROCPRIM_304000_NS6detail25onesweep_iteration_kernelINS1_34wrapped_radix_sort_onesweep_configINS0_14default_configEsN2at4cuda3cub6detail10OpaqueTypeILi8EEEEELb1EPKsPsPKSA_PSA_mNS0_19identity_decomposerEEEvT1_T2_T3_T4_jPT5_SO_PNS1_23onesweep_lookback_stateET6_jjj
	.p2align	8
	.type	_ZN7rocprim17ROCPRIM_304000_NS6detail25onesweep_iteration_kernelINS1_34wrapped_radix_sort_onesweep_configINS0_14default_configEsN2at4cuda3cub6detail10OpaqueTypeILi8EEEEELb1EPKsPsPKSA_PSA_mNS0_19identity_decomposerEEEvT1_T2_T3_T4_jPT5_SO_PNS1_23onesweep_lookback_stateET6_jjj,@function
_ZN7rocprim17ROCPRIM_304000_NS6detail25onesweep_iteration_kernelINS1_34wrapped_radix_sort_onesweep_configINS0_14default_configEsN2at4cuda3cub6detail10OpaqueTypeILi8EEEEELb1EPKsPsPKSA_PSA_mNS0_19identity_decomposerEEEvT1_T2_T3_T4_jPT5_SO_PNS1_23onesweep_lookback_stateET6_jjj: ; @_ZN7rocprim17ROCPRIM_304000_NS6detail25onesweep_iteration_kernelINS1_34wrapped_radix_sort_onesweep_configINS0_14default_configEsN2at4cuda3cub6detail10OpaqueTypeILi8EEEEELb1EPKsPsPKSA_PSA_mNS0_19identity_decomposerEEEvT1_T2_T3_T4_jPT5_SO_PNS1_23onesweep_lookback_stateET6_jjj
; %bb.0:
	s_load_dwordx8 s[56:63], s[4:5], 0x0
	s_load_dwordx4 s[68:71], s[4:5], 0x44
	s_load_dwordx4 s[64:67], s[4:5], 0x28
	s_load_dwordx2 s[72:73], s[4:5], 0x38
	s_mov_b32 s7, s6
	s_mov_b64 s[0:1], -1
	s_waitcnt lgkmcnt(0)
	s_cmp_ge_u32 s6, s70
	s_mul_i32 s54, s6, 0xc00
	v_mbcnt_lo_u32_b32 v29, -1, 0
	s_cbranch_scc0 .LBB62_152
; %bb.1:
	s_load_dword s2, s[4:5], 0x20
	s_mulk_i32 s70, 0xf400
	s_mov_b32 s55, 0
	s_lshl_b64 s[0:1], s[54:55], 1
	v_mbcnt_hi_u32_b32 v13, -1, v29
	s_waitcnt lgkmcnt(0)
	s_add_i32 s70, s70, s2
	s_add_u32 s0, s56, s0
	s_addc_u32 s1, s57, s1
	v_and_b32_e32 v15, 0xc0, v0
	v_lshlrev_b32_e32 v3, 1, v13
	v_mul_u32_u24_e32 v14, 12, v15
	v_mov_b32_e32 v4, s1
	v_add_co_u32_e32 v3, vcc, s0, v3
	v_addc_co_u32_e32 v4, vcc, 0, v4, vcc
	v_lshlrev_b32_e32 v5, 1, v14
	v_add_co_u32_e32 v11, vcc, v3, v5
	v_addc_co_u32_e32 v12, vcc, 0, v4, vcc
	v_or_b32_e32 v16, v13, v14
	v_mov_b32_e32 v3, 0x80008000
	v_cmp_gt_u32_e32 vcc, s70, v16
	v_mov_b32_e32 v4, v3
	v_mov_b32_e32 v5, v3
	;; [unrolled: 1-line block ×5, first 2 shown]
	s_and_saveexec_b64 s[0:1], vcc
	s_cbranch_execz .LBB62_3
; %bb.2:
	global_load_ushort v4, v[11:12], off
	s_movk_i32 s2, 0x8000
	v_mov_b32_e32 v9, 0x5040100
	v_mov_b32_e32 v5, v3
	;; [unrolled: 1-line block ×5, first 2 shown]
	s_waitcnt vmcnt(0)
	v_perm_b32 v4, s2, v4, v9
	v_mov_b32_e32 v9, v3
	v_mov_b32_e32 v3, v4
	;; [unrolled: 1-line block ×9, first 2 shown]
.LBB62_3:
	s_or_b64 exec, exec, s[0:1]
	v_add_u32_e32 v9, 64, v16
	v_cmp_gt_u32_e64 s[0:1], s70, v9
	s_and_saveexec_b64 s[2:3], s[0:1]
	s_cbranch_execz .LBB62_5
; %bb.4:
	global_load_ushort v9, v[11:12], off offset:128
	s_mov_b32 s8, 0x5040100
	s_waitcnt vmcnt(0)
	v_perm_b32 v3, v9, v3, s8
.LBB62_5:
	s_or_b64 exec, exec, s[2:3]
	v_add_u32_e32 v9, 0x80, v16
	v_cmp_gt_u32_e64 s[2:3], s70, v9
	s_and_saveexec_b64 s[8:9], s[2:3]
	s_cbranch_execz .LBB62_7
; %bb.6:
	global_load_ushort v9, v[11:12], off offset:256
	s_mov_b32 s10, 0xffff
	s_waitcnt vmcnt(0)
	v_bfi_b32 v4, s10, v9, v4
.LBB62_7:
	s_or_b64 exec, exec, s[8:9]
	v_add_u32_e32 v9, 0xc0, v16
	v_cmp_gt_u32_e64 s[50:51], s70, v9
	s_and_saveexec_b64 s[8:9], s[50:51]
	s_cbranch_execz .LBB62_9
; %bb.8:
	global_load_ushort v9, v[11:12], off offset:384
	s_mov_b32 s10, 0x5040100
	s_waitcnt vmcnt(0)
	v_perm_b32 v4, v9, v4, s10
.LBB62_9:
	s_or_b64 exec, exec, s[8:9]
	v_add_u32_e32 v9, 0x100, v16
	v_cmp_gt_u32_e64 s[8:9], s70, v9
	s_and_saveexec_b64 s[10:11], s[8:9]
	s_cbranch_execz .LBB62_11
; %bb.10:
	global_load_ushort v9, v[11:12], off offset:512
	s_mov_b32 s12, 0xffff
	s_waitcnt vmcnt(0)
	v_bfi_b32 v5, s12, v9, v5
.LBB62_11:
	;; [unrolled: 22-line block ×5, first 2 shown]
	s_or_b64 exec, exec, s[22:23]
	v_add_u32_e32 v9, 0x2c0, v16
	v_cmp_gt_u32_e64 s[22:23], s70, v9
	s_and_saveexec_b64 s[24:25], s[22:23]
	s_cbranch_execz .LBB62_25
; %bb.24:
	global_load_ushort v9, v[11:12], off offset:1408
	s_mov_b32 s26, 0x5040100
	s_waitcnt vmcnt(0)
	v_perm_b32 v8, v9, v8, s26
.LBB62_25:
	s_or_b64 exec, exec, s[24:25]
	s_load_dword s24, s[4:5], 0x5c
	s_load_dword s33, s[4:5], 0x50
	s_add_u32 s25, s4, 0x50
	s_addc_u32 s26, s5, 0
	v_mov_b32_e32 v9, 0
	s_waitcnt lgkmcnt(0)
	s_lshr_b32 s27, s24, 16
	s_cmp_lt_u32 s6, s33
	s_cselect_b32 s24, 12, 18
	s_add_u32 s24, s25, s24
	s_addc_u32 s25, s26, 0
	global_load_ushort v11, v9, s[24:25]
	v_xor_b32_e32 v12, 0x7fff, v3
	s_lshl_b32 s24, -1, s69
	v_lshrrev_b32_sdwa v10, s68, v12 dst_sel:DWORD dst_unused:UNUSED_PAD src0_sel:DWORD src1_sel:WORD_0
	s_not_b32 s74, s24
	v_and_b32_e32 v18, s74, v10
	v_and_b32_e32 v20, 1, v18
	v_add_co_u32_e64 v21, s[24:25], -1, v20
	v_lshlrev_b32_e32 v10, 30, v18
	v_addc_co_u32_e64 v22, s[24:25], 0, -1, s[24:25]
	v_mad_u32_u24 v17, v2, s27, v1
	v_cmp_ne_u32_e64 s[24:25], 0, v20
	v_cmp_gt_i64_e64 s[26:27], 0, v[9:10]
	v_not_b32_e32 v20, v10
	v_lshlrev_b32_e32 v10, 29, v18
	v_xor_b32_e32 v22, s25, v22
	v_xor_b32_e32 v21, s24, v21
	v_ashrrev_i32_e32 v20, 31, v20
	v_cmp_gt_i64_e64 s[24:25], 0, v[9:10]
	v_not_b32_e32 v23, v10
	v_lshlrev_b32_e32 v10, 28, v18
	v_and_b32_e32 v22, exec_hi, v22
	v_and_b32_e32 v21, exec_lo, v21
	v_xor_b32_e32 v24, s27, v20
	v_xor_b32_e32 v20, s26, v20
	v_ashrrev_i32_e32 v23, 31, v23
	v_cmp_gt_i64_e64 s[26:27], 0, v[9:10]
	v_not_b32_e32 v25, v10
	v_lshlrev_b32_e32 v10, 27, v18
	v_and_b32_e32 v22, v22, v24
	v_and_b32_e32 v20, v21, v20
	v_xor_b32_e32 v21, s25, v23
	v_xor_b32_e32 v23, s24, v23
	v_ashrrev_i32_e32 v24, 31, v25
	v_cmp_gt_i64_e64 s[24:25], 0, v[9:10]
	v_not_b32_e32 v25, v10
	v_lshlrev_b32_e32 v10, 26, v18
	v_and_b32_e32 v21, v22, v21
	v_and_b32_e32 v20, v20, v23
	;; [unrolled: 8-line block ×3, first 2 shown]
	v_xor_b32_e32 v22, s25, v24
	v_xor_b32_e32 v23, s24, v24
	v_ashrrev_i32_e32 v24, 31, v25
	v_cmp_gt_i64_e64 s[24:25], 0, v[9:10]
	v_not_b32_e32 v25, v10
	v_mul_u32_u24_e32 v19, 20, v18
	v_lshlrev_b32_e32 v10, 24, v18
	v_and_b32_e32 v18, v21, v22
	v_and_b32_e32 v20, v20, v23
	v_xor_b32_e32 v21, s27, v24
	v_ashrrev_i32_e32 v23, 31, v25
	v_xor_b32_e32 v22, s26, v24
	v_and_b32_e32 v18, v18, v21
	v_xor_b32_e32 v21, s25, v23
	v_and_b32_e32 v20, v20, v22
	;; [unrolled: 2-line block ×3, first 2 shown]
	v_cmp_gt_i64_e64 s[26:27], 0, v[9:10]
	v_not_b32_e32 v10, v10
	v_ashrrev_i32_e32 v10, 31, v10
	v_and_b32_e32 v20, v20, v22
	v_xor_b32_e32 v22, s27, v10
	v_xor_b32_e32 v10, s26, v10
	v_and_b32_e32 v10, v20, v10
	s_movk_i32 s28, 0x7fff
	v_mul_u32_u24_e32 v16, 20, v0
	ds_write2_b32 v16, v9, v9 offset0:4 offset1:5
	ds_write2_b32 v16, v9, v9 offset0:6 offset1:7
	ds_write_b32 v16, v9 offset:32
	s_waitcnt vmcnt(0) lgkmcnt(0)
	s_barrier
	v_mad_u64_u32 v[17:18], s[24:25], v17, v11, v[0:1]
	v_and_b32_e32 v11, v21, v22
	v_cmp_ne_u64_e64 s[24:25], 0, v[10:11]
	v_lshrrev_b32_e32 v17, 4, v17
	v_and_b32_e32 v25, 0xffffffc, v17
	v_mbcnt_lo_u32_b32 v17, v10, 0
	v_mbcnt_hi_u32_b32 v18, v11, v17
	v_cmp_eq_u32_e64 s[26:27], 0, v18
	s_and_b64 s[26:27], s[24:25], s[26:27]
	v_add_u32_e32 v20, v25, v19
	; wave barrier
	s_and_saveexec_b64 s[24:25], s[26:27]
; %bb.26:
	v_bcnt_u32_b32 v10, v10, 0
	v_bcnt_u32_b32 v10, v11, v10
	ds_write_b32 v20, v10 offset:16
; %bb.27:
	s_or_b64 exec, exec, s[24:25]
	v_xor_b32_sdwa v17, v3, s28 dst_sel:DWORD dst_unused:UNUSED_PAD src0_sel:WORD_1 src1_sel:DWORD
	v_lshrrev_b32_sdwa v3, s68, v17 dst_sel:DWORD dst_unused:UNUSED_PAD src0_sel:DWORD src1_sel:WORD_0
	v_and_b32_e32 v3, s74, v3
	v_mad_u32_u24 v10, v3, 20, v25
	; wave barrier
	ds_read_b32 v19, v10 offset:16
	v_and_b32_e32 v10, 1, v3
	v_add_co_u32_e64 v21, s[24:25], -1, v10
	v_addc_co_u32_e64 v22, s[24:25], 0, -1, s[24:25]
	v_cmp_ne_u32_e64 s[24:25], 0, v10
	v_xor_b32_e32 v10, s25, v22
	v_and_b32_e32 v22, exec_hi, v10
	v_lshlrev_b32_e32 v10, 30, v3
	v_xor_b32_e32 v21, s24, v21
	v_cmp_gt_i64_e64 s[24:25], 0, v[9:10]
	v_not_b32_e32 v10, v10
	v_ashrrev_i32_e32 v10, 31, v10
	v_and_b32_e32 v21, exec_lo, v21
	v_xor_b32_e32 v23, s25, v10
	v_xor_b32_e32 v10, s24, v10
	v_and_b32_e32 v21, v21, v10
	v_lshlrev_b32_e32 v10, 29, v3
	v_cmp_gt_i64_e64 s[24:25], 0, v[9:10]
	v_not_b32_e32 v10, v10
	v_ashrrev_i32_e32 v10, 31, v10
	v_and_b32_e32 v22, v22, v23
	v_xor_b32_e32 v23, s25, v10
	v_xor_b32_e32 v10, s24, v10
	v_and_b32_e32 v21, v21, v10
	v_lshlrev_b32_e32 v10, 28, v3
	v_cmp_gt_i64_e64 s[24:25], 0, v[9:10]
	v_not_b32_e32 v10, v10
	v_ashrrev_i32_e32 v10, 31, v10
	v_and_b32_e32 v22, v22, v23
	;; [unrolled: 8-line block ×5, first 2 shown]
	v_xor_b32_e32 v23, s25, v10
	v_xor_b32_e32 v10, s24, v10
	v_and_b32_e32 v21, v21, v10
	v_lshlrev_b32_e32 v10, 24, v3
	v_mul_u32_u24_e32 v11, 20, v3
	v_cmp_gt_i64_e64 s[24:25], 0, v[9:10]
	v_not_b32_e32 v3, v10
	v_ashrrev_i32_e32 v3, 31, v3
	v_and_b32_e32 v22, v22, v23
	v_xor_b32_e32 v9, s25, v3
	v_xor_b32_e32 v3, s24, v3
	v_and_b32_e32 v10, v22, v9
	v_and_b32_e32 v9, v21, v3
	v_mbcnt_lo_u32_b32 v3, v9, 0
	v_mbcnt_hi_u32_b32 v21, v10, v3
	v_cmp_ne_u64_e64 s[24:25], 0, v[9:10]
	v_cmp_eq_u32_e64 s[26:27], 0, v21
	s_and_b64 s[26:27], s[24:25], s[26:27]
	v_add_u32_e32 v24, v25, v11
	; wave barrier
	s_and_saveexec_b64 s[24:25], s[26:27]
	s_cbranch_execz .LBB62_29
; %bb.28:
	v_bcnt_u32_b32 v3, v9, 0
	v_bcnt_u32_b32 v3, v10, v3
	s_waitcnt lgkmcnt(0)
	v_add_u32_e32 v3, v19, v3
	ds_write_b32 v24, v3 offset:16
.LBB62_29:
	s_or_b64 exec, exec, s[24:25]
	v_xor_b32_e32 v22, 0x7fff, v4
	v_lshrrev_b32_sdwa v3, s68, v22 dst_sel:DWORD dst_unused:UNUSED_PAD src0_sel:DWORD src1_sel:WORD_0
	v_and_b32_e32 v3, s74, v3
	v_and_b32_e32 v10, 1, v3
	v_add_co_u32_e64 v11, s[24:25], -1, v10
	v_addc_co_u32_e64 v26, s[24:25], 0, -1, s[24:25]
	v_cmp_ne_u32_e64 s[24:25], 0, v10
	v_mad_u32_u24 v9, v3, 20, v25
	v_xor_b32_e32 v10, s25, v26
	; wave barrier
	ds_read_b32 v23, v9 offset:16
	v_mov_b32_e32 v9, 0
	v_and_b32_e32 v26, exec_hi, v10
	v_lshlrev_b32_e32 v10, 30, v3
	v_xor_b32_e32 v11, s24, v11
	v_cmp_gt_i64_e64 s[24:25], 0, v[9:10]
	v_not_b32_e32 v10, v10
	v_ashrrev_i32_e32 v10, 31, v10
	v_and_b32_e32 v11, exec_lo, v11
	v_xor_b32_e32 v28, s25, v10
	v_xor_b32_e32 v10, s24, v10
	v_and_b32_e32 v11, v11, v10
	v_lshlrev_b32_e32 v10, 29, v3
	v_cmp_gt_i64_e64 s[24:25], 0, v[9:10]
	v_not_b32_e32 v10, v10
	v_ashrrev_i32_e32 v10, 31, v10
	v_and_b32_e32 v26, v26, v28
	v_xor_b32_e32 v28, s25, v10
	v_xor_b32_e32 v10, s24, v10
	v_and_b32_e32 v11, v11, v10
	v_lshlrev_b32_e32 v10, 28, v3
	v_cmp_gt_i64_e64 s[24:25], 0, v[9:10]
	v_not_b32_e32 v10, v10
	v_ashrrev_i32_e32 v10, 31, v10
	v_and_b32_e32 v26, v26, v28
	;; [unrolled: 8-line block ×5, first 2 shown]
	v_xor_b32_e32 v28, s25, v10
	v_xor_b32_e32 v10, s24, v10
	v_and_b32_e32 v26, v26, v28
	v_and_b32_e32 v28, v11, v10
	v_lshlrev_b32_e32 v10, 24, v3
	v_mul_u32_u24_e32 v27, 20, v3
	v_cmp_gt_i64_e64 s[24:25], 0, v[9:10]
	v_not_b32_e32 v3, v10
	v_ashrrev_i32_e32 v3, 31, v3
	v_xor_b32_e32 v10, s25, v3
	v_xor_b32_e32 v3, s24, v3
	v_and_b32_e32 v11, v26, v10
	v_and_b32_e32 v10, v28, v3
	v_mbcnt_lo_u32_b32 v3, v10, 0
	v_mbcnt_hi_u32_b32 v26, v11, v3
	v_cmp_ne_u64_e64 s[24:25], 0, v[10:11]
	v_cmp_eq_u32_e64 s[26:27], 0, v26
	s_and_b64 s[26:27], s[24:25], s[26:27]
	v_add_u32_e32 v28, v25, v27
	; wave barrier
	s_and_saveexec_b64 s[24:25], s[26:27]
	s_cbranch_execz .LBB62_31
; %bb.30:
	v_bcnt_u32_b32 v3, v10, 0
	v_bcnt_u32_b32 v3, v11, v3
	s_waitcnt lgkmcnt(0)
	v_add_u32_e32 v3, v23, v3
	ds_write_b32 v28, v3 offset:16
.LBB62_31:
	s_or_b64 exec, exec, s[24:25]
	v_xor_b32_sdwa v11, v4, s28 dst_sel:DWORD dst_unused:UNUSED_PAD src0_sel:WORD_1 src1_sel:DWORD
	v_lshrrev_b32_sdwa v3, s68, v11 dst_sel:DWORD dst_unused:UNUSED_PAD src0_sel:DWORD src1_sel:WORD_0
	v_and_b32_e32 v3, s74, v3
	v_mad_u32_u24 v4, v3, 20, v25
	; wave barrier
	ds_read_b32 v27, v4 offset:16
	v_and_b32_e32 v4, 1, v3
	v_add_co_u32_e64 v10, s[24:25], -1, v4
	v_addc_co_u32_e64 v31, s[24:25], 0, -1, s[24:25]
	v_cmp_ne_u32_e64 s[24:25], 0, v4
	v_xor_b32_e32 v10, s24, v10
	v_xor_b32_e32 v4, s25, v31
	v_and_b32_e32 v31, exec_lo, v10
	v_lshlrev_b32_e32 v10, 30, v3
	v_cmp_gt_i64_e64 s[24:25], 0, v[9:10]
	v_not_b32_e32 v10, v10
	v_ashrrev_i32_e32 v10, 31, v10
	v_xor_b32_e32 v32, s25, v10
	v_xor_b32_e32 v10, s24, v10
	v_and_b32_e32 v31, v31, v10
	v_lshlrev_b32_e32 v10, 29, v3
	v_cmp_gt_i64_e64 s[24:25], 0, v[9:10]
	v_not_b32_e32 v10, v10
	v_and_b32_e32 v4, exec_hi, v4
	v_ashrrev_i32_e32 v10, 31, v10
	v_and_b32_e32 v4, v4, v32
	v_xor_b32_e32 v32, s25, v10
	v_xor_b32_e32 v10, s24, v10
	v_and_b32_e32 v31, v31, v10
	v_lshlrev_b32_e32 v10, 28, v3
	v_cmp_gt_i64_e64 s[24:25], 0, v[9:10]
	v_not_b32_e32 v10, v10
	v_ashrrev_i32_e32 v10, 31, v10
	v_and_b32_e32 v4, v4, v32
	v_xor_b32_e32 v32, s25, v10
	v_xor_b32_e32 v10, s24, v10
	v_and_b32_e32 v31, v31, v10
	v_lshlrev_b32_e32 v10, 27, v3
	v_cmp_gt_i64_e64 s[24:25], 0, v[9:10]
	v_not_b32_e32 v10, v10
	;; [unrolled: 8-line block ×4, first 2 shown]
	v_ashrrev_i32_e32 v10, 31, v10
	v_and_b32_e32 v4, v4, v32
	v_xor_b32_e32 v32, s25, v10
	v_xor_b32_e32 v10, s24, v10
	v_and_b32_e32 v31, v31, v10
	v_lshlrev_b32_e32 v10, 24, v3
	v_mul_u32_u24_e32 v30, 20, v3
	v_cmp_gt_i64_e64 s[24:25], 0, v[9:10]
	v_not_b32_e32 v3, v10
	v_ashrrev_i32_e32 v3, 31, v3
	v_xor_b32_e32 v9, s25, v3
	v_xor_b32_e32 v3, s24, v3
	v_and_b32_e32 v4, v4, v32
	v_and_b32_e32 v3, v31, v3
	;; [unrolled: 1-line block ×3, first 2 shown]
	v_mbcnt_lo_u32_b32 v9, v3, 0
	v_mbcnt_hi_u32_b32 v32, v4, v9
	v_cmp_ne_u64_e64 s[24:25], 0, v[3:4]
	v_cmp_eq_u32_e64 s[26:27], 0, v32
	s_and_b64 s[26:27], s[24:25], s[26:27]
	v_add_u32_e32 v30, v25, v30
	; wave barrier
	s_and_saveexec_b64 s[24:25], s[26:27]
	s_cbranch_execz .LBB62_33
; %bb.32:
	v_bcnt_u32_b32 v3, v3, 0
	v_bcnt_u32_b32 v3, v4, v3
	s_waitcnt lgkmcnt(0)
	v_add_u32_e32 v3, v27, v3
	ds_write_b32 v30, v3 offset:16
.LBB62_33:
	s_or_b64 exec, exec, s[24:25]
	v_xor_b32_e32 v31, 0x7fff, v5
	v_lshrrev_b32_sdwa v3, s68, v31 dst_sel:DWORD dst_unused:UNUSED_PAD src0_sel:DWORD src1_sel:WORD_0
	v_and_b32_e32 v9, s74, v3
	v_and_b32_e32 v4, 1, v9
	v_add_co_u32_e64 v10, s[24:25], -1, v4
	v_addc_co_u32_e64 v34, s[24:25], 0, -1, s[24:25]
	v_cmp_ne_u32_e64 s[24:25], 0, v4
	v_mad_u32_u24 v3, v9, 20, v25
	v_xor_b32_e32 v4, s25, v34
	; wave barrier
	ds_read_b32 v33, v3 offset:16
	v_mov_b32_e32 v3, 0
	v_and_b32_e32 v34, exec_hi, v4
	v_lshlrev_b32_e32 v4, 30, v9
	v_xor_b32_e32 v10, s24, v10
	v_cmp_gt_i64_e64 s[24:25], 0, v[3:4]
	v_not_b32_e32 v4, v4
	v_ashrrev_i32_e32 v4, 31, v4
	v_and_b32_e32 v10, exec_lo, v10
	v_xor_b32_e32 v36, s25, v4
	v_xor_b32_e32 v4, s24, v4
	v_and_b32_e32 v10, v10, v4
	v_lshlrev_b32_e32 v4, 29, v9
	v_cmp_gt_i64_e64 s[24:25], 0, v[3:4]
	v_not_b32_e32 v4, v4
	v_ashrrev_i32_e32 v4, 31, v4
	v_and_b32_e32 v34, v34, v36
	v_xor_b32_e32 v36, s25, v4
	v_xor_b32_e32 v4, s24, v4
	v_and_b32_e32 v10, v10, v4
	v_lshlrev_b32_e32 v4, 28, v9
	v_cmp_gt_i64_e64 s[24:25], 0, v[3:4]
	v_not_b32_e32 v4, v4
	v_ashrrev_i32_e32 v4, 31, v4
	v_and_b32_e32 v34, v34, v36
	;; [unrolled: 8-line block ×5, first 2 shown]
	v_xor_b32_e32 v36, s25, v4
	v_xor_b32_e32 v4, s24, v4
	v_and_b32_e32 v34, v34, v36
	v_and_b32_e32 v36, v10, v4
	v_lshlrev_b32_e32 v4, 24, v9
	v_cmp_gt_i64_e64 s[24:25], 0, v[3:4]
	v_not_b32_e32 v4, v4
	v_ashrrev_i32_e32 v4, 31, v4
	v_mul_u32_u24_e32 v35, 20, v9
	v_xor_b32_e32 v9, s25, v4
	v_xor_b32_e32 v4, s24, v4
	v_and_b32_e32 v10, v34, v9
	v_and_b32_e32 v9, v36, v4
	v_mbcnt_lo_u32_b32 v4, v9, 0
	v_mbcnt_hi_u32_b32 v34, v10, v4
	v_cmp_ne_u64_e64 s[24:25], 0, v[9:10]
	v_cmp_eq_u32_e64 s[26:27], 0, v34
	s_and_b64 s[26:27], s[24:25], s[26:27]
	v_add_u32_e32 v35, v25, v35
	; wave barrier
	s_and_saveexec_b64 s[24:25], s[26:27]
	s_cbranch_execz .LBB62_35
; %bb.34:
	v_bcnt_u32_b32 v4, v9, 0
	v_bcnt_u32_b32 v4, v10, v4
	s_waitcnt lgkmcnt(0)
	v_add_u32_e32 v4, v33, v4
	ds_write_b32 v35, v4 offset:16
.LBB62_35:
	s_or_b64 exec, exec, s[24:25]
	v_xor_b32_sdwa v9, v5, s28 dst_sel:DWORD dst_unused:UNUSED_PAD src0_sel:WORD_1 src1_sel:DWORD
	v_lshrrev_b32_sdwa v4, s68, v9 dst_sel:DWORD dst_unused:UNUSED_PAD src0_sel:DWORD src1_sel:WORD_0
	v_and_b32_e32 v5, s74, v4
	v_mad_u32_u24 v4, v5, 20, v25
	; wave barrier
	ds_read_b32 v10, v4 offset:16
	v_and_b32_e32 v4, 1, v5
	v_add_co_u32_e64 v36, s[24:25], -1, v4
	v_addc_co_u32_e64 v38, s[24:25], 0, -1, s[24:25]
	v_cmp_ne_u32_e64 s[24:25], 0, v4
	v_xor_b32_e32 v4, s25, v38
	v_and_b32_e32 v38, exec_hi, v4
	v_lshlrev_b32_e32 v4, 30, v5
	v_xor_b32_e32 v36, s24, v36
	v_cmp_gt_i64_e64 s[24:25], 0, v[3:4]
	v_not_b32_e32 v4, v4
	v_ashrrev_i32_e32 v4, 31, v4
	v_and_b32_e32 v36, exec_lo, v36
	v_xor_b32_e32 v39, s25, v4
	v_xor_b32_e32 v4, s24, v4
	v_and_b32_e32 v36, v36, v4
	v_lshlrev_b32_e32 v4, 29, v5
	v_cmp_gt_i64_e64 s[24:25], 0, v[3:4]
	v_not_b32_e32 v4, v4
	v_ashrrev_i32_e32 v4, 31, v4
	v_and_b32_e32 v38, v38, v39
	v_xor_b32_e32 v39, s25, v4
	v_xor_b32_e32 v4, s24, v4
	v_and_b32_e32 v36, v36, v4
	v_lshlrev_b32_e32 v4, 28, v5
	v_cmp_gt_i64_e64 s[24:25], 0, v[3:4]
	v_not_b32_e32 v4, v4
	v_ashrrev_i32_e32 v4, 31, v4
	v_and_b32_e32 v38, v38, v39
	;; [unrolled: 8-line block ×5, first 2 shown]
	v_xor_b32_e32 v39, s25, v4
	v_xor_b32_e32 v4, s24, v4
	v_and_b32_e32 v36, v36, v4
	v_lshlrev_b32_e32 v4, 24, v5
	v_cmp_gt_i64_e64 s[24:25], 0, v[3:4]
	v_not_b32_e32 v3, v4
	v_ashrrev_i32_e32 v3, 31, v3
	v_xor_b32_e32 v4, s25, v3
	v_xor_b32_e32 v3, s24, v3
	v_and_b32_e32 v38, v38, v39
	v_and_b32_e32 v3, v36, v3
	v_mul_u32_u24_e32 v37, 20, v5
	v_and_b32_e32 v4, v38, v4
	v_mbcnt_lo_u32_b32 v5, v3, 0
	v_mbcnt_hi_u32_b32 v36, v4, v5
	v_cmp_ne_u64_e64 s[24:25], 0, v[3:4]
	v_cmp_eq_u32_e64 s[26:27], 0, v36
	s_and_b64 s[26:27], s[24:25], s[26:27]
	v_add_u32_e32 v38, v25, v37
	; wave barrier
	s_and_saveexec_b64 s[24:25], s[26:27]
	s_cbranch_execz .LBB62_37
; %bb.36:
	v_bcnt_u32_b32 v3, v3, 0
	v_bcnt_u32_b32 v3, v4, v3
	s_waitcnt lgkmcnt(0)
	v_add_u32_e32 v3, v10, v3
	ds_write_b32 v38, v3 offset:16
.LBB62_37:
	s_or_b64 exec, exec, s[24:25]
	v_xor_b32_e32 v45, 0x7fff, v6
	v_lshrrev_b32_sdwa v3, s68, v45 dst_sel:DWORD dst_unused:UNUSED_PAD src0_sel:DWORD src1_sel:WORD_0
	v_and_b32_e32 v5, s74, v3
	v_and_b32_e32 v4, 1, v5
	v_add_co_u32_e64 v40, s[24:25], -1, v4
	v_addc_co_u32_e64 v41, s[24:25], 0, -1, s[24:25]
	v_cmp_ne_u32_e64 s[24:25], 0, v4
	v_mad_u32_u24 v3, v5, 20, v25
	v_xor_b32_e32 v4, s25, v41
	; wave barrier
	ds_read_b32 v37, v3 offset:16
	v_mov_b32_e32 v3, 0
	v_and_b32_e32 v41, exec_hi, v4
	v_lshlrev_b32_e32 v4, 30, v5
	v_xor_b32_e32 v40, s24, v40
	v_cmp_gt_i64_e64 s[24:25], 0, v[3:4]
	v_not_b32_e32 v4, v4
	v_ashrrev_i32_e32 v4, 31, v4
	v_and_b32_e32 v40, exec_lo, v40
	v_xor_b32_e32 v42, s25, v4
	v_xor_b32_e32 v4, s24, v4
	v_and_b32_e32 v40, v40, v4
	v_lshlrev_b32_e32 v4, 29, v5
	v_cmp_gt_i64_e64 s[24:25], 0, v[3:4]
	v_not_b32_e32 v4, v4
	v_ashrrev_i32_e32 v4, 31, v4
	v_and_b32_e32 v41, v41, v42
	v_xor_b32_e32 v42, s25, v4
	v_xor_b32_e32 v4, s24, v4
	v_and_b32_e32 v40, v40, v4
	v_lshlrev_b32_e32 v4, 28, v5
	v_cmp_gt_i64_e64 s[24:25], 0, v[3:4]
	v_not_b32_e32 v4, v4
	v_ashrrev_i32_e32 v4, 31, v4
	v_and_b32_e32 v41, v41, v42
	;; [unrolled: 8-line block ×5, first 2 shown]
	v_xor_b32_e32 v42, s25, v4
	v_xor_b32_e32 v4, s24, v4
	v_and_b32_e32 v40, v40, v4
	v_lshlrev_b32_e32 v4, 24, v5
	v_cmp_gt_i64_e64 s[24:25], 0, v[3:4]
	v_not_b32_e32 v4, v4
	v_ashrrev_i32_e32 v4, 31, v4
	v_mul_u32_u24_e32 v39, 20, v5
	v_xor_b32_e32 v5, s25, v4
	v_xor_b32_e32 v4, s24, v4
	v_and_b32_e32 v41, v41, v42
	v_and_b32_e32 v4, v40, v4
	v_and_b32_e32 v5, v41, v5
	v_mbcnt_lo_u32_b32 v40, v4, 0
	v_mbcnt_hi_u32_b32 v47, v5, v40
	v_cmp_ne_u64_e64 s[24:25], 0, v[4:5]
	v_cmp_eq_u32_e64 s[26:27], 0, v47
	s_and_b64 s[26:27], s[24:25], s[26:27]
	v_add_u32_e32 v39, v25, v39
	; wave barrier
	s_and_saveexec_b64 s[24:25], s[26:27]
	s_cbranch_execz .LBB62_39
; %bb.38:
	v_bcnt_u32_b32 v4, v4, 0
	v_bcnt_u32_b32 v4, v5, v4
	s_waitcnt lgkmcnt(0)
	v_add_u32_e32 v4, v37, v4
	ds_write_b32 v39, v4 offset:16
.LBB62_39:
	s_or_b64 exec, exec, s[24:25]
	v_xor_b32_sdwa v46, v6, s28 dst_sel:DWORD dst_unused:UNUSED_PAD src0_sel:WORD_1 src1_sel:DWORD
	v_lshrrev_b32_sdwa v4, s68, v46 dst_sel:DWORD dst_unused:UNUSED_PAD src0_sel:DWORD src1_sel:WORD_0
	v_and_b32_e32 v5, s74, v4
	v_mad_u32_u24 v4, v5, 20, v25
	; wave barrier
	ds_read_b32 v48, v4 offset:16
	v_and_b32_e32 v4, 1, v5
	v_add_co_u32_e64 v40, s[24:25], -1, v4
	v_addc_co_u32_e64 v41, s[24:25], 0, -1, s[24:25]
	v_cmp_ne_u32_e64 s[24:25], 0, v4
	v_xor_b32_e32 v4, s25, v41
	v_and_b32_e32 v41, exec_hi, v4
	v_lshlrev_b32_e32 v4, 30, v5
	v_xor_b32_e32 v40, s24, v40
	v_cmp_gt_i64_e64 s[24:25], 0, v[3:4]
	v_not_b32_e32 v4, v4
	v_ashrrev_i32_e32 v4, 31, v4
	v_and_b32_e32 v40, exec_lo, v40
	v_xor_b32_e32 v42, s25, v4
	v_xor_b32_e32 v4, s24, v4
	v_and_b32_e32 v40, v40, v4
	v_lshlrev_b32_e32 v4, 29, v5
	v_cmp_gt_i64_e64 s[24:25], 0, v[3:4]
	v_not_b32_e32 v4, v4
	v_ashrrev_i32_e32 v4, 31, v4
	v_and_b32_e32 v41, v41, v42
	v_xor_b32_e32 v42, s25, v4
	v_xor_b32_e32 v4, s24, v4
	v_and_b32_e32 v40, v40, v4
	v_lshlrev_b32_e32 v4, 28, v5
	v_cmp_gt_i64_e64 s[24:25], 0, v[3:4]
	v_not_b32_e32 v4, v4
	v_ashrrev_i32_e32 v4, 31, v4
	v_and_b32_e32 v41, v41, v42
	;; [unrolled: 8-line block ×5, first 2 shown]
	v_xor_b32_e32 v42, s25, v4
	v_xor_b32_e32 v4, s24, v4
	v_and_b32_e32 v40, v40, v4
	v_lshlrev_b32_e32 v4, 24, v5
	v_cmp_gt_i64_e64 s[24:25], 0, v[3:4]
	v_not_b32_e32 v3, v4
	v_ashrrev_i32_e32 v3, 31, v3
	v_xor_b32_e32 v4, s25, v3
	v_xor_b32_e32 v3, s24, v3
	v_and_b32_e32 v41, v41, v42
	v_and_b32_e32 v3, v40, v3
	v_mul_u32_u24_e32 v6, 20, v5
	v_and_b32_e32 v4, v41, v4
	v_mbcnt_lo_u32_b32 v5, v3, 0
	v_mbcnt_hi_u32_b32 v50, v4, v5
	v_cmp_ne_u64_e64 s[24:25], 0, v[3:4]
	v_cmp_eq_u32_e64 s[26:27], 0, v50
	s_and_b64 s[26:27], s[24:25], s[26:27]
	v_add_u32_e32 v40, v25, v6
	; wave barrier
	s_and_saveexec_b64 s[24:25], s[26:27]
	s_cbranch_execz .LBB62_41
; %bb.40:
	v_bcnt_u32_b32 v3, v3, 0
	v_bcnt_u32_b32 v3, v4, v3
	s_waitcnt lgkmcnt(0)
	v_add_u32_e32 v3, v48, v3
	ds_write_b32 v40, v3 offset:16
.LBB62_41:
	s_or_b64 exec, exec, s[24:25]
	v_xor_b32_e32 v49, 0x7fff, v7
	v_lshrrev_b32_sdwa v3, s68, v49 dst_sel:DWORD dst_unused:UNUSED_PAD src0_sel:DWORD src1_sel:WORD_0
	v_and_b32_e32 v5, s74, v3
	v_and_b32_e32 v4, 1, v5
	v_add_co_u32_e64 v41, s[24:25], -1, v4
	v_addc_co_u32_e64 v42, s[24:25], 0, -1, s[24:25]
	v_cmp_ne_u32_e64 s[24:25], 0, v4
	v_mad_u32_u24 v3, v5, 20, v25
	v_xor_b32_e32 v4, s25, v42
	; wave barrier
	ds_read_b32 v51, v3 offset:16
	v_mov_b32_e32 v3, 0
	v_and_b32_e32 v42, exec_hi, v4
	v_lshlrev_b32_e32 v4, 30, v5
	v_xor_b32_e32 v41, s24, v41
	v_cmp_gt_i64_e64 s[24:25], 0, v[3:4]
	v_not_b32_e32 v4, v4
	v_ashrrev_i32_e32 v4, 31, v4
	v_and_b32_e32 v41, exec_lo, v41
	v_xor_b32_e32 v43, s25, v4
	v_xor_b32_e32 v4, s24, v4
	v_and_b32_e32 v41, v41, v4
	v_lshlrev_b32_e32 v4, 29, v5
	v_cmp_gt_i64_e64 s[24:25], 0, v[3:4]
	v_not_b32_e32 v4, v4
	v_ashrrev_i32_e32 v4, 31, v4
	v_and_b32_e32 v42, v42, v43
	v_xor_b32_e32 v43, s25, v4
	v_xor_b32_e32 v4, s24, v4
	v_and_b32_e32 v41, v41, v4
	v_lshlrev_b32_e32 v4, 28, v5
	v_cmp_gt_i64_e64 s[24:25], 0, v[3:4]
	v_not_b32_e32 v4, v4
	v_ashrrev_i32_e32 v4, 31, v4
	v_and_b32_e32 v42, v42, v43
	;; [unrolled: 8-line block ×5, first 2 shown]
	v_xor_b32_e32 v43, s25, v4
	v_xor_b32_e32 v4, s24, v4
	v_and_b32_e32 v41, v41, v4
	v_lshlrev_b32_e32 v4, 24, v5
	v_cmp_gt_i64_e64 s[24:25], 0, v[3:4]
	v_not_b32_e32 v4, v4
	v_ashrrev_i32_e32 v4, 31, v4
	v_mul_u32_u24_e32 v6, 20, v5
	v_xor_b32_e32 v5, s25, v4
	v_xor_b32_e32 v4, s24, v4
	v_and_b32_e32 v42, v42, v43
	v_and_b32_e32 v4, v41, v4
	;; [unrolled: 1-line block ×3, first 2 shown]
	v_mbcnt_lo_u32_b32 v41, v4, 0
	v_mbcnt_hi_u32_b32 v52, v5, v41
	v_cmp_ne_u64_e64 s[24:25], 0, v[4:5]
	v_cmp_eq_u32_e64 s[26:27], 0, v52
	s_and_b64 s[26:27], s[24:25], s[26:27]
	v_add_u32_e32 v41, v25, v6
	; wave barrier
	s_and_saveexec_b64 s[24:25], s[26:27]
	s_cbranch_execz .LBB62_43
; %bb.42:
	v_bcnt_u32_b32 v4, v4, 0
	v_bcnt_u32_b32 v4, v5, v4
	s_waitcnt lgkmcnt(0)
	v_add_u32_e32 v4, v51, v4
	ds_write_b32 v41, v4 offset:16
.LBB62_43:
	s_or_b64 exec, exec, s[24:25]
	v_xor_b32_sdwa v7, v7, s28 dst_sel:DWORD dst_unused:UNUSED_PAD src0_sel:WORD_1 src1_sel:DWORD
	v_lshrrev_b32_sdwa v4, s68, v7 dst_sel:DWORD dst_unused:UNUSED_PAD src0_sel:DWORD src1_sel:WORD_0
	v_and_b32_e32 v5, s74, v4
	v_mad_u32_u24 v4, v5, 20, v25
	; wave barrier
	ds_read_b32 v53, v4 offset:16
	v_and_b32_e32 v4, 1, v5
	v_add_co_u32_e64 v42, s[24:25], -1, v4
	v_addc_co_u32_e64 v43, s[24:25], 0, -1, s[24:25]
	v_cmp_ne_u32_e64 s[24:25], 0, v4
	v_xor_b32_e32 v4, s25, v43
	v_and_b32_e32 v43, exec_hi, v4
	v_lshlrev_b32_e32 v4, 30, v5
	v_xor_b32_e32 v42, s24, v42
	v_cmp_gt_i64_e64 s[24:25], 0, v[3:4]
	v_not_b32_e32 v4, v4
	v_ashrrev_i32_e32 v4, 31, v4
	v_and_b32_e32 v42, exec_lo, v42
	v_xor_b32_e32 v44, s25, v4
	v_xor_b32_e32 v4, s24, v4
	v_and_b32_e32 v42, v42, v4
	v_lshlrev_b32_e32 v4, 29, v5
	v_cmp_gt_i64_e64 s[24:25], 0, v[3:4]
	v_not_b32_e32 v4, v4
	v_ashrrev_i32_e32 v4, 31, v4
	v_and_b32_e32 v43, v43, v44
	v_xor_b32_e32 v44, s25, v4
	v_xor_b32_e32 v4, s24, v4
	v_and_b32_e32 v42, v42, v4
	v_lshlrev_b32_e32 v4, 28, v5
	v_cmp_gt_i64_e64 s[24:25], 0, v[3:4]
	v_not_b32_e32 v4, v4
	v_ashrrev_i32_e32 v4, 31, v4
	v_and_b32_e32 v43, v43, v44
	;; [unrolled: 8-line block ×5, first 2 shown]
	v_xor_b32_e32 v44, s25, v4
	v_xor_b32_e32 v4, s24, v4
	v_and_b32_e32 v42, v42, v4
	v_lshlrev_b32_e32 v4, 24, v5
	v_cmp_gt_i64_e64 s[24:25], 0, v[3:4]
	v_not_b32_e32 v3, v4
	v_ashrrev_i32_e32 v3, 31, v3
	v_xor_b32_e32 v4, s25, v3
	v_xor_b32_e32 v3, s24, v3
	v_and_b32_e32 v43, v43, v44
	v_and_b32_e32 v3, v42, v3
	v_mul_u32_u24_e32 v6, 20, v5
	v_and_b32_e32 v4, v43, v4
	v_mbcnt_lo_u32_b32 v5, v3, 0
	v_mbcnt_hi_u32_b32 v55, v4, v5
	v_cmp_ne_u64_e64 s[24:25], 0, v[3:4]
	v_cmp_eq_u32_e64 s[26:27], 0, v55
	s_and_b64 s[26:27], s[24:25], s[26:27]
	v_add_u32_e32 v42, v25, v6
	; wave barrier
	s_and_saveexec_b64 s[24:25], s[26:27]
	s_cbranch_execz .LBB62_45
; %bb.44:
	v_bcnt_u32_b32 v3, v3, 0
	v_bcnt_u32_b32 v3, v4, v3
	s_waitcnt lgkmcnt(0)
	v_add_u32_e32 v3, v53, v3
	ds_write_b32 v42, v3 offset:16
.LBB62_45:
	s_or_b64 exec, exec, s[24:25]
	v_xor_b32_e32 v54, 0x7fff, v8
	v_lshrrev_b32_sdwa v3, s68, v54 dst_sel:DWORD dst_unused:UNUSED_PAD src0_sel:DWORD src1_sel:WORD_0
	v_and_b32_e32 v5, s74, v3
	v_and_b32_e32 v4, 1, v5
	v_add_co_u32_e64 v43, s[24:25], -1, v4
	v_addc_co_u32_e64 v44, s[24:25], 0, -1, s[24:25]
	v_cmp_ne_u32_e64 s[24:25], 0, v4
	v_mad_u32_u24 v3, v5, 20, v25
	v_xor_b32_e32 v4, s25, v44
	; wave barrier
	ds_read_b32 v56, v3 offset:16
	v_mov_b32_e32 v3, 0
	v_and_b32_e32 v44, exec_hi, v4
	v_lshlrev_b32_e32 v4, 30, v5
	v_xor_b32_e32 v43, s24, v43
	v_cmp_gt_i64_e64 s[24:25], 0, v[3:4]
	v_not_b32_e32 v4, v4
	v_ashrrev_i32_e32 v4, 31, v4
	v_and_b32_e32 v43, exec_lo, v43
	v_xor_b32_e32 v57, s25, v4
	v_xor_b32_e32 v4, s24, v4
	v_and_b32_e32 v43, v43, v4
	v_lshlrev_b32_e32 v4, 29, v5
	v_cmp_gt_i64_e64 s[24:25], 0, v[3:4]
	v_not_b32_e32 v4, v4
	v_ashrrev_i32_e32 v4, 31, v4
	v_and_b32_e32 v44, v44, v57
	v_xor_b32_e32 v57, s25, v4
	v_xor_b32_e32 v4, s24, v4
	v_and_b32_e32 v43, v43, v4
	v_lshlrev_b32_e32 v4, 28, v5
	v_cmp_gt_i64_e64 s[24:25], 0, v[3:4]
	v_not_b32_e32 v4, v4
	v_ashrrev_i32_e32 v4, 31, v4
	v_and_b32_e32 v44, v44, v57
	;; [unrolled: 8-line block ×5, first 2 shown]
	v_xor_b32_e32 v57, s25, v4
	v_xor_b32_e32 v4, s24, v4
	v_and_b32_e32 v43, v43, v4
	v_lshlrev_b32_e32 v4, 24, v5
	v_cmp_gt_i64_e64 s[24:25], 0, v[3:4]
	v_not_b32_e32 v4, v4
	v_ashrrev_i32_e32 v4, 31, v4
	v_mul_u32_u24_e32 v6, 20, v5
	v_xor_b32_e32 v5, s25, v4
	v_xor_b32_e32 v4, s24, v4
	v_and_b32_e32 v44, v44, v57
	v_and_b32_e32 v4, v43, v4
	;; [unrolled: 1-line block ×3, first 2 shown]
	v_mbcnt_lo_u32_b32 v43, v4, 0
	v_mbcnt_hi_u32_b32 v57, v5, v43
	v_cmp_ne_u64_e64 s[24:25], 0, v[4:5]
	v_cmp_eq_u32_e64 s[26:27], 0, v57
	s_and_b64 s[26:27], s[24:25], s[26:27]
	v_add_u32_e32 v43, v25, v6
	; wave barrier
	s_and_saveexec_b64 s[24:25], s[26:27]
	s_cbranch_execz .LBB62_47
; %bb.46:
	v_bcnt_u32_b32 v4, v4, 0
	v_bcnt_u32_b32 v4, v5, v4
	s_waitcnt lgkmcnt(0)
	v_add_u32_e32 v4, v56, v4
	ds_write_b32 v43, v4 offset:16
.LBB62_47:
	s_or_b64 exec, exec, s[24:25]
	v_xor_b32_sdwa v8, v8, s28 dst_sel:DWORD dst_unused:UNUSED_PAD src0_sel:WORD_1 src1_sel:DWORD
	v_lshrrev_b32_sdwa v4, s68, v8 dst_sel:DWORD dst_unused:UNUSED_PAD src0_sel:DWORD src1_sel:WORD_0
	v_and_b32_e32 v5, s74, v4
	v_mad_u32_u24 v4, v5, 20, v25
	; wave barrier
	ds_read_b32 v58, v4 offset:16
	v_and_b32_e32 v4, 1, v5
	v_add_co_u32_e64 v44, s[24:25], -1, v4
	v_addc_co_u32_e64 v59, s[24:25], 0, -1, s[24:25]
	v_cmp_ne_u32_e64 s[24:25], 0, v4
	v_xor_b32_e32 v4, s25, v59
	v_and_b32_e32 v59, exec_hi, v4
	v_lshlrev_b32_e32 v4, 30, v5
	v_xor_b32_e32 v44, s24, v44
	v_cmp_gt_i64_e64 s[24:25], 0, v[3:4]
	v_not_b32_e32 v4, v4
	v_ashrrev_i32_e32 v4, 31, v4
	v_and_b32_e32 v44, exec_lo, v44
	v_xor_b32_e32 v60, s25, v4
	v_xor_b32_e32 v4, s24, v4
	v_and_b32_e32 v44, v44, v4
	v_lshlrev_b32_e32 v4, 29, v5
	v_cmp_gt_i64_e64 s[24:25], 0, v[3:4]
	v_not_b32_e32 v4, v4
	v_ashrrev_i32_e32 v4, 31, v4
	v_and_b32_e32 v59, v59, v60
	v_xor_b32_e32 v60, s25, v4
	v_xor_b32_e32 v4, s24, v4
	v_and_b32_e32 v44, v44, v4
	v_lshlrev_b32_e32 v4, 28, v5
	v_cmp_gt_i64_e64 s[24:25], 0, v[3:4]
	v_not_b32_e32 v4, v4
	v_ashrrev_i32_e32 v4, 31, v4
	v_and_b32_e32 v59, v59, v60
	;; [unrolled: 8-line block ×5, first 2 shown]
	v_xor_b32_e32 v60, s25, v4
	v_xor_b32_e32 v4, s24, v4
	v_and_b32_e32 v44, v44, v4
	v_lshlrev_b32_e32 v4, 24, v5
	v_cmp_gt_i64_e64 s[24:25], 0, v[3:4]
	v_not_b32_e32 v3, v4
	v_ashrrev_i32_e32 v3, 31, v3
	v_xor_b32_e32 v4, s25, v3
	v_xor_b32_e32 v3, s24, v3
	v_and_b32_e32 v59, v59, v60
	v_and_b32_e32 v3, v44, v3
	v_mul_u32_u24_e32 v6, 20, v5
	v_and_b32_e32 v4, v59, v4
	v_mbcnt_lo_u32_b32 v5, v3, 0
	v_mbcnt_hi_u32_b32 v59, v4, v5
	v_cmp_ne_u64_e64 s[24:25], 0, v[3:4]
	v_cmp_eq_u32_e64 s[26:27], 0, v59
	s_and_b64 s[26:27], s[24:25], s[26:27]
	v_add_u32_e32 v25, v25, v6
	; wave barrier
	s_and_saveexec_b64 s[24:25], s[26:27]
	s_cbranch_execz .LBB62_49
; %bb.48:
	v_bcnt_u32_b32 v3, v3, 0
	v_bcnt_u32_b32 v3, v4, v3
	s_waitcnt lgkmcnt(0)
	v_add_u32_e32 v3, v58, v3
	ds_write_b32 v25, v3 offset:16
.LBB62_49:
	s_or_b64 exec, exec, s[24:25]
	; wave barrier
	s_waitcnt lgkmcnt(0)
	s_barrier
	ds_read2_b32 v[5:6], v16 offset0:4 offset1:5
	ds_read2_b32 v[3:4], v16 offset0:6 offset1:7
	ds_read_b32 v44, v16 offset:32
	v_min_u32_e32 v15, 0xc0, v15
	v_or_b32_e32 v15, 63, v15
	s_waitcnt lgkmcnt(1)
	v_add3_u32 v60, v6, v5, v3
	s_waitcnt lgkmcnt(0)
	v_add3_u32 v44, v60, v4, v44
	v_and_b32_e32 v60, 15, v13
	v_cmp_ne_u32_e64 s[24:25], 0, v60
	v_mov_b32_dpp v61, v44 row_shr:1 row_mask:0xf bank_mask:0xf
	v_cndmask_b32_e64 v61, 0, v61, s[24:25]
	v_add_u32_e32 v44, v61, v44
	v_cmp_lt_u32_e64 s[24:25], 1, v60
	s_nop 0
	v_mov_b32_dpp v61, v44 row_shr:2 row_mask:0xf bank_mask:0xf
	v_cndmask_b32_e64 v61, 0, v61, s[24:25]
	v_add_u32_e32 v44, v44, v61
	v_cmp_lt_u32_e64 s[24:25], 3, v60
	s_nop 0
	v_mov_b32_dpp v61, v44 row_shr:4 row_mask:0xf bank_mask:0xf
	v_cndmask_b32_e64 v61, 0, v61, s[24:25]
	v_add_u32_e32 v44, v44, v61
	v_cmp_lt_u32_e64 s[24:25], 7, v60
	s_nop 0
	v_mov_b32_dpp v61, v44 row_shr:8 row_mask:0xf bank_mask:0xf
	v_cndmask_b32_e64 v60, 0, v61, s[24:25]
	v_add_u32_e32 v44, v44, v60
	v_bfe_i32 v61, v13, 4, 1
	v_cmp_lt_u32_e64 s[24:25], 31, v13
	v_mov_b32_dpp v60, v44 row_bcast:15 row_mask:0xf bank_mask:0xf
	v_and_b32_e32 v60, v61, v60
	v_add_u32_e32 v44, v44, v60
	s_nop 1
	v_mov_b32_dpp v60, v44 row_bcast:31 row_mask:0xf bank_mask:0xf
	v_cndmask_b32_e64 v60, 0, v60, s[24:25]
	v_add_u32_e32 v44, v44, v60
	v_lshrrev_b32_e32 v60, 6, v0
	v_cmp_eq_u32_e64 s[24:25], v0, v15
	s_and_saveexec_b64 s[26:27], s[24:25]
; %bb.50:
	v_lshlrev_b32_e32 v15, 2, v60
	ds_write_b32 v15, v44
; %bb.51:
	s_or_b64 exec, exec, s[26:27]
	v_cmp_gt_u32_e64 s[24:25], 4, v0
	s_waitcnt lgkmcnt(0)
	s_barrier
	s_and_saveexec_b64 s[26:27], s[24:25]
	s_cbranch_execz .LBB62_53
; %bb.52:
	v_lshlrev_b32_e32 v15, 2, v0
	ds_read_b32 v61, v15
	v_and_b32_e32 v62, 3, v13
	v_cmp_ne_u32_e64 s[24:25], 0, v62
	s_waitcnt lgkmcnt(0)
	v_mov_b32_dpp v63, v61 row_shr:1 row_mask:0xf bank_mask:0xf
	v_cndmask_b32_e64 v63, 0, v63, s[24:25]
	v_add_u32_e32 v61, v63, v61
	v_cmp_lt_u32_e64 s[24:25], 1, v62
	s_nop 0
	v_mov_b32_dpp v63, v61 row_shr:2 row_mask:0xf bank_mask:0xf
	v_cndmask_b32_e64 v62, 0, v63, s[24:25]
	v_add_u32_e32 v61, v61, v62
	ds_write_b32 v15, v61
.LBB62_53:
	s_or_b64 exec, exec, s[26:27]
	v_cmp_lt_u32_e64 s[24:25], 63, v0
	v_mov_b32_e32 v15, 0
	s_waitcnt lgkmcnt(0)
	s_barrier
	s_and_saveexec_b64 s[26:27], s[24:25]
; %bb.54:
	v_lshl_add_u32 v15, v60, 2, -4
	ds_read_b32 v15, v15
; %bb.55:
	s_or_b64 exec, exec, s[26:27]
	v_add_u32_e32 v60, -1, v13
	v_and_b32_e32 v61, 64, v13
	v_cmp_lt_i32_e64 s[24:25], v60, v61
	v_cndmask_b32_e64 v60, v60, v13, s[24:25]
	s_waitcnt lgkmcnt(0)
	v_add_u32_e32 v44, v15, v44
	v_lshlrev_b32_e32 v60, 2, v60
	ds_bpermute_b32 v44, v60, v44
	v_cmp_eq_u32_e64 s[24:25], 0, v13
	s_waitcnt lgkmcnt(0)
	v_cndmask_b32_e64 v15, v44, v15, s[24:25]
	v_cmp_ne_u32_e64 s[24:25], 0, v0
	v_cndmask_b32_e64 v15, 0, v15, s[24:25]
	v_add_u32_e32 v5, v15, v5
	v_add_u32_e32 v6, v5, v6
	;; [unrolled: 1-line block ×4, first 2 shown]
	ds_write2_b32 v16, v15, v5 offset0:4 offset1:5
	ds_write2_b32 v16, v6, v3 offset0:6 offset1:7
	ds_write_b32 v16, v4 offset:32
	s_waitcnt lgkmcnt(0)
	s_barrier
	ds_read_b32 v4, v20 offset:16
	ds_read_b32 v5, v24 offset:16
	;; [unrolled: 1-line block ×13, first 2 shown]
	v_add_u32_e32 v16, 1, v0
	s_movk_i32 s24, 0x100
	v_cmp_ne_u32_e64 s[24:25], s24, v16
	v_mov_b32_e32 v3, 0xc00
	s_and_saveexec_b64 s[26:27], s[24:25]
; %bb.56:
	v_mul_u32_u24_e32 v3, 20, v16
	ds_read_b32 v3, v3 offset:16
; %bb.57:
	s_or_b64 exec, exec, s[26:27]
	s_waitcnt lgkmcnt(12)
	v_add_u32_e32 v44, v4, v18
	s_waitcnt lgkmcnt(11)
	v_add3_u32 v43, v21, v19, v5
	v_lshlrev_b32_e32 v4, 1, v44
	s_waitcnt lgkmcnt(10)
	v_add3_u32 v42, v26, v23, v6
	s_waitcnt lgkmcnt(0)
	s_barrier
	ds_write_b16 v4, v12 offset:2048
	v_lshlrev_b32_e32 v4, 1, v43
	v_add3_u32 v41, v32, v27, v15
	ds_write_b16 v4, v17 offset:2048
	v_lshlrev_b32_e32 v4, 1, v42
	v_add3_u32 v40, v34, v33, v20
	;; [unrolled: 3-line block ×9, first 2 shown]
	ds_write_b16 v4, v7 offset:2048
	v_lshlrev_b32_e32 v4, 1, v34
	ds_write_b16 v4, v54 offset:2048
	v_lshlrev_b32_e32 v4, 1, v33
	ds_write_b16 v4, v8 offset:2048
	v_sub_u32_e32 v31, v3, v30
	v_lshl_or_b32 v3, s6, 8, v0
	v_mov_b32_e32 v4, 0
	v_lshlrev_b64 v[5:6], 2, v[3:4]
	v_mov_b32_e32 v9, s73
	v_add_co_u32_e64 v5, s[24:25], s72, v5
	v_addc_co_u32_e64 v6, s[24:25], v9, v6, s[24:25]
	v_or_b32_e32 v3, 2.0, v31
	s_mov_b64 s[26:27], 0
	s_brev_b32 s34, -4
	s_mov_b32 s35, s7
	v_mov_b32_e32 v10, 0
	s_waitcnt lgkmcnt(0)
	s_barrier
	global_store_dword v[5:6], v3, off
                                        ; implicit-def: $sgpr24_sgpr25
	s_branch .LBB62_60
.LBB62_58:                              ;   in Loop: Header=BB62_60 Depth=1
	s_or_b64 exec, exec, s[30:31]
.LBB62_59:                              ;   in Loop: Header=BB62_60 Depth=1
	s_or_b64 exec, exec, s[28:29]
	v_and_b32_e32 v7, 0x3fffffff, v3
	v_add_u32_e32 v10, v7, v10
	v_cmp_gt_i32_e64 s[24:25], -2.0, v3
	s_and_b64 s[28:29], exec, s[24:25]
	s_or_b64 s[26:27], s[28:29], s[26:27]
	s_andn2_b64 exec, exec, s[26:27]
	s_cbranch_execz .LBB62_65
.LBB62_60:                              ; =>This Loop Header: Depth=1
                                        ;     Child Loop BB62_63 Depth 2
	s_or_b64 s[24:25], s[24:25], exec
	s_cmp_eq_u32 s35, 0
	s_cbranch_scc1 .LBB62_64
; %bb.61:                               ;   in Loop: Header=BB62_60 Depth=1
	s_add_i32 s35, s35, -1
	v_lshl_or_b32 v3, s35, 8, v0
	v_lshlrev_b64 v[7:8], 2, v[3:4]
	v_add_co_u32_e64 v7, s[24:25], s72, v7
	v_addc_co_u32_e64 v8, s[24:25], v9, v8, s[24:25]
	global_load_dword v3, v[7:8], off glc
	s_waitcnt vmcnt(0)
	v_cmp_gt_u32_e64 s[24:25], 2.0, v3
	s_and_saveexec_b64 s[28:29], s[24:25]
	s_cbranch_execz .LBB62_59
; %bb.62:                               ;   in Loop: Header=BB62_60 Depth=1
	s_mov_b64 s[30:31], 0
.LBB62_63:                              ;   Parent Loop BB62_60 Depth=1
                                        ; =>  This Inner Loop Header: Depth=2
	global_load_dword v3, v[7:8], off glc
	s_waitcnt vmcnt(0)
	v_cmp_lt_u32_e64 s[24:25], s34, v3
	s_or_b64 s[30:31], s[24:25], s[30:31]
	s_andn2_b64 exec, exec, s[30:31]
	s_cbranch_execnz .LBB62_63
	s_branch .LBB62_58
.LBB62_64:                              ;   in Loop: Header=BB62_60 Depth=1
                                        ; implicit-def: $sgpr35
	s_and_b64 s[28:29], exec, s[24:25]
	s_or_b64 s[26:27], s[28:29], s[26:27]
	s_andn2_b64 exec, exec, s[26:27]
	s_cbranch_execnz .LBB62_60
.LBB62_65:
	s_or_b64 exec, exec, s[26:27]
	v_add_u32_e32 v3, v10, v31
	v_or_b32_e32 v3, 0x80000000, v3
	v_lshlrev_b32_e32 v32, 3, v0
	global_store_dword v[5:6], v3, off
	global_load_dwordx2 v[3:4], v32, s[64:65]
	v_sub_co_u32_e64 v5, s[24:25], v10, v30
	v_subb_co_u32_e64 v6, s[24:25], 0, 0, s[24:25]
	s_waitcnt vmcnt(0)
	v_add_co_u32_e64 v3, s[24:25], v5, v3
	v_addc_co_u32_e64 v4, s[24:25], v6, v4, s[24:25]
	v_cmp_gt_u32_e64 s[24:25], s70, v0
	ds_write_b64 v32, v[3:4]
	s_waitcnt lgkmcnt(0)
	s_barrier
	s_and_saveexec_b64 s[28:29], s[24:25]
	s_cbranch_execz .LBB62_67
; %bb.66:
	v_mad_i32_i24 v3, v0, -6, v32
	ds_read_u16 v5, v3 offset:2048
	v_mov_b32_e32 v6, s59
	v_lshlrev_b32_e32 v7, 1, v0
	s_waitcnt lgkmcnt(0)
	v_lshrrev_b32_sdwa v3, s68, v5 dst_sel:DWORD dst_unused:UNUSED_PAD src0_sel:DWORD src1_sel:WORD_0
	v_and_b32_e32 v3, s74, v3
	v_lshlrev_b32_e32 v3, 3, v3
	ds_read_b64 v[3:4], v3
	v_xor_b32_e32 v5, 0x7fff, v5
	s_waitcnt lgkmcnt(0)
	v_lshlrev_b64 v[3:4], 1, v[3:4]
	v_add_co_u32_e64 v3, s[26:27], s58, v3
	v_addc_co_u32_e64 v4, s[26:27], v6, v4, s[26:27]
	v_add_co_u32_e64 v3, s[26:27], v3, v7
	v_addc_co_u32_e64 v4, s[26:27], 0, v4, s[26:27]
	global_store_short v[3:4], v5, off
.LBB62_67:
	s_or_b64 exec, exec, s[28:29]
	v_or_b32_e32 v3, 0x100, v0
	v_cmp_gt_u32_e64 s[26:27], s70, v3
	s_and_saveexec_b64 s[30:31], s[26:27]
	s_cbranch_execz .LBB62_69
; %bb.68:
	v_mad_i32_i24 v3, v0, -6, v32
	ds_read_u16 v5, v3 offset:2560
	v_mov_b32_e32 v6, s59
	v_lshlrev_b32_e32 v7, 1, v0
	s_waitcnt lgkmcnt(0)
	v_lshrrev_b32_sdwa v3, s68, v5 dst_sel:DWORD dst_unused:UNUSED_PAD src0_sel:DWORD src1_sel:WORD_0
	v_and_b32_e32 v3, s74, v3
	v_lshlrev_b32_e32 v3, 3, v3
	ds_read_b64 v[3:4], v3
	v_xor_b32_e32 v5, 0x7fff, v5
	s_waitcnt lgkmcnt(0)
	v_lshlrev_b64 v[3:4], 1, v[3:4]
	v_add_co_u32_e64 v3, s[28:29], s58, v3
	v_addc_co_u32_e64 v4, s[28:29], v6, v4, s[28:29]
	v_add_co_u32_e64 v3, s[28:29], v3, v7
	v_addc_co_u32_e64 v4, s[28:29], 0, v4, s[28:29]
	global_store_short v[3:4], v5, off offset:512
.LBB62_69:
	s_or_b64 exec, exec, s[30:31]
	v_or_b32_e32 v45, 0x200, v0
	v_cmp_gt_u32_e64 s[28:29], s70, v45
	s_and_saveexec_b64 s[34:35], s[28:29]
	s_cbranch_execz .LBB62_71
; %bb.70:
	v_mad_i32_i24 v3, v0, -6, v32
	ds_read_u16 v5, v3 offset:3072
	v_mov_b32_e32 v6, s59
	v_lshlrev_b32_e32 v7, 1, v0
	s_waitcnt lgkmcnt(0)
	v_lshrrev_b32_sdwa v3, s68, v5 dst_sel:DWORD dst_unused:UNUSED_PAD src0_sel:DWORD src1_sel:WORD_0
	v_and_b32_e32 v3, s74, v3
	v_lshlrev_b32_e32 v3, 3, v3
	ds_read_b64 v[3:4], v3
	v_xor_b32_e32 v5, 0x7fff, v5
	s_waitcnt lgkmcnt(0)
	v_lshlrev_b64 v[3:4], 1, v[3:4]
	v_add_co_u32_e64 v3, s[30:31], s58, v3
	v_addc_co_u32_e64 v4, s[30:31], v6, v4, s[30:31]
	v_add_co_u32_e64 v3, s[30:31], v3, v7
	v_addc_co_u32_e64 v4, s[30:31], 0, v4, s[30:31]
	global_store_short v[3:4], v5, off offset:1024
.LBB62_71:
	;; [unrolled: 24-line block ×6, first 2 shown]
	s_or_b64 exec, exec, s[42:43]
	v_or_b32_e32 v50, 0x700, v0
	v_cmp_gt_u32_e64 s[40:41], s70, v50
	s_and_saveexec_b64 s[44:45], s[40:41]
	s_cbranch_execz .LBB62_81
; %bb.80:
	v_lshlrev_b32_e32 v5, 1, v0
	ds_read_u16 v6, v5 offset:5632
	v_mov_b32_e32 v7, s59
	s_waitcnt lgkmcnt(0)
	v_lshrrev_b32_sdwa v3, s68, v6 dst_sel:DWORD dst_unused:UNUSED_PAD src0_sel:DWORD src1_sel:WORD_0
	v_and_b32_e32 v3, s74, v3
	v_lshlrev_b32_e32 v3, 3, v3
	ds_read_b64 v[3:4], v3
	v_xor_b32_e32 v6, 0x7fff, v6
	s_waitcnt lgkmcnt(0)
	v_lshlrev_b64 v[3:4], 1, v[3:4]
	v_add_co_u32_e64 v3, s[42:43], s58, v3
	v_addc_co_u32_e64 v4, s[42:43], v7, v4, s[42:43]
	v_add_co_u32_e64 v3, s[42:43], v3, v5
	v_addc_co_u32_e64 v4, s[42:43], 0, v4, s[42:43]
	global_store_short v[3:4], v6, off offset:3584
.LBB62_81:
	s_or_b64 exec, exec, s[44:45]
	v_or_b32_e32 v51, 0x800, v0
	v_cmp_gt_u32_e64 s[42:43], s70, v51
	s_and_saveexec_b64 s[46:47], s[42:43]
	s_cbranch_execz .LBB62_83
; %bb.82:
	v_lshlrev_b32_e32 v3, 1, v0
	ds_read_u16 v5, v3 offset:6144
	v_mov_b32_e32 v6, s59
	v_lshlrev_b32_e32 v7, 1, v51
	s_waitcnt lgkmcnt(0)
	v_lshrrev_b32_sdwa v3, s68, v5 dst_sel:DWORD dst_unused:UNUSED_PAD src0_sel:DWORD src1_sel:WORD_0
	v_and_b32_e32 v3, s74, v3
	v_lshlrev_b32_e32 v3, 3, v3
	ds_read_b64 v[3:4], v3
	v_xor_b32_e32 v5, 0x7fff, v5
	s_waitcnt lgkmcnt(0)
	v_lshlrev_b64 v[3:4], 1, v[3:4]
	v_add_co_u32_e64 v3, s[44:45], s58, v3
	v_addc_co_u32_e64 v4, s[44:45], v6, v4, s[44:45]
	v_add_co_u32_e64 v3, s[44:45], v3, v7
	v_addc_co_u32_e64 v4, s[44:45], 0, v4, s[44:45]
	global_store_short v[3:4], v5, off
.LBB62_83:
	s_or_b64 exec, exec, s[46:47]
	v_or_b32_e32 v52, 0x900, v0
	v_cmp_gt_u32_e64 s[44:45], s70, v52
	s_and_saveexec_b64 s[48:49], s[44:45]
	s_cbranch_execz .LBB62_85
; %bb.84:
	v_lshlrev_b32_e32 v3, 1, v0
	ds_read_u16 v5, v3 offset:6656
	v_mov_b32_e32 v6, s59
	v_lshlrev_b32_e32 v7, 1, v52
	s_waitcnt lgkmcnt(0)
	v_lshrrev_b32_sdwa v3, s68, v5 dst_sel:DWORD dst_unused:UNUSED_PAD src0_sel:DWORD src1_sel:WORD_0
	v_and_b32_e32 v3, s74, v3
	v_lshlrev_b32_e32 v3, 3, v3
	ds_read_b64 v[3:4], v3
	v_xor_b32_e32 v5, 0x7fff, v5
	s_waitcnt lgkmcnt(0)
	v_lshlrev_b64 v[3:4], 1, v[3:4]
	v_add_co_u32_e64 v3, s[46:47], s58, v3
	v_addc_co_u32_e64 v4, s[46:47], v6, v4, s[46:47]
	v_add_co_u32_e64 v3, s[46:47], v3, v7
	v_addc_co_u32_e64 v4, s[46:47], 0, v4, s[46:47]
	global_store_short v[3:4], v5, off
.LBB62_85:
	;; [unrolled: 24-line block ×4, first 2 shown]
	s_or_b64 exec, exec, s[70:71]
	s_lshl_b64 s[52:53], s[54:55], 3
	s_add_u32 s52, s60, s52
	s_addc_u32 s53, s61, s53
	v_lshlrev_b32_e32 v3, 3, v13
	v_mov_b32_e32 v4, s53
	v_add_co_u32_e64 v3, s[52:53], s52, v3
	v_addc_co_u32_e64 v4, s[52:53], 0, v4, s[52:53]
	v_lshlrev_b32_e32 v5, 3, v14
	v_add_co_u32_e64 v27, s[52:53], v3, v5
	v_addc_co_u32_e64 v28, s[52:53], 0, v4, s[52:53]
                                        ; implicit-def: $vgpr3_vgpr4
	s_and_saveexec_b64 s[52:53], vcc
	s_xor_b64 s[52:53], exec, s[52:53]
	s_cbranch_execz .LBB62_101
; %bb.90:
	global_load_dwordx2 v[3:4], v[27:28], off
	s_or_b64 exec, exec, s[52:53]
                                        ; implicit-def: $vgpr5_vgpr6
	s_and_saveexec_b64 s[52:53], s[0:1]
	s_cbranch_execnz .LBB62_102
.LBB62_91:
	s_or_b64 exec, exec, s[52:53]
                                        ; implicit-def: $vgpr7_vgpr8
	s_and_saveexec_b64 s[0:1], s[2:3]
	s_cbranch_execz .LBB62_103
.LBB62_92:
	global_load_dwordx2 v[7:8], v[27:28], off offset:1024
	s_or_b64 exec, exec, s[0:1]
                                        ; implicit-def: $vgpr9_vgpr10
	s_and_saveexec_b64 s[0:1], s[50:51]
	s_cbranch_execnz .LBB62_104
.LBB62_93:
	s_or_b64 exec, exec, s[0:1]
                                        ; implicit-def: $vgpr11_vgpr12
	s_and_saveexec_b64 s[0:1], s[8:9]
	s_cbranch_execz .LBB62_105
.LBB62_94:
	global_load_dwordx2 v[11:12], v[27:28], off offset:2048
	s_or_b64 exec, exec, s[0:1]
                                        ; implicit-def: $vgpr13_vgpr14
	s_and_saveexec_b64 s[0:1], s[10:11]
	s_cbranch_execnz .LBB62_106
.LBB62_95:
	s_or_b64 exec, exec, s[0:1]
                                        ; implicit-def: $vgpr15_vgpr16
	s_and_saveexec_b64 s[0:1], s[12:13]
	s_cbranch_execz .LBB62_107
.LBB62_96:
	global_load_dwordx2 v[15:16], v[27:28], off offset:3072
	s_or_b64 exec, exec, s[0:1]
                                        ; implicit-def: $vgpr17_vgpr18
	s_and_saveexec_b64 s[0:1], s[14:15]
	s_cbranch_execnz .LBB62_108
.LBB62_97:
	s_or_b64 exec, exec, s[0:1]
                                        ; implicit-def: $vgpr19_vgpr20
	s_and_saveexec_b64 s[0:1], s[16:17]
	s_cbranch_execz .LBB62_109
.LBB62_98:
	v_add_co_u32_e32 v19, vcc, 0x1000, v27
	v_addc_co_u32_e32 v20, vcc, 0, v28, vcc
	global_load_dwordx2 v[19:20], v[19:20], off
	s_or_b64 exec, exec, s[0:1]
                                        ; implicit-def: $vgpr21_vgpr22
	s_and_saveexec_b64 s[0:1], s[18:19]
	s_cbranch_execnz .LBB62_110
.LBB62_99:
	s_or_b64 exec, exec, s[0:1]
                                        ; implicit-def: $vgpr23_vgpr24
	s_and_saveexec_b64 s[0:1], s[20:21]
	s_cbranch_execz .LBB62_111
.LBB62_100:
	v_add_co_u32_e32 v23, vcc, 0x1000, v27
	v_addc_co_u32_e32 v24, vcc, 0, v28, vcc
	global_load_dwordx2 v[23:24], v[23:24], off offset:1024
	s_or_b64 exec, exec, s[0:1]
                                        ; implicit-def: $vgpr25_vgpr26
	s_and_saveexec_b64 s[0:1], s[22:23]
	s_cbranch_execnz .LBB62_112
	s_branch .LBB62_113
.LBB62_101:
	s_or_b64 exec, exec, s[52:53]
                                        ; implicit-def: $vgpr5_vgpr6
	s_and_saveexec_b64 s[52:53], s[0:1]
	s_cbranch_execz .LBB62_91
.LBB62_102:
	global_load_dwordx2 v[5:6], v[27:28], off offset:512
	s_or_b64 exec, exec, s[52:53]
                                        ; implicit-def: $vgpr7_vgpr8
	s_and_saveexec_b64 s[0:1], s[2:3]
	s_cbranch_execnz .LBB62_92
.LBB62_103:
	s_or_b64 exec, exec, s[0:1]
                                        ; implicit-def: $vgpr9_vgpr10
	s_and_saveexec_b64 s[0:1], s[50:51]
	s_cbranch_execz .LBB62_93
.LBB62_104:
	global_load_dwordx2 v[9:10], v[27:28], off offset:1536
	s_or_b64 exec, exec, s[0:1]
                                        ; implicit-def: $vgpr11_vgpr12
	s_and_saveexec_b64 s[0:1], s[8:9]
	s_cbranch_execnz .LBB62_94
.LBB62_105:
	s_or_b64 exec, exec, s[0:1]
                                        ; implicit-def: $vgpr13_vgpr14
	s_and_saveexec_b64 s[0:1], s[10:11]
	s_cbranch_execz .LBB62_95
.LBB62_106:
	global_load_dwordx2 v[13:14], v[27:28], off offset:2560
	s_or_b64 exec, exec, s[0:1]
                                        ; implicit-def: $vgpr15_vgpr16
	s_and_saveexec_b64 s[0:1], s[12:13]
	s_cbranch_execnz .LBB62_96
.LBB62_107:
	s_or_b64 exec, exec, s[0:1]
                                        ; implicit-def: $vgpr17_vgpr18
	s_and_saveexec_b64 s[0:1], s[14:15]
	s_cbranch_execz .LBB62_97
.LBB62_108:
	global_load_dwordx2 v[17:18], v[27:28], off offset:3584
	s_or_b64 exec, exec, s[0:1]
                                        ; implicit-def: $vgpr19_vgpr20
	s_and_saveexec_b64 s[0:1], s[16:17]
	s_cbranch_execnz .LBB62_98
.LBB62_109:
	s_or_b64 exec, exec, s[0:1]
                                        ; implicit-def: $vgpr21_vgpr22
	s_and_saveexec_b64 s[0:1], s[18:19]
	s_cbranch_execz .LBB62_99
.LBB62_110:
	v_add_co_u32_e32 v21, vcc, 0x1000, v27
	v_addc_co_u32_e32 v22, vcc, 0, v28, vcc
	global_load_dwordx2 v[21:22], v[21:22], off offset:512
	s_or_b64 exec, exec, s[0:1]
                                        ; implicit-def: $vgpr23_vgpr24
	s_and_saveexec_b64 s[0:1], s[20:21]
	s_cbranch_execnz .LBB62_100
.LBB62_111:
	s_or_b64 exec, exec, s[0:1]
                                        ; implicit-def: $vgpr25_vgpr26
	s_and_saveexec_b64 s[0:1], s[22:23]
	s_cbranch_execz .LBB62_113
.LBB62_112:
	v_add_co_u32_e32 v25, vcc, 0x1000, v27
	v_addc_co_u32_e32 v26, vcc, 0, v28, vcc
	global_load_dwordx2 v[25:26], v[25:26], off offset:1536
.LBB62_113:
	s_or_b64 exec, exec, s[0:1]
	v_mov_b32_e32 v62, 0
	v_mov_b32_e32 v64, 0
	s_and_saveexec_b64 s[0:1], s[24:25]
	s_cbranch_execz .LBB62_115
; %bb.114:
	v_lshlrev_b32_e32 v27, 1, v0
	ds_read_u16 v27, v27 offset:2048
	s_waitcnt lgkmcnt(0)
	v_lshrrev_b32_e32 v27, s68, v27
	v_and_b32_e32 v64, s74, v27
.LBB62_115:
	s_or_b64 exec, exec, s[0:1]
	s_and_saveexec_b64 s[0:1], s[26:27]
	s_cbranch_execz .LBB62_117
; %bb.116:
	v_lshlrev_b32_e32 v27, 1, v0
	ds_read_u16 v27, v27 offset:2560
	s_waitcnt lgkmcnt(0)
	v_lshrrev_b32_e32 v27, s68, v27
	v_and_b32_e32 v62, s74, v27
.LBB62_117:
	s_or_b64 exec, exec, s[0:1]
	v_mov_b32_e32 v60, 0
	v_mov_b32_e32 v63, 0
	s_and_saveexec_b64 s[0:1], s[28:29]
	s_cbranch_execz .LBB62_119
; %bb.118:
	v_lshlrev_b32_e32 v27, 1, v0
	ds_read_u16 v27, v27 offset:3072
	s_waitcnt lgkmcnt(0)
	v_lshrrev_b32_e32 v27, s68, v27
	v_and_b32_e32 v63, s74, v27
.LBB62_119:
	s_or_b64 exec, exec, s[0:1]
	s_and_saveexec_b64 s[0:1], s[30:31]
	s_cbranch_execz .LBB62_121
; %bb.120:
	v_lshlrev_b32_e32 v27, 1, v0
	ds_read_u16 v27, v27 offset:3584
	s_waitcnt lgkmcnt(0)
	v_lshrrev_b32_e32 v27, s68, v27
	v_and_b32_e32 v60, s74, v27
.LBB62_121:
	;; [unrolled: 22-line block ×6, first 2 shown]
	s_or_b64 exec, exec, s[0:1]
	v_lshlrev_b32_e32 v44, 3, v44
	s_waitcnt vmcnt(0)
	s_barrier
	ds_write_b64 v44, v[3:4] offset:2048
	v_lshlrev_b32_e32 v3, 3, v43
	ds_write_b64 v3, v[5:6] offset:2048
	v_lshlrev_b32_e32 v3, 3, v42
	;; [unrolled: 2-line block ×11, first 2 shown]
	ds_write_b64 v3, v[25:26] offset:2048
	s_waitcnt lgkmcnt(0)
	s_barrier
	s_and_saveexec_b64 s[0:1], s[24:25]
	s_cbranch_execz .LBB62_196
; %bb.138:
	v_lshlrev_b32_e32 v3, 3, v64
	ds_read_b64 v[3:4], v3
	ds_read_b64 v[5:6], v32 offset:2048
	v_mov_b32_e32 v7, s63
	s_waitcnt lgkmcnt(1)
	v_lshlrev_b64 v[3:4], 3, v[3:4]
	v_add_co_u32_e32 v3, vcc, s62, v3
	v_addc_co_u32_e32 v4, vcc, v7, v4, vcc
	v_add_co_u32_e32 v3, vcc, v3, v32
	v_addc_co_u32_e32 v4, vcc, 0, v4, vcc
	s_waitcnt lgkmcnt(0)
	global_store_dwordx2 v[3:4], v[5:6], off
	s_or_b64 exec, exec, s[0:1]
	s_and_saveexec_b64 s[0:1], s[26:27]
	s_cbranch_execnz .LBB62_197
.LBB62_139:
	s_or_b64 exec, exec, s[0:1]
	s_and_saveexec_b64 s[0:1], s[28:29]
	s_cbranch_execz .LBB62_198
.LBB62_140:
	v_lshlrev_b32_e32 v3, 3, v63
	ds_read_b64 v[3:4], v3
	ds_read_b64 v[5:6], v32 offset:6144
	v_mov_b32_e32 v7, s63
	s_waitcnt lgkmcnt(1)
	v_lshlrev_b64 v[3:4], 3, v[3:4]
	v_add_co_u32_e32 v3, vcc, s62, v3
	v_addc_co_u32_e32 v4, vcc, v7, v4, vcc
	v_lshlrev_b32_e32 v7, 3, v45
	v_add_co_u32_e32 v3, vcc, v3, v7
	v_addc_co_u32_e32 v4, vcc, 0, v4, vcc
	s_waitcnt lgkmcnt(0)
	global_store_dwordx2 v[3:4], v[5:6], off
	s_or_b64 exec, exec, s[0:1]
	s_and_saveexec_b64 s[0:1], s[30:31]
	s_cbranch_execnz .LBB62_199
.LBB62_141:
	s_or_b64 exec, exec, s[0:1]
	s_and_saveexec_b64 s[0:1], s[34:35]
	s_cbranch_execz .LBB62_200
.LBB62_142:
	v_lshlrev_b32_e32 v3, 3, v61
	ds_read_b64 v[3:4], v3
	ds_read_b64 v[5:6], v32 offset:10240
	v_mov_b32_e32 v7, s63
	s_waitcnt lgkmcnt(1)
	v_lshlrev_b64 v[3:4], 3, v[3:4]
	v_add_co_u32_e32 v3, vcc, s62, v3
	v_addc_co_u32_e32 v4, vcc, v7, v4, vcc
	v_lshlrev_b32_e32 v7, 3, v47
	v_add_co_u32_e32 v3, vcc, v3, v7
	v_addc_co_u32_e32 v4, vcc, 0, v4, vcc
	s_waitcnt lgkmcnt(0)
	global_store_dwordx2 v[3:4], v[5:6], off
	s_or_b64 exec, exec, s[0:1]
	s_and_saveexec_b64 s[0:1], s[36:37]
	s_cbranch_execnz .LBB62_201
.LBB62_143:
	s_or_b64 exec, exec, s[0:1]
	s_and_saveexec_b64 s[0:1], s[38:39]
	s_cbranch_execz .LBB62_202
.LBB62_144:
	v_lshlrev_b32_e32 v3, 3, v59
	ds_read_b64 v[3:4], v3
	ds_read_b64 v[5:6], v32 offset:14336
	v_mov_b32_e32 v7, s63
	s_waitcnt lgkmcnt(1)
	v_lshlrev_b64 v[3:4], 3, v[3:4]
	v_add_co_u32_e32 v3, vcc, s62, v3
	v_addc_co_u32_e32 v4, vcc, v7, v4, vcc
	v_lshlrev_b32_e32 v7, 3, v49
	v_add_co_u32_e32 v3, vcc, v3, v7
	v_addc_co_u32_e32 v4, vcc, 0, v4, vcc
	s_waitcnt lgkmcnt(0)
	global_store_dwordx2 v[3:4], v[5:6], off
	s_or_b64 exec, exec, s[0:1]
	s_and_saveexec_b64 s[0:1], s[40:41]
	s_cbranch_execnz .LBB62_203
.LBB62_145:
	s_or_b64 exec, exec, s[0:1]
	s_and_saveexec_b64 s[0:1], s[42:43]
	s_cbranch_execz .LBB62_204
.LBB62_146:
	v_lshlrev_b32_e32 v3, 3, v57
	ds_read_b64 v[3:4], v3
	ds_read_b64 v[5:6], v32 offset:18432
	v_mov_b32_e32 v7, s63
	s_waitcnt lgkmcnt(1)
	v_lshlrev_b64 v[3:4], 3, v[3:4]
	v_add_co_u32_e32 v3, vcc, s62, v3
	v_addc_co_u32_e32 v4, vcc, v7, v4, vcc
	v_lshlrev_b32_e32 v7, 3, v51
	v_add_co_u32_e32 v3, vcc, v3, v7
	v_addc_co_u32_e32 v4, vcc, 0, v4, vcc
	s_waitcnt lgkmcnt(0)
	global_store_dwordx2 v[3:4], v[5:6], off
	s_or_b64 exec, exec, s[0:1]
	s_and_saveexec_b64 s[0:1], s[44:45]
	s_cbranch_execnz .LBB62_205
.LBB62_147:
	s_or_b64 exec, exec, s[0:1]
	s_and_saveexec_b64 s[0:1], s[46:47]
	s_cbranch_execz .LBB62_206
.LBB62_148:
	v_lshlrev_b32_e32 v3, 3, v55
	ds_read_b64 v[3:4], v3
	ds_read_b64 v[5:6], v32 offset:22528
	v_mov_b32_e32 v7, s63
	s_waitcnt lgkmcnt(1)
	v_lshlrev_b64 v[3:4], 3, v[3:4]
	v_add_co_u32_e32 v3, vcc, s62, v3
	v_addc_co_u32_e32 v4, vcc, v7, v4, vcc
	v_lshlrev_b32_e32 v7, 3, v53
	v_add_co_u32_e32 v3, vcc, v3, v7
	v_addc_co_u32_e32 v4, vcc, 0, v4, vcc
	s_waitcnt lgkmcnt(0)
	global_store_dwordx2 v[3:4], v[5:6], off
	s_or_b64 exec, exec, s[0:1]
	s_and_saveexec_b64 s[0:1], s[48:49]
	s_cbranch_execnz .LBB62_207
.LBB62_149:
	s_or_b64 exec, exec, s[0:1]
	s_add_i32 s33, s33, -1
	s_cmp_eq_u32 s6, s33
	s_cbranch_scc0 .LBB62_151
.LBB62_150:
	ds_read_b64 v[3:4], v32
	v_add_co_u32_e32 v5, vcc, v31, v30
	v_addc_co_u32_e64 v6, s[0:1], 0, 0, vcc
	s_waitcnt lgkmcnt(0)
	v_add_co_u32_e32 v3, vcc, v5, v3
	v_addc_co_u32_e32 v4, vcc, v6, v4, vcc
	global_store_dwordx2 v32, v[3:4], s[66:67]
.LBB62_151:
	s_mov_b64 s[0:1], 0
.LBB62_152:
	s_and_b64 vcc, exec, s[0:1]
	s_cbranch_vccz .LBB62_195
; %bb.153:
	s_mov_b32 s55, 0
	s_lshl_b64 s[0:1], s[54:55], 1
	v_mbcnt_hi_u32_b32 v8, -1, v29
	s_add_u32 s0, s56, s0
	v_lshlrev_b32_e32 v4, 1, v8
	v_add_co_u32_e32 v4, vcc, s0, v4
	s_load_dword s8, s[4:5], 0x50
	s_load_dword s0, s[4:5], 0x5c
	s_addc_u32 s1, s57, s1
	v_and_b32_e32 v9, 0xc0, v0
	v_mul_u32_u24_e32 v7, 12, v9
	v_mov_b32_e32 v5, s1
	s_add_u32 s1, s4, 0x50
	v_addc_co_u32_e32 v5, vcc, 0, v5, vcc
	v_lshlrev_b32_e32 v6, 1, v7
	s_addc_u32 s2, s5, 0
	s_waitcnt lgkmcnt(0)
	s_lshr_b32 s3, s0, 16
	v_add_co_u32_e32 v4, vcc, v4, v6
	s_cmp_lt_u32 s6, s8
	v_addc_co_u32_e32 v5, vcc, 0, v5, vcc
	s_cselect_b32 s0, 12, 18
	global_load_ushort v10, v[4:5], off
	s_add_u32 s0, s1, s0
	v_mov_b32_e32 v3, 0
	s_addc_u32 s1, s2, 0
	global_load_ushort v12, v3, s[0:1]
	v_mul_u32_u24_e32 v6, 20, v0
	ds_write2_b32 v6, v3, v3 offset0:4 offset1:5
	ds_write2_b32 v6, v3, v3 offset0:6 offset1:7
	ds_write_b32 v6, v3 offset:32
	global_load_ushort v11, v[4:5], off offset:128
	global_load_ushort v15, v[4:5], off offset:256
	;; [unrolled: 1-line block ×11, first 2 shown]
	s_lshl_b32 s0, -1, s69
	v_mad_u32_u24 v1, v2, s3, v1
	s_not_b32 s9, s0
	s_waitcnt vmcnt(0) lgkmcnt(0)
	s_barrier
	; wave barrier
	v_xor_b32_e32 v5, 0x7fff, v10
	v_lshrrev_b32_sdwa v2, s68, v5 dst_sel:DWORD dst_unused:UNUSED_PAD src0_sel:DWORD src1_sel:WORD_0
	v_and_b32_e32 v13, s9, v2
	v_lshlrev_b32_e32 v4, 30, v13
	v_mad_u64_u32 v[1:2], s[0:1], v1, v12, v[0:1]
	v_and_b32_e32 v2, 1, v13
	v_add_co_u32_e32 v10, vcc, -1, v2
	v_addc_co_u32_e64 v12, s[0:1], 0, -1, vcc
	v_cmp_ne_u32_e32 vcc, 0, v2
	v_cmp_gt_i64_e64 s[0:1], 0, v[3:4]
	v_not_b32_e32 v2, v4
	v_lshlrev_b32_e32 v4, 29, v13
	v_xor_b32_e32 v12, vcc_hi, v12
	v_xor_b32_e32 v10, vcc_lo, v10
	v_ashrrev_i32_e32 v2, 31, v2
	v_cmp_gt_i64_e32 vcc, 0, v[3:4]
	v_not_b32_e32 v14, v4
	v_lshlrev_b32_e32 v4, 28, v13
	v_and_b32_e32 v12, exec_hi, v12
	v_and_b32_e32 v10, exec_lo, v10
	v_xor_b32_e32 v16, s1, v2
	v_xor_b32_e32 v2, s0, v2
	v_ashrrev_i32_e32 v14, 31, v14
	v_cmp_gt_i64_e64 s[0:1], 0, v[3:4]
	v_not_b32_e32 v17, v4
	v_lshlrev_b32_e32 v4, 27, v13
	v_lshrrev_b32_e32 v1, 6, v1
	v_and_b32_e32 v12, v12, v16
	v_and_b32_e32 v2, v10, v2
	v_xor_b32_e32 v10, vcc_hi, v14
	v_xor_b32_e32 v14, vcc_lo, v14
	v_ashrrev_i32_e32 v16, 31, v17
	v_cmp_gt_i64_e32 vcc, 0, v[3:4]
	v_not_b32_e32 v4, v4
	v_lshlrev_b32_e32 v20, 2, v1
	v_and_b32_e32 v1, v12, v10
	v_and_b32_e32 v2, v2, v14
	v_xor_b32_e32 v12, s1, v16
	v_xor_b32_e32 v14, s0, v16
	v_ashrrev_i32_e32 v4, 31, v4
	v_and_b32_e32 v1, v1, v12
	v_and_b32_e32 v2, v2, v14
	v_xor_b32_e32 v12, vcc_hi, v4
	v_xor_b32_e32 v4, vcc_lo, v4
	v_and_b32_e32 v2, v2, v4
	v_lshlrev_b32_e32 v4, 26, v13
	v_cmp_gt_i64_e32 vcc, 0, v[3:4]
	v_not_b32_e32 v4, v4
	v_ashrrev_i32_e32 v4, 31, v4
	v_and_b32_e32 v1, v1, v12
	v_xor_b32_e32 v12, vcc_hi, v4
	v_xor_b32_e32 v4, vcc_lo, v4
	v_and_b32_e32 v2, v2, v4
	v_lshlrev_b32_e32 v4, 25, v13
	v_cmp_gt_i64_e32 vcc, 0, v[3:4]
	v_not_b32_e32 v4, v4
	v_ashrrev_i32_e32 v4, 31, v4
	v_and_b32_e32 v1, v1, v12
	v_xor_b32_e32 v12, vcc_hi, v4
	v_xor_b32_e32 v4, vcc_lo, v4
	v_and_b32_e32 v1, v1, v12
	v_and_b32_e32 v12, v2, v4
	v_lshlrev_b32_e32 v4, 24, v13
	v_cmp_gt_i64_e32 vcc, 0, v[3:4]
	v_not_b32_e32 v2, v4
	v_ashrrev_i32_e32 v2, 31, v2
	v_mad_u32_u24 v10, v13, 20, v20
	v_xor_b32_e32 v4, vcc_hi, v2
	v_xor_b32_e32 v13, vcc_lo, v2
	v_and_b32_e32 v2, v1, v4
	v_and_b32_e32 v1, v12, v13
	v_mbcnt_lo_u32_b32 v4, v1, 0
	v_mbcnt_hi_u32_b32 v12, v2, v4
	v_cmp_ne_u64_e32 vcc, 0, v[1:2]
	v_cmp_eq_u32_e64 s[0:1], 0, v12
	s_and_b64 s[2:3], vcc, s[0:1]
	s_and_saveexec_b64 s[0:1], s[2:3]
; %bb.154:
	v_bcnt_u32_b32 v1, v1, 0
	v_bcnt_u32_b32 v1, v2, v1
	ds_write_b32 v10, v1 offset:16
; %bb.155:
	s_or_b64 exec, exec, s[0:1]
	v_xor_b32_e32 v11, 0x7fff, v11
	v_lshrrev_b32_sdwa v1, s68, v11 dst_sel:DWORD dst_unused:UNUSED_PAD src0_sel:DWORD src1_sel:WORD_0
	v_and_b32_e32 v1, s9, v1
	v_and_b32_e32 v2, 1, v1
	v_add_co_u32_e32 v4, vcc, -1, v2
	v_addc_co_u32_e64 v16, s[0:1], 0, -1, vcc
	v_cmp_ne_u32_e32 vcc, 0, v2
	v_xor_b32_e32 v4, vcc_lo, v4
	v_xor_b32_e32 v2, vcc_hi, v16
	v_and_b32_e32 v16, exec_lo, v4
	v_lshlrev_b32_e32 v4, 30, v1
	v_cmp_gt_i64_e32 vcc, 0, v[3:4]
	v_not_b32_e32 v4, v4
	v_ashrrev_i32_e32 v4, 31, v4
	v_xor_b32_e32 v17, vcc_hi, v4
	v_xor_b32_e32 v4, vcc_lo, v4
	v_and_b32_e32 v16, v16, v4
	v_lshlrev_b32_e32 v4, 29, v1
	v_cmp_gt_i64_e32 vcc, 0, v[3:4]
	v_not_b32_e32 v4, v4
	v_and_b32_e32 v2, exec_hi, v2
	v_ashrrev_i32_e32 v4, 31, v4
	v_and_b32_e32 v2, v2, v17
	v_xor_b32_e32 v17, vcc_hi, v4
	v_xor_b32_e32 v4, vcc_lo, v4
	v_and_b32_e32 v16, v16, v4
	v_lshlrev_b32_e32 v4, 28, v1
	v_cmp_gt_i64_e32 vcc, 0, v[3:4]
	v_not_b32_e32 v4, v4
	v_ashrrev_i32_e32 v4, 31, v4
	v_and_b32_e32 v2, v2, v17
	v_xor_b32_e32 v17, vcc_hi, v4
	v_xor_b32_e32 v4, vcc_lo, v4
	v_and_b32_e32 v16, v16, v4
	v_lshlrev_b32_e32 v4, 27, v1
	v_cmp_gt_i64_e32 vcc, 0, v[3:4]
	v_not_b32_e32 v4, v4
	;; [unrolled: 8-line block ×4, first 2 shown]
	v_ashrrev_i32_e32 v4, 31, v4
	v_and_b32_e32 v2, v2, v17
	v_xor_b32_e32 v17, vcc_hi, v4
	v_xor_b32_e32 v4, vcc_lo, v4
	v_and_b32_e32 v16, v16, v4
	v_lshlrev_b32_e32 v4, 24, v1
	v_mad_u32_u24 v14, v1, 20, v20
	v_cmp_gt_i64_e32 vcc, 0, v[3:4]
	v_not_b32_e32 v1, v4
	v_ashrrev_i32_e32 v1, 31, v1
	v_xor_b32_e32 v3, vcc_hi, v1
	v_xor_b32_e32 v1, vcc_lo, v1
	; wave barrier
	ds_read_b32 v13, v14 offset:16
	v_and_b32_e32 v2, v2, v17
	v_and_b32_e32 v1, v16, v1
	;; [unrolled: 1-line block ×3, first 2 shown]
	v_mbcnt_lo_u32_b32 v3, v1, 0
	v_mbcnt_hi_u32_b32 v16, v2, v3
	v_cmp_ne_u64_e32 vcc, 0, v[1:2]
	v_cmp_eq_u32_e64 s[0:1], 0, v16
	s_and_b64 s[2:3], vcc, s[0:1]
	; wave barrier
	s_and_saveexec_b64 s[0:1], s[2:3]
	s_cbranch_execz .LBB62_157
; %bb.156:
	v_bcnt_u32_b32 v1, v1, 0
	v_bcnt_u32_b32 v1, v2, v1
	s_waitcnt lgkmcnt(0)
	v_add_u32_e32 v1, v13, v1
	ds_write_b32 v14, v1 offset:16
.LBB62_157:
	s_or_b64 exec, exec, s[0:1]
	v_xor_b32_e32 v15, 0x7fff, v15
	v_lshrrev_b32_sdwa v1, s68, v15 dst_sel:DWORD dst_unused:UNUSED_PAD src0_sel:DWORD src1_sel:WORD_0
	v_and_b32_e32 v3, s9, v1
	v_and_b32_e32 v2, 1, v3
	v_add_co_u32_e32 v4, vcc, -1, v2
	v_addc_co_u32_e64 v22, s[0:1], 0, -1, vcc
	v_cmp_ne_u32_e32 vcc, 0, v2
	v_xor_b32_e32 v2, vcc_hi, v22
	v_mov_b32_e32 v1, 0
	v_and_b32_e32 v22, exec_hi, v2
	v_lshlrev_b32_e32 v2, 30, v3
	v_xor_b32_e32 v4, vcc_lo, v4
	v_cmp_gt_i64_e32 vcc, 0, v[1:2]
	v_not_b32_e32 v2, v2
	v_ashrrev_i32_e32 v2, 31, v2
	v_and_b32_e32 v4, exec_lo, v4
	v_xor_b32_e32 v23, vcc_hi, v2
	v_xor_b32_e32 v2, vcc_lo, v2
	v_and_b32_e32 v4, v4, v2
	v_lshlrev_b32_e32 v2, 29, v3
	v_cmp_gt_i64_e32 vcc, 0, v[1:2]
	v_not_b32_e32 v2, v2
	v_ashrrev_i32_e32 v2, 31, v2
	v_and_b32_e32 v22, v22, v23
	v_xor_b32_e32 v23, vcc_hi, v2
	v_xor_b32_e32 v2, vcc_lo, v2
	v_and_b32_e32 v4, v4, v2
	v_lshlrev_b32_e32 v2, 28, v3
	v_cmp_gt_i64_e32 vcc, 0, v[1:2]
	v_not_b32_e32 v2, v2
	v_ashrrev_i32_e32 v2, 31, v2
	v_and_b32_e32 v22, v22, v23
	;; [unrolled: 8-line block ×5, first 2 shown]
	v_xor_b32_e32 v23, vcc_hi, v2
	v_xor_b32_e32 v2, vcc_lo, v2
	v_and_b32_e32 v4, v4, v2
	v_lshlrev_b32_e32 v2, 24, v3
	v_cmp_gt_i64_e32 vcc, 0, v[1:2]
	v_not_b32_e32 v2, v2
	v_ashrrev_i32_e32 v2, 31, v2
	v_mad_u32_u24 v19, v3, 20, v20
	v_xor_b32_e32 v3, vcc_hi, v2
	v_xor_b32_e32 v2, vcc_lo, v2
	; wave barrier
	ds_read_b32 v17, v19 offset:16
	v_and_b32_e32 v22, v22, v23
	v_and_b32_e32 v2, v4, v2
	v_and_b32_e32 v3, v22, v3
	v_mbcnt_lo_u32_b32 v4, v2, 0
	v_mbcnt_hi_u32_b32 v22, v3, v4
	v_cmp_ne_u64_e32 vcc, 0, v[2:3]
	v_cmp_eq_u32_e64 s[0:1], 0, v22
	s_and_b64 s[2:3], vcc, s[0:1]
	; wave barrier
	s_and_saveexec_b64 s[0:1], s[2:3]
	s_cbranch_execz .LBB62_159
; %bb.158:
	v_bcnt_u32_b32 v2, v2, 0
	v_bcnt_u32_b32 v2, v3, v2
	s_waitcnt lgkmcnt(0)
	v_add_u32_e32 v2, v17, v2
	ds_write_b32 v19, v2 offset:16
.LBB62_159:
	s_or_b64 exec, exec, s[0:1]
	v_xor_b32_e32 v21, 0x7fff, v21
	v_lshrrev_b32_sdwa v2, s68, v21 dst_sel:DWORD dst_unused:UNUSED_PAD src0_sel:DWORD src1_sel:WORD_0
	v_and_b32_e32 v3, s9, v2
	v_and_b32_e32 v2, 1, v3
	v_add_co_u32_e32 v4, vcc, -1, v2
	v_addc_co_u32_e64 v27, s[0:1], 0, -1, vcc
	v_cmp_ne_u32_e32 vcc, 0, v2
	v_xor_b32_e32 v2, vcc_hi, v27
	v_and_b32_e32 v27, exec_hi, v2
	v_lshlrev_b32_e32 v2, 30, v3
	v_xor_b32_e32 v4, vcc_lo, v4
	v_cmp_gt_i64_e32 vcc, 0, v[1:2]
	v_not_b32_e32 v2, v2
	v_ashrrev_i32_e32 v2, 31, v2
	v_and_b32_e32 v4, exec_lo, v4
	v_xor_b32_e32 v28, vcc_hi, v2
	v_xor_b32_e32 v2, vcc_lo, v2
	v_and_b32_e32 v4, v4, v2
	v_lshlrev_b32_e32 v2, 29, v3
	v_cmp_gt_i64_e32 vcc, 0, v[1:2]
	v_not_b32_e32 v2, v2
	v_ashrrev_i32_e32 v2, 31, v2
	v_and_b32_e32 v27, v27, v28
	v_xor_b32_e32 v28, vcc_hi, v2
	v_xor_b32_e32 v2, vcc_lo, v2
	v_and_b32_e32 v4, v4, v2
	v_lshlrev_b32_e32 v2, 28, v3
	v_cmp_gt_i64_e32 vcc, 0, v[1:2]
	v_not_b32_e32 v2, v2
	v_ashrrev_i32_e32 v2, 31, v2
	v_and_b32_e32 v27, v27, v28
	;; [unrolled: 8-line block ×5, first 2 shown]
	v_xor_b32_e32 v28, vcc_hi, v2
	v_xor_b32_e32 v2, vcc_lo, v2
	v_and_b32_e32 v4, v4, v2
	v_lshlrev_b32_e32 v2, 24, v3
	v_cmp_gt_i64_e32 vcc, 0, v[1:2]
	v_not_b32_e32 v1, v2
	v_ashrrev_i32_e32 v1, 31, v1
	v_mad_u32_u24 v25, v3, 20, v20
	v_xor_b32_e32 v2, vcc_hi, v1
	v_xor_b32_e32 v1, vcc_lo, v1
	; wave barrier
	ds_read_b32 v23, v25 offset:16
	v_and_b32_e32 v27, v27, v28
	v_and_b32_e32 v1, v4, v1
	v_and_b32_e32 v2, v27, v2
	v_mbcnt_lo_u32_b32 v3, v1, 0
	v_mbcnt_hi_u32_b32 v27, v2, v3
	v_cmp_ne_u64_e32 vcc, 0, v[1:2]
	v_cmp_eq_u32_e64 s[0:1], 0, v27
	s_and_b64 s[2:3], vcc, s[0:1]
	; wave barrier
	s_and_saveexec_b64 s[0:1], s[2:3]
	s_cbranch_execz .LBB62_161
; %bb.160:
	v_bcnt_u32_b32 v1, v1, 0
	v_bcnt_u32_b32 v1, v2, v1
	s_waitcnt lgkmcnt(0)
	v_add_u32_e32 v1, v23, v1
	ds_write_b32 v25, v1 offset:16
.LBB62_161:
	s_or_b64 exec, exec, s[0:1]
	v_xor_b32_e32 v26, 0x7fff, v26
	v_lshrrev_b32_sdwa v1, s68, v26 dst_sel:DWORD dst_unused:UNUSED_PAD src0_sel:DWORD src1_sel:WORD_0
	v_and_b32_e32 v3, s9, v1
	v_and_b32_e32 v2, 1, v3
	v_add_co_u32_e32 v4, vcc, -1, v2
	v_addc_co_u32_e64 v32, s[0:1], 0, -1, vcc
	v_cmp_ne_u32_e32 vcc, 0, v2
	v_xor_b32_e32 v2, vcc_hi, v32
	v_mov_b32_e32 v1, 0
	v_and_b32_e32 v32, exec_hi, v2
	v_lshlrev_b32_e32 v2, 30, v3
	v_xor_b32_e32 v4, vcc_lo, v4
	v_cmp_gt_i64_e32 vcc, 0, v[1:2]
	v_not_b32_e32 v2, v2
	v_ashrrev_i32_e32 v2, 31, v2
	v_and_b32_e32 v4, exec_lo, v4
	v_xor_b32_e32 v33, vcc_hi, v2
	v_xor_b32_e32 v2, vcc_lo, v2
	v_and_b32_e32 v4, v4, v2
	v_lshlrev_b32_e32 v2, 29, v3
	v_cmp_gt_i64_e32 vcc, 0, v[1:2]
	v_not_b32_e32 v2, v2
	v_ashrrev_i32_e32 v2, 31, v2
	v_and_b32_e32 v32, v32, v33
	v_xor_b32_e32 v33, vcc_hi, v2
	v_xor_b32_e32 v2, vcc_lo, v2
	v_and_b32_e32 v4, v4, v2
	v_lshlrev_b32_e32 v2, 28, v3
	v_cmp_gt_i64_e32 vcc, 0, v[1:2]
	v_not_b32_e32 v2, v2
	v_ashrrev_i32_e32 v2, 31, v2
	v_and_b32_e32 v32, v32, v33
	;; [unrolled: 8-line block ×5, first 2 shown]
	v_xor_b32_e32 v33, vcc_hi, v2
	v_xor_b32_e32 v2, vcc_lo, v2
	v_and_b32_e32 v4, v4, v2
	v_lshlrev_b32_e32 v2, 24, v3
	v_cmp_gt_i64_e32 vcc, 0, v[1:2]
	v_not_b32_e32 v2, v2
	v_ashrrev_i32_e32 v2, 31, v2
	v_mad_u32_u24 v30, v3, 20, v20
	v_xor_b32_e32 v3, vcc_hi, v2
	v_xor_b32_e32 v2, vcc_lo, v2
	; wave barrier
	ds_read_b32 v28, v30 offset:16
	v_and_b32_e32 v32, v32, v33
	v_and_b32_e32 v2, v4, v2
	;; [unrolled: 1-line block ×3, first 2 shown]
	v_mbcnt_lo_u32_b32 v4, v2, 0
	v_mbcnt_hi_u32_b32 v32, v3, v4
	v_cmp_ne_u64_e32 vcc, 0, v[2:3]
	v_cmp_eq_u32_e64 s[0:1], 0, v32
	s_and_b64 s[2:3], vcc, s[0:1]
	; wave barrier
	s_and_saveexec_b64 s[0:1], s[2:3]
	s_cbranch_execz .LBB62_163
; %bb.162:
	v_bcnt_u32_b32 v2, v2, 0
	v_bcnt_u32_b32 v2, v3, v2
	s_waitcnt lgkmcnt(0)
	v_add_u32_e32 v2, v28, v2
	ds_write_b32 v30, v2 offset:16
.LBB62_163:
	s_or_b64 exec, exec, s[0:1]
	v_xor_b32_e32 v31, 0x7fff, v31
	v_lshrrev_b32_sdwa v2, s68, v31 dst_sel:DWORD dst_unused:UNUSED_PAD src0_sel:DWORD src1_sel:WORD_0
	v_and_b32_e32 v3, s9, v2
	v_and_b32_e32 v2, 1, v3
	v_add_co_u32_e32 v4, vcc, -1, v2
	v_addc_co_u32_e64 v37, s[0:1], 0, -1, vcc
	v_cmp_ne_u32_e32 vcc, 0, v2
	v_xor_b32_e32 v2, vcc_hi, v37
	v_and_b32_e32 v37, exec_hi, v2
	v_lshlrev_b32_e32 v2, 30, v3
	v_xor_b32_e32 v4, vcc_lo, v4
	v_cmp_gt_i64_e32 vcc, 0, v[1:2]
	v_not_b32_e32 v2, v2
	v_ashrrev_i32_e32 v2, 31, v2
	v_and_b32_e32 v4, exec_lo, v4
	v_xor_b32_e32 v38, vcc_hi, v2
	v_xor_b32_e32 v2, vcc_lo, v2
	v_and_b32_e32 v4, v4, v2
	v_lshlrev_b32_e32 v2, 29, v3
	v_cmp_gt_i64_e32 vcc, 0, v[1:2]
	v_not_b32_e32 v2, v2
	v_ashrrev_i32_e32 v2, 31, v2
	v_and_b32_e32 v37, v37, v38
	v_xor_b32_e32 v38, vcc_hi, v2
	v_xor_b32_e32 v2, vcc_lo, v2
	v_and_b32_e32 v4, v4, v2
	v_lshlrev_b32_e32 v2, 28, v3
	v_cmp_gt_i64_e32 vcc, 0, v[1:2]
	v_not_b32_e32 v2, v2
	v_ashrrev_i32_e32 v2, 31, v2
	v_and_b32_e32 v37, v37, v38
	v_xor_b32_e32 v38, vcc_hi, v2
	v_xor_b32_e32 v2, vcc_lo, v2
	v_and_b32_e32 v4, v4, v2
	v_lshlrev_b32_e32 v2, 27, v3
	v_cmp_gt_i64_e32 vcc, 0, v[1:2]
	v_not_b32_e32 v2, v2
	v_ashrrev_i32_e32 v2, 31, v2
	v_and_b32_e32 v37, v37, v38
	v_xor_b32_e32 v38, vcc_hi, v2
	v_xor_b32_e32 v2, vcc_lo, v2
	v_and_b32_e32 v4, v4, v2
	v_lshlrev_b32_e32 v2, 26, v3
	v_cmp_gt_i64_e32 vcc, 0, v[1:2]
	v_not_b32_e32 v2, v2
	v_ashrrev_i32_e32 v2, 31, v2
	v_and_b32_e32 v37, v37, v38
	v_xor_b32_e32 v38, vcc_hi, v2
	v_xor_b32_e32 v2, vcc_lo, v2
	v_and_b32_e32 v4, v4, v2
	v_lshlrev_b32_e32 v2, 25, v3
	v_cmp_gt_i64_e32 vcc, 0, v[1:2]
	v_not_b32_e32 v2, v2
	v_ashrrev_i32_e32 v2, 31, v2
	v_and_b32_e32 v37, v37, v38
	v_xor_b32_e32 v38, vcc_hi, v2
	v_xor_b32_e32 v2, vcc_lo, v2
	v_and_b32_e32 v4, v4, v2
	v_lshlrev_b32_e32 v2, 24, v3
	v_cmp_gt_i64_e32 vcc, 0, v[1:2]
	v_not_b32_e32 v1, v2
	v_ashrrev_i32_e32 v1, 31, v1
	v_mad_u32_u24 v35, v3, 20, v20
	v_xor_b32_e32 v2, vcc_hi, v1
	v_xor_b32_e32 v1, vcc_lo, v1
	; wave barrier
	ds_read_b32 v33, v35 offset:16
	v_and_b32_e32 v37, v37, v38
	v_and_b32_e32 v1, v4, v1
	;; [unrolled: 1-line block ×3, first 2 shown]
	v_mbcnt_lo_u32_b32 v3, v1, 0
	v_mbcnt_hi_u32_b32 v37, v2, v3
	v_cmp_ne_u64_e32 vcc, 0, v[1:2]
	v_cmp_eq_u32_e64 s[0:1], 0, v37
	s_and_b64 s[2:3], vcc, s[0:1]
	; wave barrier
	s_and_saveexec_b64 s[0:1], s[2:3]
	s_cbranch_execz .LBB62_165
; %bb.164:
	v_bcnt_u32_b32 v1, v1, 0
	v_bcnt_u32_b32 v1, v2, v1
	s_waitcnt lgkmcnt(0)
	v_add_u32_e32 v1, v33, v1
	ds_write_b32 v35, v1 offset:16
.LBB62_165:
	s_or_b64 exec, exec, s[0:1]
	v_xor_b32_e32 v36, 0x7fff, v36
	v_lshrrev_b32_sdwa v1, s68, v36 dst_sel:DWORD dst_unused:UNUSED_PAD src0_sel:DWORD src1_sel:WORD_0
	v_and_b32_e32 v3, s9, v1
	v_and_b32_e32 v2, 1, v3
	v_add_co_u32_e32 v4, vcc, -1, v2
	v_addc_co_u32_e64 v41, s[0:1], 0, -1, vcc
	v_cmp_ne_u32_e32 vcc, 0, v2
	v_xor_b32_e32 v2, vcc_hi, v41
	v_mov_b32_e32 v1, 0
	v_and_b32_e32 v41, exec_hi, v2
	v_lshlrev_b32_e32 v2, 30, v3
	v_xor_b32_e32 v4, vcc_lo, v4
	v_cmp_gt_i64_e32 vcc, 0, v[1:2]
	v_not_b32_e32 v2, v2
	v_ashrrev_i32_e32 v2, 31, v2
	v_and_b32_e32 v4, exec_lo, v4
	v_xor_b32_e32 v42, vcc_hi, v2
	v_xor_b32_e32 v2, vcc_lo, v2
	v_and_b32_e32 v4, v4, v2
	v_lshlrev_b32_e32 v2, 29, v3
	v_cmp_gt_i64_e32 vcc, 0, v[1:2]
	v_not_b32_e32 v2, v2
	v_ashrrev_i32_e32 v2, 31, v2
	v_and_b32_e32 v41, v41, v42
	v_xor_b32_e32 v42, vcc_hi, v2
	v_xor_b32_e32 v2, vcc_lo, v2
	v_and_b32_e32 v4, v4, v2
	v_lshlrev_b32_e32 v2, 28, v3
	v_cmp_gt_i64_e32 vcc, 0, v[1:2]
	v_not_b32_e32 v2, v2
	v_ashrrev_i32_e32 v2, 31, v2
	v_and_b32_e32 v41, v41, v42
	;; [unrolled: 8-line block ×5, first 2 shown]
	v_xor_b32_e32 v42, vcc_hi, v2
	v_xor_b32_e32 v2, vcc_lo, v2
	v_and_b32_e32 v4, v4, v2
	v_lshlrev_b32_e32 v2, 24, v3
	v_cmp_gt_i64_e32 vcc, 0, v[1:2]
	v_not_b32_e32 v2, v2
	v_ashrrev_i32_e32 v2, 31, v2
	v_mad_u32_u24 v40, v3, 20, v20
	v_xor_b32_e32 v3, vcc_hi, v2
	v_xor_b32_e32 v2, vcc_lo, v2
	; wave barrier
	ds_read_b32 v38, v40 offset:16
	v_and_b32_e32 v41, v41, v42
	v_and_b32_e32 v2, v4, v2
	;; [unrolled: 1-line block ×3, first 2 shown]
	v_mbcnt_lo_u32_b32 v4, v2, 0
	v_mbcnt_hi_u32_b32 v41, v3, v4
	v_cmp_ne_u64_e32 vcc, 0, v[2:3]
	v_cmp_eq_u32_e64 s[0:1], 0, v41
	s_and_b64 s[2:3], vcc, s[0:1]
	; wave barrier
	s_and_saveexec_b64 s[0:1], s[2:3]
	s_cbranch_execz .LBB62_167
; %bb.166:
	v_bcnt_u32_b32 v2, v2, 0
	v_bcnt_u32_b32 v2, v3, v2
	s_waitcnt lgkmcnt(0)
	v_add_u32_e32 v2, v38, v2
	ds_write_b32 v40, v2 offset:16
.LBB62_167:
	s_or_b64 exec, exec, s[0:1]
	v_xor_b32_e32 v39, 0x7fff, v39
	v_lshrrev_b32_sdwa v2, s68, v39 dst_sel:DWORD dst_unused:UNUSED_PAD src0_sel:DWORD src1_sel:WORD_0
	v_and_b32_e32 v3, s9, v2
	v_and_b32_e32 v2, 1, v3
	v_add_co_u32_e32 v4, vcc, -1, v2
	v_addc_co_u32_e64 v44, s[0:1], 0, -1, vcc
	v_cmp_ne_u32_e32 vcc, 0, v2
	v_xor_b32_e32 v2, vcc_hi, v44
	v_and_b32_e32 v44, exec_hi, v2
	v_lshlrev_b32_e32 v2, 30, v3
	v_xor_b32_e32 v4, vcc_lo, v4
	v_cmp_gt_i64_e32 vcc, 0, v[1:2]
	v_not_b32_e32 v2, v2
	v_ashrrev_i32_e32 v2, 31, v2
	v_and_b32_e32 v4, exec_lo, v4
	v_xor_b32_e32 v45, vcc_hi, v2
	v_xor_b32_e32 v2, vcc_lo, v2
	v_and_b32_e32 v4, v4, v2
	v_lshlrev_b32_e32 v2, 29, v3
	v_cmp_gt_i64_e32 vcc, 0, v[1:2]
	v_not_b32_e32 v2, v2
	v_ashrrev_i32_e32 v2, 31, v2
	v_and_b32_e32 v44, v44, v45
	v_xor_b32_e32 v45, vcc_hi, v2
	v_xor_b32_e32 v2, vcc_lo, v2
	v_and_b32_e32 v4, v4, v2
	v_lshlrev_b32_e32 v2, 28, v3
	v_cmp_gt_i64_e32 vcc, 0, v[1:2]
	v_not_b32_e32 v2, v2
	v_ashrrev_i32_e32 v2, 31, v2
	v_and_b32_e32 v44, v44, v45
	;; [unrolled: 8-line block ×5, first 2 shown]
	v_xor_b32_e32 v45, vcc_hi, v2
	v_xor_b32_e32 v2, vcc_lo, v2
	v_and_b32_e32 v4, v4, v2
	v_lshlrev_b32_e32 v2, 24, v3
	v_cmp_gt_i64_e32 vcc, 0, v[1:2]
	v_not_b32_e32 v1, v2
	v_ashrrev_i32_e32 v1, 31, v1
	v_mad_u32_u24 v43, v3, 20, v20
	v_xor_b32_e32 v2, vcc_hi, v1
	v_xor_b32_e32 v1, vcc_lo, v1
	; wave barrier
	ds_read_b32 v42, v43 offset:16
	v_and_b32_e32 v44, v44, v45
	v_and_b32_e32 v1, v4, v1
	;; [unrolled: 1-line block ×3, first 2 shown]
	v_mbcnt_lo_u32_b32 v3, v1, 0
	v_mbcnt_hi_u32_b32 v44, v2, v3
	v_cmp_ne_u64_e32 vcc, 0, v[1:2]
	v_cmp_eq_u32_e64 s[0:1], 0, v44
	s_and_b64 s[2:3], vcc, s[0:1]
	; wave barrier
	s_and_saveexec_b64 s[0:1], s[2:3]
	s_cbranch_execz .LBB62_169
; %bb.168:
	v_bcnt_u32_b32 v1, v1, 0
	v_bcnt_u32_b32 v1, v2, v1
	s_waitcnt lgkmcnt(0)
	v_add_u32_e32 v1, v42, v1
	ds_write_b32 v43, v1 offset:16
.LBB62_169:
	s_or_b64 exec, exec, s[0:1]
	v_xor_b32_e32 v34, 0x7fff, v34
	v_lshrrev_b32_sdwa v1, s68, v34 dst_sel:DWORD dst_unused:UNUSED_PAD src0_sel:DWORD src1_sel:WORD_0
	v_and_b32_e32 v3, s9, v1
	v_and_b32_e32 v2, 1, v3
	v_add_co_u32_e32 v4, vcc, -1, v2
	v_addc_co_u32_e64 v47, s[0:1], 0, -1, vcc
	v_cmp_ne_u32_e32 vcc, 0, v2
	v_xor_b32_e32 v2, vcc_hi, v47
	v_mov_b32_e32 v1, 0
	v_and_b32_e32 v47, exec_hi, v2
	v_lshlrev_b32_e32 v2, 30, v3
	v_xor_b32_e32 v4, vcc_lo, v4
	v_cmp_gt_i64_e32 vcc, 0, v[1:2]
	v_not_b32_e32 v2, v2
	v_ashrrev_i32_e32 v2, 31, v2
	v_and_b32_e32 v4, exec_lo, v4
	v_xor_b32_e32 v48, vcc_hi, v2
	v_xor_b32_e32 v2, vcc_lo, v2
	v_and_b32_e32 v4, v4, v2
	v_lshlrev_b32_e32 v2, 29, v3
	v_cmp_gt_i64_e32 vcc, 0, v[1:2]
	v_not_b32_e32 v2, v2
	v_ashrrev_i32_e32 v2, 31, v2
	v_and_b32_e32 v47, v47, v48
	v_xor_b32_e32 v48, vcc_hi, v2
	v_xor_b32_e32 v2, vcc_lo, v2
	v_and_b32_e32 v4, v4, v2
	v_lshlrev_b32_e32 v2, 28, v3
	v_cmp_gt_i64_e32 vcc, 0, v[1:2]
	v_not_b32_e32 v2, v2
	v_ashrrev_i32_e32 v2, 31, v2
	v_and_b32_e32 v47, v47, v48
	;; [unrolled: 8-line block ×5, first 2 shown]
	v_xor_b32_e32 v48, vcc_hi, v2
	v_xor_b32_e32 v2, vcc_lo, v2
	v_and_b32_e32 v4, v4, v2
	v_lshlrev_b32_e32 v2, 24, v3
	v_cmp_gt_i64_e32 vcc, 0, v[1:2]
	v_not_b32_e32 v2, v2
	v_ashrrev_i32_e32 v2, 31, v2
	v_mad_u32_u24 v46, v3, 20, v20
	v_xor_b32_e32 v3, vcc_hi, v2
	v_xor_b32_e32 v2, vcc_lo, v2
	; wave barrier
	ds_read_b32 v45, v46 offset:16
	v_and_b32_e32 v47, v47, v48
	v_and_b32_e32 v2, v4, v2
	;; [unrolled: 1-line block ×3, first 2 shown]
	v_mbcnt_lo_u32_b32 v4, v2, 0
	v_mbcnt_hi_u32_b32 v48, v3, v4
	v_cmp_ne_u64_e32 vcc, 0, v[2:3]
	v_cmp_eq_u32_e64 s[0:1], 0, v48
	s_and_b64 s[2:3], vcc, s[0:1]
	; wave barrier
	s_and_saveexec_b64 s[0:1], s[2:3]
	s_cbranch_execz .LBB62_171
; %bb.170:
	v_bcnt_u32_b32 v2, v2, 0
	v_bcnt_u32_b32 v2, v3, v2
	s_waitcnt lgkmcnt(0)
	v_add_u32_e32 v2, v45, v2
	ds_write_b32 v46, v2 offset:16
.LBB62_171:
	s_or_b64 exec, exec, s[0:1]
	v_xor_b32_e32 v47, 0x7fff, v29
	v_lshrrev_b32_sdwa v2, s68, v47 dst_sel:DWORD dst_unused:UNUSED_PAD src0_sel:DWORD src1_sel:WORD_0
	v_and_b32_e32 v3, s9, v2
	v_and_b32_e32 v2, 1, v3
	v_add_co_u32_e32 v4, vcc, -1, v2
	v_addc_co_u32_e64 v50, s[0:1], 0, -1, vcc
	v_cmp_ne_u32_e32 vcc, 0, v2
	v_xor_b32_e32 v2, vcc_hi, v50
	v_and_b32_e32 v50, exec_hi, v2
	v_lshlrev_b32_e32 v2, 30, v3
	v_xor_b32_e32 v4, vcc_lo, v4
	v_cmp_gt_i64_e32 vcc, 0, v[1:2]
	v_not_b32_e32 v2, v2
	v_ashrrev_i32_e32 v2, 31, v2
	v_and_b32_e32 v4, exec_lo, v4
	v_xor_b32_e32 v51, vcc_hi, v2
	v_xor_b32_e32 v2, vcc_lo, v2
	v_and_b32_e32 v4, v4, v2
	v_lshlrev_b32_e32 v2, 29, v3
	v_cmp_gt_i64_e32 vcc, 0, v[1:2]
	v_not_b32_e32 v2, v2
	v_ashrrev_i32_e32 v2, 31, v2
	v_and_b32_e32 v50, v50, v51
	v_xor_b32_e32 v51, vcc_hi, v2
	v_xor_b32_e32 v2, vcc_lo, v2
	v_and_b32_e32 v4, v4, v2
	v_lshlrev_b32_e32 v2, 28, v3
	v_cmp_gt_i64_e32 vcc, 0, v[1:2]
	v_not_b32_e32 v2, v2
	v_ashrrev_i32_e32 v2, 31, v2
	v_and_b32_e32 v50, v50, v51
	;; [unrolled: 8-line block ×5, first 2 shown]
	v_xor_b32_e32 v51, vcc_hi, v2
	v_xor_b32_e32 v2, vcc_lo, v2
	v_and_b32_e32 v4, v4, v2
	v_lshlrev_b32_e32 v2, 24, v3
	v_cmp_gt_i64_e32 vcc, 0, v[1:2]
	v_not_b32_e32 v1, v2
	v_ashrrev_i32_e32 v1, 31, v1
	v_mad_u32_u24 v29, v3, 20, v20
	v_xor_b32_e32 v2, vcc_hi, v1
	v_xor_b32_e32 v1, vcc_lo, v1
	; wave barrier
	ds_read_b32 v49, v29 offset:16
	v_and_b32_e32 v50, v50, v51
	v_and_b32_e32 v1, v4, v1
	;; [unrolled: 1-line block ×3, first 2 shown]
	v_mbcnt_lo_u32_b32 v3, v1, 0
	v_mbcnt_hi_u32_b32 v51, v2, v3
	v_cmp_ne_u64_e32 vcc, 0, v[1:2]
	v_cmp_eq_u32_e64 s[0:1], 0, v51
	s_and_b64 s[2:3], vcc, s[0:1]
	; wave barrier
	s_and_saveexec_b64 s[0:1], s[2:3]
	s_cbranch_execz .LBB62_173
; %bb.172:
	v_bcnt_u32_b32 v1, v1, 0
	v_bcnt_u32_b32 v1, v2, v1
	s_waitcnt lgkmcnt(0)
	v_add_u32_e32 v1, v49, v1
	ds_write_b32 v29, v1 offset:16
.LBB62_173:
	s_or_b64 exec, exec, s[0:1]
	v_xor_b32_e32 v50, 0x7fff, v24
	v_lshrrev_b32_sdwa v1, s68, v50 dst_sel:DWORD dst_unused:UNUSED_PAD src0_sel:DWORD src1_sel:WORD_0
	v_and_b32_e32 v3, s9, v1
	v_and_b32_e32 v2, 1, v3
	v_add_co_u32_e32 v4, vcc, -1, v2
	v_addc_co_u32_e64 v53, s[0:1], 0, -1, vcc
	v_cmp_ne_u32_e32 vcc, 0, v2
	v_xor_b32_e32 v2, vcc_hi, v53
	v_mov_b32_e32 v1, 0
	v_and_b32_e32 v53, exec_hi, v2
	v_lshlrev_b32_e32 v2, 30, v3
	v_xor_b32_e32 v4, vcc_lo, v4
	v_cmp_gt_i64_e32 vcc, 0, v[1:2]
	v_not_b32_e32 v2, v2
	v_ashrrev_i32_e32 v2, 31, v2
	v_and_b32_e32 v4, exec_lo, v4
	v_xor_b32_e32 v54, vcc_hi, v2
	v_xor_b32_e32 v2, vcc_lo, v2
	v_and_b32_e32 v4, v4, v2
	v_lshlrev_b32_e32 v2, 29, v3
	v_cmp_gt_i64_e32 vcc, 0, v[1:2]
	v_not_b32_e32 v2, v2
	v_ashrrev_i32_e32 v2, 31, v2
	v_and_b32_e32 v53, v53, v54
	v_xor_b32_e32 v54, vcc_hi, v2
	v_xor_b32_e32 v2, vcc_lo, v2
	v_and_b32_e32 v4, v4, v2
	v_lshlrev_b32_e32 v2, 28, v3
	v_cmp_gt_i64_e32 vcc, 0, v[1:2]
	v_not_b32_e32 v2, v2
	v_ashrrev_i32_e32 v2, 31, v2
	v_and_b32_e32 v53, v53, v54
	;; [unrolled: 8-line block ×5, first 2 shown]
	v_xor_b32_e32 v54, vcc_hi, v2
	v_xor_b32_e32 v2, vcc_lo, v2
	v_and_b32_e32 v4, v4, v2
	v_lshlrev_b32_e32 v2, 24, v3
	v_cmp_gt_i64_e32 vcc, 0, v[1:2]
	v_not_b32_e32 v2, v2
	v_ashrrev_i32_e32 v2, 31, v2
	v_mad_u32_u24 v24, v3, 20, v20
	v_xor_b32_e32 v3, vcc_hi, v2
	v_xor_b32_e32 v2, vcc_lo, v2
	; wave barrier
	ds_read_b32 v52, v24 offset:16
	v_and_b32_e32 v53, v53, v54
	v_and_b32_e32 v2, v4, v2
	;; [unrolled: 1-line block ×3, first 2 shown]
	v_mbcnt_lo_u32_b32 v4, v2, 0
	v_mbcnt_hi_u32_b32 v54, v3, v4
	v_cmp_ne_u64_e32 vcc, 0, v[2:3]
	v_cmp_eq_u32_e64 s[0:1], 0, v54
	s_and_b64 s[2:3], vcc, s[0:1]
	; wave barrier
	s_and_saveexec_b64 s[0:1], s[2:3]
	s_cbranch_execz .LBB62_175
; %bb.174:
	v_bcnt_u32_b32 v2, v2, 0
	v_bcnt_u32_b32 v2, v3, v2
	s_waitcnt lgkmcnt(0)
	v_add_u32_e32 v2, v52, v2
	ds_write_b32 v24, v2 offset:16
.LBB62_175:
	s_or_b64 exec, exec, s[0:1]
	v_xor_b32_e32 v53, 0x7fff, v18
	v_lshrrev_b32_sdwa v2, s68, v53 dst_sel:DWORD dst_unused:UNUSED_PAD src0_sel:DWORD src1_sel:WORD_0
	v_and_b32_e32 v3, s9, v2
	v_and_b32_e32 v2, 1, v3
	v_add_co_u32_e32 v4, vcc, -1, v2
	v_mad_u32_u24 v18, v3, 20, v20
	v_addc_co_u32_e64 v20, s[0:1], 0, -1, vcc
	v_cmp_ne_u32_e32 vcc, 0, v2
	v_xor_b32_e32 v2, vcc_hi, v20
	v_and_b32_e32 v20, exec_hi, v2
	v_lshlrev_b32_e32 v2, 30, v3
	v_xor_b32_e32 v4, vcc_lo, v4
	v_cmp_gt_i64_e32 vcc, 0, v[1:2]
	v_not_b32_e32 v2, v2
	v_ashrrev_i32_e32 v2, 31, v2
	v_and_b32_e32 v4, exec_lo, v4
	v_xor_b32_e32 v56, vcc_hi, v2
	v_xor_b32_e32 v2, vcc_lo, v2
	v_and_b32_e32 v4, v4, v2
	v_lshlrev_b32_e32 v2, 29, v3
	v_cmp_gt_i64_e32 vcc, 0, v[1:2]
	v_not_b32_e32 v2, v2
	v_ashrrev_i32_e32 v2, 31, v2
	v_and_b32_e32 v20, v20, v56
	v_xor_b32_e32 v56, vcc_hi, v2
	v_xor_b32_e32 v2, vcc_lo, v2
	v_and_b32_e32 v4, v4, v2
	v_lshlrev_b32_e32 v2, 28, v3
	v_cmp_gt_i64_e32 vcc, 0, v[1:2]
	v_not_b32_e32 v2, v2
	v_ashrrev_i32_e32 v2, 31, v2
	v_and_b32_e32 v20, v20, v56
	;; [unrolled: 8-line block ×5, first 2 shown]
	v_xor_b32_e32 v56, vcc_hi, v2
	v_xor_b32_e32 v2, vcc_lo, v2
	v_and_b32_e32 v4, v4, v2
	v_lshlrev_b32_e32 v2, 24, v3
	v_cmp_gt_i64_e32 vcc, 0, v[1:2]
	v_not_b32_e32 v1, v2
	v_ashrrev_i32_e32 v1, 31, v1
	v_xor_b32_e32 v2, vcc_hi, v1
	v_xor_b32_e32 v1, vcc_lo, v1
	; wave barrier
	ds_read_b32 v55, v18 offset:16
	v_and_b32_e32 v20, v20, v56
	v_and_b32_e32 v1, v4, v1
	;; [unrolled: 1-line block ×3, first 2 shown]
	v_mbcnt_lo_u32_b32 v3, v1, 0
	v_mbcnt_hi_u32_b32 v56, v2, v3
	v_cmp_ne_u64_e32 vcc, 0, v[1:2]
	v_cmp_eq_u32_e64 s[0:1], 0, v56
	s_and_b64 s[2:3], vcc, s[0:1]
	; wave barrier
	s_and_saveexec_b64 s[0:1], s[2:3]
	s_cbranch_execz .LBB62_177
; %bb.176:
	v_bcnt_u32_b32 v1, v1, 0
	v_bcnt_u32_b32 v1, v2, v1
	s_waitcnt lgkmcnt(0)
	v_add_u32_e32 v1, v55, v1
	ds_write_b32 v18, v1 offset:16
.LBB62_177:
	s_or_b64 exec, exec, s[0:1]
	; wave barrier
	s_waitcnt lgkmcnt(0)
	s_barrier
	ds_read2_b32 v[3:4], v6 offset0:4 offset1:5
	ds_read2_b32 v[1:2], v6 offset0:6 offset1:7
	ds_read_b32 v20, v6 offset:32
	v_min_u32_e32 v9, 0xc0, v9
	v_or_b32_e32 v9, 63, v9
	s_waitcnt lgkmcnt(1)
	v_add3_u32 v57, v4, v3, v1
	s_waitcnt lgkmcnt(0)
	v_add3_u32 v20, v57, v2, v20
	v_and_b32_e32 v57, 15, v8
	v_cmp_ne_u32_e32 vcc, 0, v57
	v_mov_b32_dpp v58, v20 row_shr:1 row_mask:0xf bank_mask:0xf
	v_cndmask_b32_e32 v58, 0, v58, vcc
	v_add_u32_e32 v20, v58, v20
	v_cmp_lt_u32_e32 vcc, 1, v57
	s_nop 0
	v_mov_b32_dpp v58, v20 row_shr:2 row_mask:0xf bank_mask:0xf
	v_cndmask_b32_e32 v58, 0, v58, vcc
	v_add_u32_e32 v20, v20, v58
	v_cmp_lt_u32_e32 vcc, 3, v57
	s_nop 0
	;; [unrolled: 5-line block ×3, first 2 shown]
	v_mov_b32_dpp v58, v20 row_shr:8 row_mask:0xf bank_mask:0xf
	v_cndmask_b32_e32 v57, 0, v58, vcc
	v_add_u32_e32 v20, v20, v57
	v_bfe_i32 v58, v8, 4, 1
	v_cmp_lt_u32_e32 vcc, 31, v8
	v_mov_b32_dpp v57, v20 row_bcast:15 row_mask:0xf bank_mask:0xf
	v_and_b32_e32 v57, v58, v57
	v_add_u32_e32 v20, v20, v57
	s_nop 1
	v_mov_b32_dpp v57, v20 row_bcast:31 row_mask:0xf bank_mask:0xf
	v_cndmask_b32_e32 v57, 0, v57, vcc
	v_add_u32_e32 v20, v20, v57
	v_lshrrev_b32_e32 v57, 6, v0
	v_cmp_eq_u32_e32 vcc, v0, v9
	s_and_saveexec_b64 s[0:1], vcc
; %bb.178:
	v_lshlrev_b32_e32 v9, 2, v57
	ds_write_b32 v9, v20
; %bb.179:
	s_or_b64 exec, exec, s[0:1]
	v_cmp_gt_u32_e32 vcc, 4, v0
	s_waitcnt lgkmcnt(0)
	s_barrier
	s_and_saveexec_b64 s[0:1], vcc
	s_cbranch_execz .LBB62_181
; %bb.180:
	v_lshlrev_b32_e32 v9, 2, v0
	ds_read_b32 v58, v9
	v_and_b32_e32 v59, 3, v8
	v_cmp_ne_u32_e32 vcc, 0, v59
	s_waitcnt lgkmcnt(0)
	v_mov_b32_dpp v60, v58 row_shr:1 row_mask:0xf bank_mask:0xf
	v_cndmask_b32_e32 v60, 0, v60, vcc
	v_add_u32_e32 v58, v60, v58
	v_cmp_lt_u32_e32 vcc, 1, v59
	s_nop 0
	v_mov_b32_dpp v60, v58 row_shr:2 row_mask:0xf bank_mask:0xf
	v_cndmask_b32_e32 v59, 0, v60, vcc
	v_add_u32_e32 v58, v58, v59
	ds_write_b32 v9, v58
.LBB62_181:
	s_or_b64 exec, exec, s[0:1]
	v_cmp_lt_u32_e32 vcc, 63, v0
	v_mov_b32_e32 v9, 0
	s_waitcnt lgkmcnt(0)
	s_barrier
	s_and_saveexec_b64 s[0:1], vcc
; %bb.182:
	v_lshl_add_u32 v9, v57, 2, -4
	ds_read_b32 v9, v9
; %bb.183:
	s_or_b64 exec, exec, s[0:1]
	v_add_u32_e32 v57, -1, v8
	v_and_b32_e32 v58, 64, v8
	v_cmp_lt_i32_e32 vcc, v57, v58
	v_cndmask_b32_e32 v57, v57, v8, vcc
	s_waitcnt lgkmcnt(0)
	v_add_u32_e32 v20, v9, v20
	v_lshlrev_b32_e32 v57, 2, v57
	ds_bpermute_b32 v20, v57, v20
	v_cmp_eq_u32_e32 vcc, 0, v8
	s_movk_i32 s0, 0x100
	s_waitcnt lgkmcnt(0)
	v_cndmask_b32_e32 v9, v20, v9, vcc
	v_cmp_ne_u32_e32 vcc, 0, v0
	v_cndmask_b32_e32 v9, 0, v9, vcc
	v_add_u32_e32 v3, v9, v3
	v_add_u32_e32 v4, v3, v4
	;; [unrolled: 1-line block ×4, first 2 shown]
	ds_write2_b32 v6, v9, v3 offset0:4 offset1:5
	ds_write2_b32 v6, v4, v1 offset0:6 offset1:7
	ds_write_b32 v6, v2 offset:32
	s_waitcnt lgkmcnt(0)
	s_barrier
	ds_read_b32 v2, v43 offset:16
	ds_read_b32 v3, v46 offset:16
	;; [unrolled: 1-line block ×13, first 2 shown]
	v_add_u32_e32 v6, 1, v0
	v_cmp_ne_u32_e32 vcc, s0, v6
	v_mov_b32_e32 v1, 0xc00
	s_and_saveexec_b64 s[0:1], vcc
; %bb.184:
	v_mul_u32_u24_e32 v1, 20, v6
	ds_read_b32 v1, v1 offset:16
; %bb.185:
	s_or_b64 exec, exec, s[0:1]
	s_waitcnt lgkmcnt(7)
	v_add_u32_e32 v29, v10, v12
	s_waitcnt lgkmcnt(6)
	v_add3_u32 v25, v16, v13, v14
	s_waitcnt lgkmcnt(5)
	v_add3_u32 v24, v22, v17, v18
	v_add3_u32 v17, v44, v42, v2
	v_lshlrev_b32_e32 v2, 1, v29
	s_waitcnt lgkmcnt(0)
	s_barrier
	ds_write_b16 v2, v5 offset:2048
	v_lshlrev_b32_e32 v2, 1, v25
	v_add3_u32 v22, v27, v23, v19
	ds_write_b16 v2, v11 offset:2048
	v_lshlrev_b32_e32 v2, 1, v24
	v_add3_u32 v20, v32, v28, v20
	ds_write_b16 v2, v15 offset:2048
	v_lshlrev_b32_e32 v2, 1, v22
	v_add3_u32 v19, v37, v33, v30
	ds_write_b16 v2, v21 offset:2048
	v_lshlrev_b32_e32 v2, 1, v20
	v_add3_u32 v18, v41, v38, v35
	ds_write_b16 v2, v26 offset:2048
	v_lshlrev_b32_e32 v2, 1, v19
	ds_write_b16 v2, v31 offset:2048
	v_lshlrev_b32_e32 v2, 1, v18
	v_add3_u32 v16, v48, v45, v3
	ds_write_b16 v2, v36 offset:2048
	v_lshlrev_b32_e32 v2, 1, v17
	v_add3_u32 v14, v51, v49, v4
	ds_write_b16 v2, v39 offset:2048
	v_lshlrev_b32_e32 v2, 1, v16
	v_add3_u32 v13, v54, v52, v43
	ds_write_b16 v2, v34 offset:2048
	v_lshlrev_b32_e32 v2, 1, v14
	v_add3_u32 v12, v56, v55, v46
	ds_write_b16 v2, v47 offset:2048
	v_lshlrev_b32_e32 v2, 1, v13
	ds_write_b16 v2, v50 offset:2048
	v_lshlrev_b32_e32 v2, 1, v12
	ds_write_b16 v2, v53 offset:2048
	v_sub_u32_e32 v10, v1, v9
	v_lshl_or_b32 v1, s6, 8, v0
	v_mov_b32_e32 v2, 0
	v_lshlrev_b64 v[3:4], 2, v[1:2]
	v_mov_b32_e32 v11, s73
	v_add_co_u32_e32 v3, vcc, s72, v3
	v_addc_co_u32_e32 v4, vcc, v11, v4, vcc
	v_or_b32_e32 v1, 2.0, v10
	s_mov_b64 s[0:1], 0
	s_brev_b32 s10, -4
	v_mov_b32_e32 v15, 0
	s_waitcnt lgkmcnt(0)
	s_barrier
	global_store_dword v[3:4], v1, off
                                        ; implicit-def: $sgpr2_sgpr3
	s_branch .LBB62_188
.LBB62_186:                             ;   in Loop: Header=BB62_188 Depth=1
	s_or_b64 exec, exec, s[4:5]
.LBB62_187:                             ;   in Loop: Header=BB62_188 Depth=1
	s_or_b64 exec, exec, s[2:3]
	v_and_b32_e32 v5, 0x3fffffff, v1
	v_add_u32_e32 v15, v5, v15
	v_cmp_gt_i32_e64 s[2:3], -2.0, v1
	s_and_b64 s[4:5], exec, s[2:3]
	s_or_b64 s[0:1], s[4:5], s[0:1]
	s_andn2_b64 exec, exec, s[0:1]
	s_cbranch_execz .LBB62_193
.LBB62_188:                             ; =>This Loop Header: Depth=1
                                        ;     Child Loop BB62_191 Depth 2
	s_or_b64 s[2:3], s[2:3], exec
	s_cmp_eq_u32 s7, 0
	s_cbranch_scc1 .LBB62_192
; %bb.189:                              ;   in Loop: Header=BB62_188 Depth=1
	s_add_i32 s7, s7, -1
	v_lshl_or_b32 v1, s7, 8, v0
	v_lshlrev_b64 v[5:6], 2, v[1:2]
	v_add_co_u32_e32 v5, vcc, s72, v5
	v_addc_co_u32_e32 v6, vcc, v11, v6, vcc
	global_load_dword v1, v[5:6], off glc
	s_waitcnt vmcnt(0)
	v_cmp_gt_u32_e32 vcc, 2.0, v1
	s_and_saveexec_b64 s[2:3], vcc
	s_cbranch_execz .LBB62_187
; %bb.190:                              ;   in Loop: Header=BB62_188 Depth=1
	s_mov_b64 s[4:5], 0
.LBB62_191:                             ;   Parent Loop BB62_188 Depth=1
                                        ; =>  This Inner Loop Header: Depth=2
	global_load_dword v1, v[5:6], off glc
	s_waitcnt vmcnt(0)
	v_cmp_lt_u32_e32 vcc, s10, v1
	s_or_b64 s[4:5], vcc, s[4:5]
	s_andn2_b64 exec, exec, s[4:5]
	s_cbranch_execnz .LBB62_191
	s_branch .LBB62_186
.LBB62_192:                             ;   in Loop: Header=BB62_188 Depth=1
                                        ; implicit-def: $sgpr7
	s_and_b64 s[4:5], exec, s[2:3]
	s_or_b64 s[0:1], s[4:5], s[0:1]
	s_andn2_b64 exec, exec, s[0:1]
	s_cbranch_execnz .LBB62_188
.LBB62_193:
	s_or_b64 exec, exec, s[0:1]
	v_add_u32_e32 v2, v15, v10
	v_or_b32_e32 v2, 0x80000000, v2
	v_lshlrev_b32_e32 v1, 3, v0
	global_store_dword v[3:4], v2, off
	global_load_dwordx2 v[2:3], v1, s[64:65]
	v_sub_co_u32_e32 v4, vcc, v15, v9
	v_subb_co_u32_e64 v5, s[0:1], 0, 0, vcc
	v_mad_i32_i24 v52, v0, -6, v1
	v_mov_b32_e32 v6, s59
	v_mov_b32_e32 v15, s59
	;; [unrolled: 1-line block ×4, first 2 shown]
	v_lshlrev_b32_e32 v11, 1, v0
	v_mov_b32_e32 v28, s59
	s_lshl_b64 s[0:1], s[54:55], 3
	s_add_u32 s0, s60, s0
	s_addc_u32 s1, s61, s1
	v_or_b32_e32 v61, 0x800, v0
	v_or_b32_e32 v65, 0xa00, v0
	s_add_i32 s8, s8, -1
	s_cmp_lg_u32 s6, s8
	s_waitcnt vmcnt(0)
	v_add_co_u32_e32 v2, vcc, v4, v2
	v_addc_co_u32_e32 v3, vcc, v5, v3, vcc
	ds_write_b64 v1, v[2:3]
	s_waitcnt lgkmcnt(0)
	s_barrier
	ds_read_u16 v2, v52 offset:2048
	ds_read_u16 v3, v52 offset:2560
	;; [unrolled: 1-line block ×8, first 2 shown]
	s_waitcnt lgkmcnt(7)
	v_lshrrev_b32_sdwa v27, s68, v2 dst_sel:DWORD dst_unused:UNUSED_PAD src0_sel:DWORD src1_sel:WORD_0
	v_xor_b32_e32 v37, 0x7fff, v2
	s_waitcnt lgkmcnt(6)
	v_lshrrev_b32_sdwa v2, s68, v3 dst_sel:DWORD dst_unused:UNUSED_PAD src0_sel:DWORD src1_sel:WORD_0
	v_xor_b32_e32 v38, 0x7fff, v3
	;; [unrolled: 3-line block ×4, first 2 shown]
	s_waitcnt lgkmcnt(3)
	v_lshrrev_b32_sdwa v5, s68, v26 dst_sel:DWORD dst_unused:UNUSED_PAD src0_sel:DWORD src1_sel:WORD_0
	v_and_b32_e32 v2, s9, v2
	v_xor_b32_e32 v41, 0x7fff, v26
	v_and_b32_e32 v26, s9, v27
	v_and_b32_e32 v3, s9, v3
	;; [unrolled: 1-line block ×4, first 2 shown]
	v_lshlrev_b32_e32 v54, 3, v2
	v_lshlrev_b32_e32 v53, 3, v26
	;; [unrolled: 1-line block ×5, first 2 shown]
	ds_read_b64 v[2:3], v54
	ds_read_b64 v[4:5], v55
	;; [unrolled: 1-line block ×5, first 2 shown]
	ds_read_u16 v42, v52 offset:6144
	ds_read_u16 v46, v52 offset:6656
	;; [unrolled: 1-line block ×4, first 2 shown]
	s_waitcnt lgkmcnt(4)
	v_lshlrev_b64 v[32:33], 1, v[32:33]
	v_lshlrev_b64 v[2:3], 1, v[2:3]
	v_add_co_u32_e32 v32, vcc, s58, v32
	v_addc_co_u32_e32 v6, vcc, v6, v33, vcc
	v_lshlrev_b64 v[4:5], 1, v[4:5]
	v_add_co_u32_e32 v33, vcc, s58, v2
	v_addc_co_u32_e32 v15, vcc, v15, v3, vcc
	v_lshlrev_b64 v[26:27], 1, v[26:27]
	v_add_co_u32_e32 v43, vcc, s58, v4
	v_addc_co_u32_e32 v21, vcc, v21, v5, vcc
	v_add_co_u32_e32 v44, vcc, s58, v26
	v_addc_co_u32_e32 v23, vcc, v23, v27, vcc
	v_add_co_u32_e32 v2, vcc, v32, v11
	v_addc_co_u32_e32 v3, vcc, 0, v6, vcc
	;; [unrolled: 2-line block ×4, first 2 shown]
	v_lshlrev_b64 v[30:31], 1, v[30:31]
	v_add_co_u32_e32 v32, vcc, v44, v11
	v_addc_co_u32_e32 v33, vcc, 0, v23, vcc
	global_store_short v[2:3], v37, off
	global_store_short v[4:5], v38, off offset:512
	global_store_short v[26:27], v39, off offset:1024
	;; [unrolled: 1-line block ×3, first 2 shown]
	v_add_co_u32_e32 v2, vcc, s58, v30
	v_addc_co_u32_e32 v3, vcc, v28, v31, vcc
	v_add_co_u32_e32 v2, vcc, v2, v11
	v_addc_co_u32_e32 v3, vcc, 0, v3, vcc
	global_store_short v[2:3], v41, off offset:2048
	v_lshrrev_b32_sdwa v2, s68, v34 dst_sel:DWORD dst_unused:UNUSED_PAD src0_sel:DWORD src1_sel:WORD_0
	v_and_b32_e32 v2, s9, v2
	v_lshlrev_b32_e32 v21, 3, v2
	ds_read_b64 v[2:3], v21
	v_lshrrev_b32_sdwa v4, s68, v35 dst_sel:DWORD dst_unused:UNUSED_PAD src0_sel:DWORD src1_sel:WORD_0
	v_and_b32_e32 v4, s9, v4
	v_lshlrev_b32_e32 v23, 3, v4
	v_lshrrev_b32_sdwa v4, s68, v36 dst_sel:DWORD dst_unused:UNUSED_PAD src0_sel:DWORD src1_sel:WORD_0
	v_and_b32_e32 v4, s9, v4
	s_waitcnt lgkmcnt(0)
	v_lshlrev_b64 v[2:3], 1, v[2:3]
	v_lshlrev_b32_e32 v28, 3, v4
	v_lshrrev_b32_sdwa v4, s68, v42 dst_sel:DWORD dst_unused:UNUSED_PAD src0_sel:DWORD src1_sel:WORD_0
	v_and_b32_e32 v4, s9, v4
	v_mov_b32_e32 v15, s59
	v_add_co_u32_e32 v2, vcc, s58, v2
	v_lshlrev_b32_e32 v60, 3, v4
	ds_read_b64 v[4:5], v23
	ds_read_b64 v[26:27], v28
	;; [unrolled: 1-line block ×3, first 2 shown]
	v_addc_co_u32_e32 v3, vcc, v15, v3, vcc
	v_add_co_u32_e32 v2, vcc, v2, v11
	v_xor_b32_e32 v6, 0x7fff, v34
	v_addc_co_u32_e32 v3, vcc, 0, v3, vcc
	global_store_short v[2:3], v6, off offset:2560
	s_waitcnt lgkmcnt(2)
	v_lshlrev_b64 v[2:3], 1, v[4:5]
	v_mov_b32_e32 v4, s59
	v_add_co_u32_e32 v2, vcc, s58, v2
	v_addc_co_u32_e32 v3, vcc, v4, v3, vcc
	v_add_co_u32_e32 v2, vcc, v2, v11
	v_xor_b32_e32 v6, 0x7fff, v35
	v_addc_co_u32_e32 v3, vcc, 0, v3, vcc
	global_store_short v[2:3], v6, off offset:3072
	s_waitcnt lgkmcnt(1)
	v_lshlrev_b64 v[2:3], 1, v[26:27]
	v_mov_b32_e32 v5, s59
	v_add_co_u32_e32 v2, vcc, s58, v2
	;; [unrolled: 9-line block ×3, first 2 shown]
	v_addc_co_u32_e32 v43, vcc, v4, v3, vcc
	v_lshlrev_b32_e32 v2, 3, v8
	v_mov_b32_e32 v3, s1
	v_add_co_u32_e32 v2, vcc, s0, v2
	v_addc_co_u32_e32 v3, vcc, 0, v3, vcc
	v_lshlrev_b32_e32 v4, 3, v7
	v_add_co_u32_e32 v2, vcc, v2, v4
	v_addc_co_u32_e32 v3, vcc, 0, v3, vcc
	s_movk_i32 s0, 0x1000
	global_load_dwordx2 v[4:5], v[2:3], off
	global_load_dwordx2 v[6:7], v[2:3], off offset:512
	global_load_dwordx2 v[26:27], v[2:3], off offset:1024
	global_load_dwordx2 v[30:31], v[2:3], off offset:1536
	global_load_dwordx2 v[32:33], v[2:3], off offset:2048
	global_load_dwordx2 v[34:35], v[2:3], off offset:2560
	global_load_dwordx2 v[36:37], v[2:3], off offset:3072
	global_load_dwordx2 v[38:39], v[2:3], off offset:3584
	v_add_co_u32_e32 v2, vcc, s0, v2
	v_xor_b32_e32 v11, 0x7fff, v42
	v_lshlrev_b32_e32 v42, 1, v61
	v_addc_co_u32_e32 v3, vcc, 0, v3, vcc
	global_load_dwordx2 v[40:41], v[2:3], off
	global_load_dwordx2 v[44:45], v[2:3], off offset:512
	v_add_co_u32_e32 v42, vcc, v15, v42
	v_addc_co_u32_e32 v43, vcc, 0, v43, vcc
	global_store_short v[42:43], v11, off
	global_load_dwordx2 v[42:43], v[2:3], off offset:1024
	v_lshrrev_b32_sdwa v11, s68, v46 dst_sel:DWORD dst_unused:UNUSED_PAD src0_sel:DWORD src1_sel:WORD_0
	global_load_dwordx2 v[2:3], v[2:3], off offset:1536
	v_and_b32_e32 v11, s9, v11
	v_lshlrev_b32_e32 v62, 3, v11
	v_xor_b32_e32 v15, 0x7fff, v46
	ds_read_b64 v[46:47], v62
	v_lshrrev_b32_sdwa v11, s68, v58 dst_sel:DWORD dst_unused:UNUSED_PAD src0_sel:DWORD src1_sel:WORD_0
	v_and_b32_e32 v11, s9, v11
	v_lshlrev_b32_e32 v63, 3, v11
	v_lshrrev_b32_sdwa v11, s68, v59 dst_sel:DWORD dst_unused:UNUSED_PAD src0_sel:DWORD src1_sel:WORD_0
	s_waitcnt lgkmcnt(0)
	v_lshlrev_b64 v[46:47], 1, v[46:47]
	v_and_b32_e32 v11, s9, v11
	v_or_b32_e32 v8, 0x900, v0
	v_lshlrev_b32_e32 v64, 3, v11
	ds_read_b64 v[48:49], v63
	ds_read_b64 v[50:51], v64
	v_mov_b32_e32 v11, s59
	v_add_co_u32_e32 v46, vcc, s58, v46
	v_addc_co_u32_e32 v11, vcc, v11, v47, vcc
	v_lshlrev_b32_e32 v47, 1, v8
	v_add_co_u32_e32 v46, vcc, v46, v47
	v_addc_co_u32_e32 v47, vcc, 0, v11, vcc
	global_store_short v[46:47], v15, off
	s_waitcnt lgkmcnt(1)
	v_lshlrev_b64 v[46:47], 1, v[48:49]
	v_mov_b32_e32 v15, s59
	v_add_co_u32_e32 v46, vcc, s58, v46
	v_addc_co_u32_e32 v15, vcc, v15, v47, vcc
	v_lshlrev_b32_e32 v47, 1, v65
	v_add_co_u32_e32 v46, vcc, v46, v47
	v_xor_b32_e32 v11, 0x7fff, v58
	v_addc_co_u32_e32 v47, vcc, 0, v15, vcc
	global_store_short v[46:47], v11, off
	s_waitcnt lgkmcnt(0)
	v_lshlrev_b64 v[46:47], 1, v[50:51]
	v_or_b32_e32 v48, 0xb00, v0
	v_mov_b32_e32 v15, s59
	v_add_co_u32_e32 v46, vcc, s58, v46
	v_addc_co_u32_e32 v15, vcc, v15, v47, vcc
	v_lshlrev_b32_e32 v47, 1, v48
	v_add_co_u32_e32 v46, vcc, v46, v47
	v_xor_b32_e32 v11, 0x7fff, v59
	v_addc_co_u32_e32 v47, vcc, 0, v15, vcc
	global_store_short v[46:47], v11, off
	v_lshlrev_b32_e32 v11, 3, v29
	s_waitcnt vmcnt(0)
	s_barrier
	v_mad_u32_u24 v0, v0, 6, v52
	ds_write_b64 v11, v[4:5] offset:2048
	v_lshlrev_b32_e32 v4, 3, v25
	ds_write_b64 v4, v[6:7] offset:2048
	v_lshlrev_b32_e32 v4, 3, v24
	;; [unrolled: 2-line block ×10, first 2 shown]
	v_mov_b32_e32 v17, s63
	ds_write_b64 v4, v[42:43] offset:2048
	v_lshlrev_b32_e32 v4, 3, v12
	ds_write_b64 v4, v[2:3] offset:2048
	s_waitcnt lgkmcnt(0)
	s_barrier
	ds_read_b64 v[6:7], v53
	ds_read2st64_b64 v[2:5], v0 offset0:4 offset1:8
	ds_read_b64 v[11:12], v54
	ds_read_b64 v[13:14], v55
	;; [unrolled: 1-line block ×3, first 2 shown]
	s_waitcnt lgkmcnt(4)
	v_lshlrev_b64 v[6:7], 3, v[6:7]
	v_add_co_u32_e32 v6, vcc, s62, v6
	v_addc_co_u32_e32 v7, vcc, v17, v7, vcc
	v_add_co_u32_e32 v6, vcc, v6, v1
	v_addc_co_u32_e32 v7, vcc, 0, v7, vcc
	s_waitcnt lgkmcnt(3)
	global_store_dwordx2 v[6:7], v[2:3], off
	s_waitcnt lgkmcnt(2)
	v_lshlrev_b64 v[2:3], 3, v[11:12]
	v_mov_b32_e32 v6, s63
	v_add_co_u32_e32 v2, vcc, s62, v2
	v_addc_co_u32_e32 v3, vcc, v6, v3, vcc
	v_add_co_u32_e32 v2, vcc, v2, v1
	v_addc_co_u32_e32 v3, vcc, 0, v3, vcc
	s_waitcnt lgkmcnt(1)
	v_lshlrev_b64 v[6:7], 3, v[13:14]
	global_store_dwordx2 v[2:3], v[4:5], off offset:2048
	ds_read2st64_b64 v[2:5], v0 offset0:12 offset1:16
	v_mov_b32_e32 v11, s63
	v_add_co_u32_e32 v6, vcc, s62, v6
	v_addc_co_u32_e32 v7, vcc, v11, v7, vcc
	v_or_b32_e32 v11, 0x1000, v1
	v_add_co_u32_e32 v6, vcc, v6, v11
	v_addc_co_u32_e32 v7, vcc, 0, v7, vcc
	s_waitcnt lgkmcnt(0)
	global_store_dwordx2 v[6:7], v[2:3], off
	v_lshlrev_b64 v[2:3], 3, v[15:16]
	v_mov_b32_e32 v6, s63
	v_add_co_u32_e32 v2, vcc, s62, v2
	v_addc_co_u32_e32 v3, vcc, v6, v3, vcc
	v_or_b32_e32 v6, 0x1800, v1
	v_add_co_u32_e32 v2, vcc, v2, v6
	v_addc_co_u32_e32 v3, vcc, 0, v3, vcc
	global_store_dwordx2 v[2:3], v[4:5], off
	ds_read_b64 v[6:7], v57
	ds_read2st64_b64 v[2:5], v0 offset0:20 offset1:24
	ds_read_b64 v[11:12], v21
	ds_read_b64 v[13:14], v23
	;; [unrolled: 1-line block ×3, first 2 shown]
	s_waitcnt lgkmcnt(4)
	v_lshlrev_b64 v[6:7], 3, v[6:7]
	v_add_co_u32_e32 v6, vcc, s62, v6
	v_addc_co_u32_e32 v7, vcc, v17, v7, vcc
	v_or_b32_e32 v17, 0x2000, v1
	v_add_co_u32_e32 v6, vcc, v6, v17
	v_addc_co_u32_e32 v7, vcc, 0, v7, vcc
	s_waitcnt lgkmcnt(3)
	global_store_dwordx2 v[6:7], v[2:3], off
	s_waitcnt lgkmcnt(2)
	v_lshlrev_b64 v[2:3], 3, v[11:12]
	v_mov_b32_e32 v6, s63
	v_add_co_u32_e32 v2, vcc, s62, v2
	v_addc_co_u32_e32 v3, vcc, v6, v3, vcc
	v_or_b32_e32 v6, 0x2800, v1
	v_add_co_u32_e32 v2, vcc, v2, v6
	v_addc_co_u32_e32 v3, vcc, 0, v3, vcc
	s_waitcnt lgkmcnt(1)
	v_lshlrev_b64 v[6:7], 3, v[13:14]
	global_store_dwordx2 v[2:3], v[4:5], off
	ds_read2st64_b64 v[2:5], v0 offset0:28 offset1:32
	v_mov_b32_e32 v11, s63
	v_add_co_u32_e32 v6, vcc, s62, v6
	v_addc_co_u32_e32 v7, vcc, v11, v7, vcc
	v_or_b32_e32 v11, 0x3000, v1
	v_add_co_u32_e32 v6, vcc, v6, v11
	v_addc_co_u32_e32 v7, vcc, 0, v7, vcc
	s_waitcnt lgkmcnt(0)
	global_store_dwordx2 v[6:7], v[2:3], off
	v_lshlrev_b64 v[2:3], 3, v[15:16]
	v_mov_b32_e32 v6, s63
	v_add_co_u32_e32 v2, vcc, s62, v2
	v_addc_co_u32_e32 v3, vcc, v6, v3, vcc
	v_or_b32_e32 v6, 0x3800, v1
	v_add_co_u32_e32 v2, vcc, v2, v6
	v_addc_co_u32_e32 v3, vcc, 0, v3, vcc
	global_store_dwordx2 v[2:3], v[4:5], off
	ds_read_b64 v[6:7], v60
	ds_read2st64_b64 v[2:5], v0 offset0:36 offset1:40
	ds_read_b64 v[11:12], v62
	ds_read_b64 v[13:14], v63
	;; [unrolled: 1-line block ×3, first 2 shown]
	s_waitcnt lgkmcnt(4)
	v_lshlrev_b64 v[6:7], 3, v[6:7]
	v_mov_b32_e32 v17, s63
	v_add_co_u32_e32 v6, vcc, s62, v6
	v_addc_co_u32_e32 v7, vcc, v17, v7, vcc
	v_lshlrev_b32_e32 v17, 3, v61
	v_add_co_u32_e32 v6, vcc, v6, v17
	v_addc_co_u32_e32 v7, vcc, 0, v7, vcc
	s_waitcnt lgkmcnt(3)
	global_store_dwordx2 v[6:7], v[2:3], off
	s_waitcnt lgkmcnt(2)
	v_lshlrev_b64 v[2:3], 3, v[11:12]
	v_mov_b32_e32 v6, s63
	v_add_co_u32_e32 v2, vcc, s62, v2
	v_addc_co_u32_e32 v3, vcc, v6, v3, vcc
	v_lshlrev_b32_e32 v6, 3, v8
	v_add_co_u32_e32 v2, vcc, v2, v6
	v_addc_co_u32_e32 v3, vcc, 0, v3, vcc
	s_waitcnt lgkmcnt(1)
	v_lshlrev_b64 v[6:7], 3, v[13:14]
	global_store_dwordx2 v[2:3], v[4:5], off
	ds_read2st64_b64 v[2:5], v0 offset0:44 offset1:48
	v_mov_b32_e32 v0, s63
	v_add_co_u32_e32 v6, vcc, s62, v6
	v_addc_co_u32_e32 v0, vcc, v0, v7, vcc
	v_lshlrev_b32_e32 v7, 3, v65
	v_add_co_u32_e32 v6, vcc, v6, v7
	v_addc_co_u32_e32 v7, vcc, 0, v0, vcc
	s_waitcnt lgkmcnt(0)
	global_store_dwordx2 v[6:7], v[2:3], off
	v_lshlrev_b64 v[2:3], 3, v[15:16]
	v_mov_b32_e32 v0, s63
	v_add_co_u32_e32 v2, vcc, s62, v2
	v_addc_co_u32_e32 v0, vcc, v0, v3, vcc
	v_lshlrev_b32_e32 v3, 3, v48
	v_add_co_u32_e32 v2, vcc, v2, v3
	v_addc_co_u32_e32 v3, vcc, 0, v0, vcc
	global_store_dwordx2 v[2:3], v[4:5], off
	s_cbranch_scc1 .LBB62_195
; %bb.194:
	ds_read_b64 v[2:3], v1
	v_add_co_u32_e32 v0, vcc, v10, v9
	v_addc_co_u32_e64 v4, s[0:1], 0, 0, vcc
	s_waitcnt lgkmcnt(0)
	v_add_co_u32_e32 v2, vcc, v0, v2
	v_addc_co_u32_e32 v3, vcc, v4, v3, vcc
	global_store_dwordx2 v1, v[2:3], s[66:67]
.LBB62_195:
	s_endpgm
.LBB62_196:
	s_or_b64 exec, exec, s[0:1]
	s_and_saveexec_b64 s[0:1], s[26:27]
	s_cbranch_execz .LBB62_139
.LBB62_197:
	v_lshlrev_b32_e32 v3, 3, v62
	ds_read_b64 v[3:4], v3
	ds_read_b64 v[5:6], v32 offset:4096
	v_mov_b32_e32 v7, s63
	s_waitcnt lgkmcnt(1)
	v_lshlrev_b64 v[3:4], 3, v[3:4]
	v_add_co_u32_e32 v3, vcc, s62, v3
	v_addc_co_u32_e32 v4, vcc, v7, v4, vcc
	v_add_co_u32_e32 v3, vcc, v3, v32
	v_addc_co_u32_e32 v4, vcc, 0, v4, vcc
	s_waitcnt lgkmcnt(0)
	global_store_dwordx2 v[3:4], v[5:6], off offset:2048
	s_or_b64 exec, exec, s[0:1]
	s_and_saveexec_b64 s[0:1], s[28:29]
	s_cbranch_execnz .LBB62_140
.LBB62_198:
	s_or_b64 exec, exec, s[0:1]
	s_and_saveexec_b64 s[0:1], s[30:31]
	s_cbranch_execz .LBB62_141
.LBB62_199:
	v_lshlrev_b32_e32 v3, 3, v60
	ds_read_b64 v[3:4], v3
	ds_read_b64 v[5:6], v32 offset:8192
	v_mov_b32_e32 v7, s63
	s_waitcnt lgkmcnt(1)
	v_lshlrev_b64 v[3:4], 3, v[3:4]
	v_add_co_u32_e32 v3, vcc, s62, v3
	v_addc_co_u32_e32 v4, vcc, v7, v4, vcc
	v_lshlrev_b32_e32 v7, 3, v46
	v_add_co_u32_e32 v3, vcc, v3, v7
	v_addc_co_u32_e32 v4, vcc, 0, v4, vcc
	s_waitcnt lgkmcnt(0)
	global_store_dwordx2 v[3:4], v[5:6], off
	s_or_b64 exec, exec, s[0:1]
	s_and_saveexec_b64 s[0:1], s[34:35]
	s_cbranch_execnz .LBB62_142
.LBB62_200:
	s_or_b64 exec, exec, s[0:1]
	s_and_saveexec_b64 s[0:1], s[36:37]
	s_cbranch_execz .LBB62_143
.LBB62_201:
	v_lshlrev_b32_e32 v3, 3, v58
	ds_read_b64 v[3:4], v3
	ds_read_b64 v[5:6], v32 offset:12288
	v_mov_b32_e32 v7, s63
	s_waitcnt lgkmcnt(1)
	v_lshlrev_b64 v[3:4], 3, v[3:4]
	v_add_co_u32_e32 v3, vcc, s62, v3
	v_addc_co_u32_e32 v4, vcc, v7, v4, vcc
	v_lshlrev_b32_e32 v7, 3, v48
	v_add_co_u32_e32 v3, vcc, v3, v7
	v_addc_co_u32_e32 v4, vcc, 0, v4, vcc
	s_waitcnt lgkmcnt(0)
	global_store_dwordx2 v[3:4], v[5:6], off
	s_or_b64 exec, exec, s[0:1]
	s_and_saveexec_b64 s[0:1], s[38:39]
	s_cbranch_execnz .LBB62_144
.LBB62_202:
	s_or_b64 exec, exec, s[0:1]
	s_and_saveexec_b64 s[0:1], s[40:41]
	s_cbranch_execz .LBB62_145
.LBB62_203:
	v_lshlrev_b32_e32 v3, 3, v56
	ds_read_b64 v[3:4], v3
	ds_read_b64 v[5:6], v32 offset:16384
	v_mov_b32_e32 v7, s63
	s_waitcnt lgkmcnt(1)
	v_lshlrev_b64 v[3:4], 3, v[3:4]
	v_add_co_u32_e32 v3, vcc, s62, v3
	v_addc_co_u32_e32 v4, vcc, v7, v4, vcc
	v_lshlrev_b32_e32 v7, 3, v50
	v_add_co_u32_e32 v3, vcc, v3, v7
	v_addc_co_u32_e32 v4, vcc, 0, v4, vcc
	s_waitcnt lgkmcnt(0)
	global_store_dwordx2 v[3:4], v[5:6], off
	s_or_b64 exec, exec, s[0:1]
	s_and_saveexec_b64 s[0:1], s[42:43]
	s_cbranch_execnz .LBB62_146
.LBB62_204:
	s_or_b64 exec, exec, s[0:1]
	s_and_saveexec_b64 s[0:1], s[44:45]
	s_cbranch_execz .LBB62_147
.LBB62_205:
	v_lshlrev_b32_e32 v3, 3, v28
	ds_read_b64 v[3:4], v3
	ds_read_b64 v[5:6], v32 offset:20480
	v_mov_b32_e32 v7, s63
	s_waitcnt lgkmcnt(1)
	v_lshlrev_b64 v[3:4], 3, v[3:4]
	v_add_co_u32_e32 v3, vcc, s62, v3
	v_addc_co_u32_e32 v4, vcc, v7, v4, vcc
	v_lshlrev_b32_e32 v7, 3, v52
	v_add_co_u32_e32 v3, vcc, v3, v7
	v_addc_co_u32_e32 v4, vcc, 0, v4, vcc
	s_waitcnt lgkmcnt(0)
	global_store_dwordx2 v[3:4], v[5:6], off
	s_or_b64 exec, exec, s[0:1]
	s_and_saveexec_b64 s[0:1], s[46:47]
	s_cbranch_execnz .LBB62_148
.LBB62_206:
	s_or_b64 exec, exec, s[0:1]
	s_and_saveexec_b64 s[0:1], s[48:49]
	s_cbranch_execz .LBB62_149
.LBB62_207:
	v_lshlrev_b32_e32 v3, 3, v27
	ds_read_b64 v[3:4], v3
	ds_read_b64 v[5:6], v32 offset:24576
	v_mov_b32_e32 v7, s63
	s_waitcnt lgkmcnt(1)
	v_lshlrev_b64 v[3:4], 3, v[3:4]
	v_add_co_u32_e32 v3, vcc, s62, v3
	v_addc_co_u32_e32 v4, vcc, v7, v4, vcc
	v_lshlrev_b32_e32 v7, 3, v54
	v_add_co_u32_e32 v3, vcc, v3, v7
	v_addc_co_u32_e32 v4, vcc, 0, v4, vcc
	s_waitcnt lgkmcnt(0)
	global_store_dwordx2 v[3:4], v[5:6], off
	s_or_b64 exec, exec, s[0:1]
	s_add_i32 s33, s33, -1
	s_cmp_eq_u32 s6, s33
	s_cbranch_scc1 .LBB62_150
	s_branch .LBB62_151
	.section	.rodata,"a",@progbits
	.p2align	6, 0x0
	.amdhsa_kernel _ZN7rocprim17ROCPRIM_304000_NS6detail25onesweep_iteration_kernelINS1_34wrapped_radix_sort_onesweep_configINS0_14default_configEsN2at4cuda3cub6detail10OpaqueTypeILi8EEEEELb1EPKsPsPKSA_PSA_mNS0_19identity_decomposerEEEvT1_T2_T3_T4_jPT5_SO_PNS1_23onesweep_lookback_stateET6_jjj
		.amdhsa_group_segment_fixed_size 26624
		.amdhsa_private_segment_fixed_size 0
		.amdhsa_kernarg_size 336
		.amdhsa_user_sgpr_count 6
		.amdhsa_user_sgpr_private_segment_buffer 1
		.amdhsa_user_sgpr_dispatch_ptr 0
		.amdhsa_user_sgpr_queue_ptr 0
		.amdhsa_user_sgpr_kernarg_segment_ptr 1
		.amdhsa_user_sgpr_dispatch_id 0
		.amdhsa_user_sgpr_flat_scratch_init 0
		.amdhsa_user_sgpr_private_segment_size 0
		.amdhsa_uses_dynamic_stack 0
		.amdhsa_system_sgpr_private_segment_wavefront_offset 0
		.amdhsa_system_sgpr_workgroup_id_x 1
		.amdhsa_system_sgpr_workgroup_id_y 0
		.amdhsa_system_sgpr_workgroup_id_z 0
		.amdhsa_system_sgpr_workgroup_info 0
		.amdhsa_system_vgpr_workitem_id 2
		.amdhsa_next_free_vgpr 85
		.amdhsa_next_free_sgpr 98
		.amdhsa_reserve_vcc 1
		.amdhsa_reserve_flat_scratch 0
		.amdhsa_float_round_mode_32 0
		.amdhsa_float_round_mode_16_64 0
		.amdhsa_float_denorm_mode_32 3
		.amdhsa_float_denorm_mode_16_64 3
		.amdhsa_dx10_clamp 1
		.amdhsa_ieee_mode 1
		.amdhsa_fp16_overflow 0
		.amdhsa_exception_fp_ieee_invalid_op 0
		.amdhsa_exception_fp_denorm_src 0
		.amdhsa_exception_fp_ieee_div_zero 0
		.amdhsa_exception_fp_ieee_overflow 0
		.amdhsa_exception_fp_ieee_underflow 0
		.amdhsa_exception_fp_ieee_inexact 0
		.amdhsa_exception_int_div_zero 0
	.end_amdhsa_kernel
	.section	.text._ZN7rocprim17ROCPRIM_304000_NS6detail25onesweep_iteration_kernelINS1_34wrapped_radix_sort_onesweep_configINS0_14default_configEsN2at4cuda3cub6detail10OpaqueTypeILi8EEEEELb1EPKsPsPKSA_PSA_mNS0_19identity_decomposerEEEvT1_T2_T3_T4_jPT5_SO_PNS1_23onesweep_lookback_stateET6_jjj,"axG",@progbits,_ZN7rocprim17ROCPRIM_304000_NS6detail25onesweep_iteration_kernelINS1_34wrapped_radix_sort_onesweep_configINS0_14default_configEsN2at4cuda3cub6detail10OpaqueTypeILi8EEEEELb1EPKsPsPKSA_PSA_mNS0_19identity_decomposerEEEvT1_T2_T3_T4_jPT5_SO_PNS1_23onesweep_lookback_stateET6_jjj,comdat
.Lfunc_end62:
	.size	_ZN7rocprim17ROCPRIM_304000_NS6detail25onesweep_iteration_kernelINS1_34wrapped_radix_sort_onesweep_configINS0_14default_configEsN2at4cuda3cub6detail10OpaqueTypeILi8EEEEELb1EPKsPsPKSA_PSA_mNS0_19identity_decomposerEEEvT1_T2_T3_T4_jPT5_SO_PNS1_23onesweep_lookback_stateET6_jjj, .Lfunc_end62-_ZN7rocprim17ROCPRIM_304000_NS6detail25onesweep_iteration_kernelINS1_34wrapped_radix_sort_onesweep_configINS0_14default_configEsN2at4cuda3cub6detail10OpaqueTypeILi8EEEEELb1EPKsPsPKSA_PSA_mNS0_19identity_decomposerEEEvT1_T2_T3_T4_jPT5_SO_PNS1_23onesweep_lookback_stateET6_jjj
                                        ; -- End function
	.set _ZN7rocprim17ROCPRIM_304000_NS6detail25onesweep_iteration_kernelINS1_34wrapped_radix_sort_onesweep_configINS0_14default_configEsN2at4cuda3cub6detail10OpaqueTypeILi8EEEEELb1EPKsPsPKSA_PSA_mNS0_19identity_decomposerEEEvT1_T2_T3_T4_jPT5_SO_PNS1_23onesweep_lookback_stateET6_jjj.num_vgpr, 66
	.set _ZN7rocprim17ROCPRIM_304000_NS6detail25onesweep_iteration_kernelINS1_34wrapped_radix_sort_onesweep_configINS0_14default_configEsN2at4cuda3cub6detail10OpaqueTypeILi8EEEEELb1EPKsPsPKSA_PSA_mNS0_19identity_decomposerEEEvT1_T2_T3_T4_jPT5_SO_PNS1_23onesweep_lookback_stateET6_jjj.num_agpr, 0
	.set _ZN7rocprim17ROCPRIM_304000_NS6detail25onesweep_iteration_kernelINS1_34wrapped_radix_sort_onesweep_configINS0_14default_configEsN2at4cuda3cub6detail10OpaqueTypeILi8EEEEELb1EPKsPsPKSA_PSA_mNS0_19identity_decomposerEEEvT1_T2_T3_T4_jPT5_SO_PNS1_23onesweep_lookback_stateET6_jjj.numbered_sgpr, 75
	.set _ZN7rocprim17ROCPRIM_304000_NS6detail25onesweep_iteration_kernelINS1_34wrapped_radix_sort_onesweep_configINS0_14default_configEsN2at4cuda3cub6detail10OpaqueTypeILi8EEEEELb1EPKsPsPKSA_PSA_mNS0_19identity_decomposerEEEvT1_T2_T3_T4_jPT5_SO_PNS1_23onesweep_lookback_stateET6_jjj.num_named_barrier, 0
	.set _ZN7rocprim17ROCPRIM_304000_NS6detail25onesweep_iteration_kernelINS1_34wrapped_radix_sort_onesweep_configINS0_14default_configEsN2at4cuda3cub6detail10OpaqueTypeILi8EEEEELb1EPKsPsPKSA_PSA_mNS0_19identity_decomposerEEEvT1_T2_T3_T4_jPT5_SO_PNS1_23onesweep_lookback_stateET6_jjj.private_seg_size, 0
	.set _ZN7rocprim17ROCPRIM_304000_NS6detail25onesweep_iteration_kernelINS1_34wrapped_radix_sort_onesweep_configINS0_14default_configEsN2at4cuda3cub6detail10OpaqueTypeILi8EEEEELb1EPKsPsPKSA_PSA_mNS0_19identity_decomposerEEEvT1_T2_T3_T4_jPT5_SO_PNS1_23onesweep_lookback_stateET6_jjj.uses_vcc, 1
	.set _ZN7rocprim17ROCPRIM_304000_NS6detail25onesweep_iteration_kernelINS1_34wrapped_radix_sort_onesweep_configINS0_14default_configEsN2at4cuda3cub6detail10OpaqueTypeILi8EEEEELb1EPKsPsPKSA_PSA_mNS0_19identity_decomposerEEEvT1_T2_T3_T4_jPT5_SO_PNS1_23onesweep_lookback_stateET6_jjj.uses_flat_scratch, 0
	.set _ZN7rocprim17ROCPRIM_304000_NS6detail25onesweep_iteration_kernelINS1_34wrapped_radix_sort_onesweep_configINS0_14default_configEsN2at4cuda3cub6detail10OpaqueTypeILi8EEEEELb1EPKsPsPKSA_PSA_mNS0_19identity_decomposerEEEvT1_T2_T3_T4_jPT5_SO_PNS1_23onesweep_lookback_stateET6_jjj.has_dyn_sized_stack, 0
	.set _ZN7rocprim17ROCPRIM_304000_NS6detail25onesweep_iteration_kernelINS1_34wrapped_radix_sort_onesweep_configINS0_14default_configEsN2at4cuda3cub6detail10OpaqueTypeILi8EEEEELb1EPKsPsPKSA_PSA_mNS0_19identity_decomposerEEEvT1_T2_T3_T4_jPT5_SO_PNS1_23onesweep_lookback_stateET6_jjj.has_recursion, 0
	.set _ZN7rocprim17ROCPRIM_304000_NS6detail25onesweep_iteration_kernelINS1_34wrapped_radix_sort_onesweep_configINS0_14default_configEsN2at4cuda3cub6detail10OpaqueTypeILi8EEEEELb1EPKsPsPKSA_PSA_mNS0_19identity_decomposerEEEvT1_T2_T3_T4_jPT5_SO_PNS1_23onesweep_lookback_stateET6_jjj.has_indirect_call, 0
	.section	.AMDGPU.csdata,"",@progbits
; Kernel info:
; codeLenInByte = 19376
; TotalNumSgprs: 79
; NumVgprs: 66
; ScratchSize: 0
; MemoryBound: 0
; FloatMode: 240
; IeeeMode: 1
; LDSByteSize: 26624 bytes/workgroup (compile time only)
; SGPRBlocks: 12
; VGPRBlocks: 21
; NumSGPRsForWavesPerEU: 102
; NumVGPRsForWavesPerEU: 85
; Occupancy: 2
; WaveLimiterHint : 1
; COMPUTE_PGM_RSRC2:SCRATCH_EN: 0
; COMPUTE_PGM_RSRC2:USER_SGPR: 6
; COMPUTE_PGM_RSRC2:TRAP_HANDLER: 0
; COMPUTE_PGM_RSRC2:TGID_X_EN: 1
; COMPUTE_PGM_RSRC2:TGID_Y_EN: 0
; COMPUTE_PGM_RSRC2:TGID_Z_EN: 0
; COMPUTE_PGM_RSRC2:TIDIG_COMP_CNT: 2
	.section	.text._ZN7rocprim17ROCPRIM_304000_NS6detail25onesweep_iteration_kernelINS1_34wrapped_radix_sort_onesweep_configINS0_14default_configEsN2at4cuda3cub6detail10OpaqueTypeILi8EEEEELb1EPsSC_PSA_SD_mNS0_19identity_decomposerEEEvT1_T2_T3_T4_jPT5_SK_PNS1_23onesweep_lookback_stateET6_jjj,"axG",@progbits,_ZN7rocprim17ROCPRIM_304000_NS6detail25onesweep_iteration_kernelINS1_34wrapped_radix_sort_onesweep_configINS0_14default_configEsN2at4cuda3cub6detail10OpaqueTypeILi8EEEEELb1EPsSC_PSA_SD_mNS0_19identity_decomposerEEEvT1_T2_T3_T4_jPT5_SK_PNS1_23onesweep_lookback_stateET6_jjj,comdat
	.protected	_ZN7rocprim17ROCPRIM_304000_NS6detail25onesweep_iteration_kernelINS1_34wrapped_radix_sort_onesweep_configINS0_14default_configEsN2at4cuda3cub6detail10OpaqueTypeILi8EEEEELb1EPsSC_PSA_SD_mNS0_19identity_decomposerEEEvT1_T2_T3_T4_jPT5_SK_PNS1_23onesweep_lookback_stateET6_jjj ; -- Begin function _ZN7rocprim17ROCPRIM_304000_NS6detail25onesweep_iteration_kernelINS1_34wrapped_radix_sort_onesweep_configINS0_14default_configEsN2at4cuda3cub6detail10OpaqueTypeILi8EEEEELb1EPsSC_PSA_SD_mNS0_19identity_decomposerEEEvT1_T2_T3_T4_jPT5_SK_PNS1_23onesweep_lookback_stateET6_jjj
	.globl	_ZN7rocprim17ROCPRIM_304000_NS6detail25onesweep_iteration_kernelINS1_34wrapped_radix_sort_onesweep_configINS0_14default_configEsN2at4cuda3cub6detail10OpaqueTypeILi8EEEEELb1EPsSC_PSA_SD_mNS0_19identity_decomposerEEEvT1_T2_T3_T4_jPT5_SK_PNS1_23onesweep_lookback_stateET6_jjj
	.p2align	8
	.type	_ZN7rocprim17ROCPRIM_304000_NS6detail25onesweep_iteration_kernelINS1_34wrapped_radix_sort_onesweep_configINS0_14default_configEsN2at4cuda3cub6detail10OpaqueTypeILi8EEEEELb1EPsSC_PSA_SD_mNS0_19identity_decomposerEEEvT1_T2_T3_T4_jPT5_SK_PNS1_23onesweep_lookback_stateET6_jjj,@function
_ZN7rocprim17ROCPRIM_304000_NS6detail25onesweep_iteration_kernelINS1_34wrapped_radix_sort_onesweep_configINS0_14default_configEsN2at4cuda3cub6detail10OpaqueTypeILi8EEEEELb1EPsSC_PSA_SD_mNS0_19identity_decomposerEEEvT1_T2_T3_T4_jPT5_SK_PNS1_23onesweep_lookback_stateET6_jjj: ; @_ZN7rocprim17ROCPRIM_304000_NS6detail25onesweep_iteration_kernelINS1_34wrapped_radix_sort_onesweep_configINS0_14default_configEsN2at4cuda3cub6detail10OpaqueTypeILi8EEEEELb1EPsSC_PSA_SD_mNS0_19identity_decomposerEEEvT1_T2_T3_T4_jPT5_SK_PNS1_23onesweep_lookback_stateET6_jjj
; %bb.0:
	s_load_dwordx8 s[56:63], s[4:5], 0x0
	s_load_dwordx4 s[68:71], s[4:5], 0x44
	s_load_dwordx4 s[64:67], s[4:5], 0x28
	s_load_dwordx2 s[72:73], s[4:5], 0x38
	s_mov_b32 s7, s6
	s_mov_b64 s[0:1], -1
	s_waitcnt lgkmcnt(0)
	s_cmp_ge_u32 s6, s70
	s_mul_i32 s54, s6, 0xc00
	v_mbcnt_lo_u32_b32 v29, -1, 0
	s_cbranch_scc0 .LBB63_152
; %bb.1:
	s_load_dword s2, s[4:5], 0x20
	s_mulk_i32 s70, 0xf400
	s_mov_b32 s55, 0
	s_lshl_b64 s[0:1], s[54:55], 1
	v_mbcnt_hi_u32_b32 v13, -1, v29
	s_waitcnt lgkmcnt(0)
	s_add_i32 s70, s70, s2
	s_add_u32 s0, s56, s0
	s_addc_u32 s1, s57, s1
	v_and_b32_e32 v15, 0xc0, v0
	v_lshlrev_b32_e32 v3, 1, v13
	v_mul_u32_u24_e32 v14, 12, v15
	v_mov_b32_e32 v4, s1
	v_add_co_u32_e32 v3, vcc, s0, v3
	v_addc_co_u32_e32 v4, vcc, 0, v4, vcc
	v_lshlrev_b32_e32 v5, 1, v14
	v_add_co_u32_e32 v11, vcc, v3, v5
	v_addc_co_u32_e32 v12, vcc, 0, v4, vcc
	v_or_b32_e32 v16, v13, v14
	v_mov_b32_e32 v3, 0x80008000
	v_cmp_gt_u32_e32 vcc, s70, v16
	v_mov_b32_e32 v4, v3
	v_mov_b32_e32 v5, v3
	;; [unrolled: 1-line block ×5, first 2 shown]
	s_and_saveexec_b64 s[0:1], vcc
	s_cbranch_execz .LBB63_3
; %bb.2:
	global_load_ushort v4, v[11:12], off
	s_movk_i32 s2, 0x8000
	v_mov_b32_e32 v9, 0x5040100
	v_mov_b32_e32 v5, v3
	;; [unrolled: 1-line block ×5, first 2 shown]
	s_waitcnt vmcnt(0)
	v_perm_b32 v4, s2, v4, v9
	v_mov_b32_e32 v9, v3
	v_mov_b32_e32 v3, v4
	;; [unrolled: 1-line block ×9, first 2 shown]
.LBB63_3:
	s_or_b64 exec, exec, s[0:1]
	v_add_u32_e32 v9, 64, v16
	v_cmp_gt_u32_e64 s[0:1], s70, v9
	s_and_saveexec_b64 s[2:3], s[0:1]
	s_cbranch_execz .LBB63_5
; %bb.4:
	global_load_ushort v9, v[11:12], off offset:128
	s_mov_b32 s8, 0x5040100
	s_waitcnt vmcnt(0)
	v_perm_b32 v3, v9, v3, s8
.LBB63_5:
	s_or_b64 exec, exec, s[2:3]
	v_add_u32_e32 v9, 0x80, v16
	v_cmp_gt_u32_e64 s[2:3], s70, v9
	s_and_saveexec_b64 s[8:9], s[2:3]
	s_cbranch_execz .LBB63_7
; %bb.6:
	global_load_ushort v9, v[11:12], off offset:256
	s_mov_b32 s10, 0xffff
	s_waitcnt vmcnt(0)
	v_bfi_b32 v4, s10, v9, v4
.LBB63_7:
	s_or_b64 exec, exec, s[8:9]
	v_add_u32_e32 v9, 0xc0, v16
	v_cmp_gt_u32_e64 s[50:51], s70, v9
	s_and_saveexec_b64 s[8:9], s[50:51]
	s_cbranch_execz .LBB63_9
; %bb.8:
	global_load_ushort v9, v[11:12], off offset:384
	s_mov_b32 s10, 0x5040100
	s_waitcnt vmcnt(0)
	v_perm_b32 v4, v9, v4, s10
.LBB63_9:
	s_or_b64 exec, exec, s[8:9]
	v_add_u32_e32 v9, 0x100, v16
	v_cmp_gt_u32_e64 s[8:9], s70, v9
	s_and_saveexec_b64 s[10:11], s[8:9]
	s_cbranch_execz .LBB63_11
; %bb.10:
	global_load_ushort v9, v[11:12], off offset:512
	s_mov_b32 s12, 0xffff
	s_waitcnt vmcnt(0)
	v_bfi_b32 v5, s12, v9, v5
.LBB63_11:
	;; [unrolled: 22-line block ×5, first 2 shown]
	s_or_b64 exec, exec, s[22:23]
	v_add_u32_e32 v9, 0x2c0, v16
	v_cmp_gt_u32_e64 s[22:23], s70, v9
	s_and_saveexec_b64 s[24:25], s[22:23]
	s_cbranch_execz .LBB63_25
; %bb.24:
	global_load_ushort v9, v[11:12], off offset:1408
	s_mov_b32 s26, 0x5040100
	s_waitcnt vmcnt(0)
	v_perm_b32 v8, v9, v8, s26
.LBB63_25:
	s_or_b64 exec, exec, s[24:25]
	s_load_dword s24, s[4:5], 0x5c
	s_load_dword s33, s[4:5], 0x50
	s_add_u32 s25, s4, 0x50
	s_addc_u32 s26, s5, 0
	v_mov_b32_e32 v9, 0
	s_waitcnt lgkmcnt(0)
	s_lshr_b32 s27, s24, 16
	s_cmp_lt_u32 s6, s33
	s_cselect_b32 s24, 12, 18
	s_add_u32 s24, s25, s24
	s_addc_u32 s25, s26, 0
	global_load_ushort v11, v9, s[24:25]
	v_xor_b32_e32 v12, 0x7fff, v3
	s_lshl_b32 s24, -1, s69
	v_lshrrev_b32_sdwa v10, s68, v12 dst_sel:DWORD dst_unused:UNUSED_PAD src0_sel:DWORD src1_sel:WORD_0
	s_not_b32 s74, s24
	v_and_b32_e32 v18, s74, v10
	v_and_b32_e32 v20, 1, v18
	v_add_co_u32_e64 v21, s[24:25], -1, v20
	v_lshlrev_b32_e32 v10, 30, v18
	v_addc_co_u32_e64 v22, s[24:25], 0, -1, s[24:25]
	v_mad_u32_u24 v17, v2, s27, v1
	v_cmp_ne_u32_e64 s[24:25], 0, v20
	v_cmp_gt_i64_e64 s[26:27], 0, v[9:10]
	v_not_b32_e32 v20, v10
	v_lshlrev_b32_e32 v10, 29, v18
	v_xor_b32_e32 v22, s25, v22
	v_xor_b32_e32 v21, s24, v21
	v_ashrrev_i32_e32 v20, 31, v20
	v_cmp_gt_i64_e64 s[24:25], 0, v[9:10]
	v_not_b32_e32 v23, v10
	v_lshlrev_b32_e32 v10, 28, v18
	v_and_b32_e32 v22, exec_hi, v22
	v_and_b32_e32 v21, exec_lo, v21
	v_xor_b32_e32 v24, s27, v20
	v_xor_b32_e32 v20, s26, v20
	v_ashrrev_i32_e32 v23, 31, v23
	v_cmp_gt_i64_e64 s[26:27], 0, v[9:10]
	v_not_b32_e32 v25, v10
	v_lshlrev_b32_e32 v10, 27, v18
	v_and_b32_e32 v22, v22, v24
	v_and_b32_e32 v20, v21, v20
	v_xor_b32_e32 v21, s25, v23
	v_xor_b32_e32 v23, s24, v23
	v_ashrrev_i32_e32 v24, 31, v25
	v_cmp_gt_i64_e64 s[24:25], 0, v[9:10]
	v_not_b32_e32 v25, v10
	v_lshlrev_b32_e32 v10, 26, v18
	v_and_b32_e32 v21, v22, v21
	v_and_b32_e32 v20, v20, v23
	;; [unrolled: 8-line block ×3, first 2 shown]
	v_xor_b32_e32 v22, s25, v24
	v_xor_b32_e32 v23, s24, v24
	v_ashrrev_i32_e32 v24, 31, v25
	v_cmp_gt_i64_e64 s[24:25], 0, v[9:10]
	v_not_b32_e32 v25, v10
	v_mul_u32_u24_e32 v19, 20, v18
	v_lshlrev_b32_e32 v10, 24, v18
	v_and_b32_e32 v18, v21, v22
	v_and_b32_e32 v20, v20, v23
	v_xor_b32_e32 v21, s27, v24
	v_ashrrev_i32_e32 v23, 31, v25
	v_xor_b32_e32 v22, s26, v24
	v_and_b32_e32 v18, v18, v21
	v_xor_b32_e32 v21, s25, v23
	v_and_b32_e32 v20, v20, v22
	v_xor_b32_e32 v22, s24, v23
	v_and_b32_e32 v21, v18, v21
	v_cmp_gt_i64_e64 s[26:27], 0, v[9:10]
	v_not_b32_e32 v10, v10
	v_ashrrev_i32_e32 v10, 31, v10
	v_and_b32_e32 v20, v20, v22
	v_xor_b32_e32 v22, s27, v10
	v_xor_b32_e32 v10, s26, v10
	v_and_b32_e32 v10, v20, v10
	s_movk_i32 s28, 0x7fff
	v_mul_u32_u24_e32 v16, 20, v0
	ds_write2_b32 v16, v9, v9 offset0:4 offset1:5
	ds_write2_b32 v16, v9, v9 offset0:6 offset1:7
	ds_write_b32 v16, v9 offset:32
	s_waitcnt vmcnt(0) lgkmcnt(0)
	s_barrier
	v_mad_u64_u32 v[17:18], s[24:25], v17, v11, v[0:1]
	v_and_b32_e32 v11, v21, v22
	v_cmp_ne_u64_e64 s[24:25], 0, v[10:11]
	v_lshrrev_b32_e32 v17, 4, v17
	v_and_b32_e32 v25, 0xffffffc, v17
	v_mbcnt_lo_u32_b32 v17, v10, 0
	v_mbcnt_hi_u32_b32 v18, v11, v17
	v_cmp_eq_u32_e64 s[26:27], 0, v18
	s_and_b64 s[26:27], s[24:25], s[26:27]
	v_add_u32_e32 v20, v25, v19
	; wave barrier
	s_and_saveexec_b64 s[24:25], s[26:27]
; %bb.26:
	v_bcnt_u32_b32 v10, v10, 0
	v_bcnt_u32_b32 v10, v11, v10
	ds_write_b32 v20, v10 offset:16
; %bb.27:
	s_or_b64 exec, exec, s[24:25]
	v_xor_b32_sdwa v17, v3, s28 dst_sel:DWORD dst_unused:UNUSED_PAD src0_sel:WORD_1 src1_sel:DWORD
	v_lshrrev_b32_sdwa v3, s68, v17 dst_sel:DWORD dst_unused:UNUSED_PAD src0_sel:DWORD src1_sel:WORD_0
	v_and_b32_e32 v3, s74, v3
	v_mad_u32_u24 v10, v3, 20, v25
	; wave barrier
	ds_read_b32 v19, v10 offset:16
	v_and_b32_e32 v10, 1, v3
	v_add_co_u32_e64 v21, s[24:25], -1, v10
	v_addc_co_u32_e64 v22, s[24:25], 0, -1, s[24:25]
	v_cmp_ne_u32_e64 s[24:25], 0, v10
	v_xor_b32_e32 v10, s25, v22
	v_and_b32_e32 v22, exec_hi, v10
	v_lshlrev_b32_e32 v10, 30, v3
	v_xor_b32_e32 v21, s24, v21
	v_cmp_gt_i64_e64 s[24:25], 0, v[9:10]
	v_not_b32_e32 v10, v10
	v_ashrrev_i32_e32 v10, 31, v10
	v_and_b32_e32 v21, exec_lo, v21
	v_xor_b32_e32 v23, s25, v10
	v_xor_b32_e32 v10, s24, v10
	v_and_b32_e32 v21, v21, v10
	v_lshlrev_b32_e32 v10, 29, v3
	v_cmp_gt_i64_e64 s[24:25], 0, v[9:10]
	v_not_b32_e32 v10, v10
	v_ashrrev_i32_e32 v10, 31, v10
	v_and_b32_e32 v22, v22, v23
	v_xor_b32_e32 v23, s25, v10
	v_xor_b32_e32 v10, s24, v10
	v_and_b32_e32 v21, v21, v10
	v_lshlrev_b32_e32 v10, 28, v3
	v_cmp_gt_i64_e64 s[24:25], 0, v[9:10]
	v_not_b32_e32 v10, v10
	v_ashrrev_i32_e32 v10, 31, v10
	v_and_b32_e32 v22, v22, v23
	;; [unrolled: 8-line block ×5, first 2 shown]
	v_xor_b32_e32 v23, s25, v10
	v_xor_b32_e32 v10, s24, v10
	v_and_b32_e32 v21, v21, v10
	v_lshlrev_b32_e32 v10, 24, v3
	v_mul_u32_u24_e32 v11, 20, v3
	v_cmp_gt_i64_e64 s[24:25], 0, v[9:10]
	v_not_b32_e32 v3, v10
	v_ashrrev_i32_e32 v3, 31, v3
	v_and_b32_e32 v22, v22, v23
	v_xor_b32_e32 v9, s25, v3
	v_xor_b32_e32 v3, s24, v3
	v_and_b32_e32 v10, v22, v9
	v_and_b32_e32 v9, v21, v3
	v_mbcnt_lo_u32_b32 v3, v9, 0
	v_mbcnt_hi_u32_b32 v21, v10, v3
	v_cmp_ne_u64_e64 s[24:25], 0, v[9:10]
	v_cmp_eq_u32_e64 s[26:27], 0, v21
	s_and_b64 s[26:27], s[24:25], s[26:27]
	v_add_u32_e32 v24, v25, v11
	; wave barrier
	s_and_saveexec_b64 s[24:25], s[26:27]
	s_cbranch_execz .LBB63_29
; %bb.28:
	v_bcnt_u32_b32 v3, v9, 0
	v_bcnt_u32_b32 v3, v10, v3
	s_waitcnt lgkmcnt(0)
	v_add_u32_e32 v3, v19, v3
	ds_write_b32 v24, v3 offset:16
.LBB63_29:
	s_or_b64 exec, exec, s[24:25]
	v_xor_b32_e32 v22, 0x7fff, v4
	v_lshrrev_b32_sdwa v3, s68, v22 dst_sel:DWORD dst_unused:UNUSED_PAD src0_sel:DWORD src1_sel:WORD_0
	v_and_b32_e32 v3, s74, v3
	v_and_b32_e32 v10, 1, v3
	v_add_co_u32_e64 v11, s[24:25], -1, v10
	v_addc_co_u32_e64 v26, s[24:25], 0, -1, s[24:25]
	v_cmp_ne_u32_e64 s[24:25], 0, v10
	v_mad_u32_u24 v9, v3, 20, v25
	v_xor_b32_e32 v10, s25, v26
	; wave barrier
	ds_read_b32 v23, v9 offset:16
	v_mov_b32_e32 v9, 0
	v_and_b32_e32 v26, exec_hi, v10
	v_lshlrev_b32_e32 v10, 30, v3
	v_xor_b32_e32 v11, s24, v11
	v_cmp_gt_i64_e64 s[24:25], 0, v[9:10]
	v_not_b32_e32 v10, v10
	v_ashrrev_i32_e32 v10, 31, v10
	v_and_b32_e32 v11, exec_lo, v11
	v_xor_b32_e32 v28, s25, v10
	v_xor_b32_e32 v10, s24, v10
	v_and_b32_e32 v11, v11, v10
	v_lshlrev_b32_e32 v10, 29, v3
	v_cmp_gt_i64_e64 s[24:25], 0, v[9:10]
	v_not_b32_e32 v10, v10
	v_ashrrev_i32_e32 v10, 31, v10
	v_and_b32_e32 v26, v26, v28
	v_xor_b32_e32 v28, s25, v10
	v_xor_b32_e32 v10, s24, v10
	v_and_b32_e32 v11, v11, v10
	v_lshlrev_b32_e32 v10, 28, v3
	v_cmp_gt_i64_e64 s[24:25], 0, v[9:10]
	v_not_b32_e32 v10, v10
	v_ashrrev_i32_e32 v10, 31, v10
	v_and_b32_e32 v26, v26, v28
	;; [unrolled: 8-line block ×5, first 2 shown]
	v_xor_b32_e32 v28, s25, v10
	v_xor_b32_e32 v10, s24, v10
	v_and_b32_e32 v26, v26, v28
	v_and_b32_e32 v28, v11, v10
	v_lshlrev_b32_e32 v10, 24, v3
	v_mul_u32_u24_e32 v27, 20, v3
	v_cmp_gt_i64_e64 s[24:25], 0, v[9:10]
	v_not_b32_e32 v3, v10
	v_ashrrev_i32_e32 v3, 31, v3
	v_xor_b32_e32 v10, s25, v3
	v_xor_b32_e32 v3, s24, v3
	v_and_b32_e32 v11, v26, v10
	v_and_b32_e32 v10, v28, v3
	v_mbcnt_lo_u32_b32 v3, v10, 0
	v_mbcnt_hi_u32_b32 v26, v11, v3
	v_cmp_ne_u64_e64 s[24:25], 0, v[10:11]
	v_cmp_eq_u32_e64 s[26:27], 0, v26
	s_and_b64 s[26:27], s[24:25], s[26:27]
	v_add_u32_e32 v28, v25, v27
	; wave barrier
	s_and_saveexec_b64 s[24:25], s[26:27]
	s_cbranch_execz .LBB63_31
; %bb.30:
	v_bcnt_u32_b32 v3, v10, 0
	v_bcnt_u32_b32 v3, v11, v3
	s_waitcnt lgkmcnt(0)
	v_add_u32_e32 v3, v23, v3
	ds_write_b32 v28, v3 offset:16
.LBB63_31:
	s_or_b64 exec, exec, s[24:25]
	v_xor_b32_sdwa v11, v4, s28 dst_sel:DWORD dst_unused:UNUSED_PAD src0_sel:WORD_1 src1_sel:DWORD
	v_lshrrev_b32_sdwa v3, s68, v11 dst_sel:DWORD dst_unused:UNUSED_PAD src0_sel:DWORD src1_sel:WORD_0
	v_and_b32_e32 v3, s74, v3
	v_mad_u32_u24 v4, v3, 20, v25
	; wave barrier
	ds_read_b32 v27, v4 offset:16
	v_and_b32_e32 v4, 1, v3
	v_add_co_u32_e64 v10, s[24:25], -1, v4
	v_addc_co_u32_e64 v31, s[24:25], 0, -1, s[24:25]
	v_cmp_ne_u32_e64 s[24:25], 0, v4
	v_xor_b32_e32 v10, s24, v10
	v_xor_b32_e32 v4, s25, v31
	v_and_b32_e32 v31, exec_lo, v10
	v_lshlrev_b32_e32 v10, 30, v3
	v_cmp_gt_i64_e64 s[24:25], 0, v[9:10]
	v_not_b32_e32 v10, v10
	v_ashrrev_i32_e32 v10, 31, v10
	v_xor_b32_e32 v32, s25, v10
	v_xor_b32_e32 v10, s24, v10
	v_and_b32_e32 v31, v31, v10
	v_lshlrev_b32_e32 v10, 29, v3
	v_cmp_gt_i64_e64 s[24:25], 0, v[9:10]
	v_not_b32_e32 v10, v10
	v_and_b32_e32 v4, exec_hi, v4
	v_ashrrev_i32_e32 v10, 31, v10
	v_and_b32_e32 v4, v4, v32
	v_xor_b32_e32 v32, s25, v10
	v_xor_b32_e32 v10, s24, v10
	v_and_b32_e32 v31, v31, v10
	v_lshlrev_b32_e32 v10, 28, v3
	v_cmp_gt_i64_e64 s[24:25], 0, v[9:10]
	v_not_b32_e32 v10, v10
	v_ashrrev_i32_e32 v10, 31, v10
	v_and_b32_e32 v4, v4, v32
	v_xor_b32_e32 v32, s25, v10
	v_xor_b32_e32 v10, s24, v10
	v_and_b32_e32 v31, v31, v10
	v_lshlrev_b32_e32 v10, 27, v3
	v_cmp_gt_i64_e64 s[24:25], 0, v[9:10]
	v_not_b32_e32 v10, v10
	;; [unrolled: 8-line block ×4, first 2 shown]
	v_ashrrev_i32_e32 v10, 31, v10
	v_and_b32_e32 v4, v4, v32
	v_xor_b32_e32 v32, s25, v10
	v_xor_b32_e32 v10, s24, v10
	v_and_b32_e32 v31, v31, v10
	v_lshlrev_b32_e32 v10, 24, v3
	v_mul_u32_u24_e32 v30, 20, v3
	v_cmp_gt_i64_e64 s[24:25], 0, v[9:10]
	v_not_b32_e32 v3, v10
	v_ashrrev_i32_e32 v3, 31, v3
	v_xor_b32_e32 v9, s25, v3
	v_xor_b32_e32 v3, s24, v3
	v_and_b32_e32 v4, v4, v32
	v_and_b32_e32 v3, v31, v3
	;; [unrolled: 1-line block ×3, first 2 shown]
	v_mbcnt_lo_u32_b32 v9, v3, 0
	v_mbcnt_hi_u32_b32 v32, v4, v9
	v_cmp_ne_u64_e64 s[24:25], 0, v[3:4]
	v_cmp_eq_u32_e64 s[26:27], 0, v32
	s_and_b64 s[26:27], s[24:25], s[26:27]
	v_add_u32_e32 v30, v25, v30
	; wave barrier
	s_and_saveexec_b64 s[24:25], s[26:27]
	s_cbranch_execz .LBB63_33
; %bb.32:
	v_bcnt_u32_b32 v3, v3, 0
	v_bcnt_u32_b32 v3, v4, v3
	s_waitcnt lgkmcnt(0)
	v_add_u32_e32 v3, v27, v3
	ds_write_b32 v30, v3 offset:16
.LBB63_33:
	s_or_b64 exec, exec, s[24:25]
	v_xor_b32_e32 v31, 0x7fff, v5
	v_lshrrev_b32_sdwa v3, s68, v31 dst_sel:DWORD dst_unused:UNUSED_PAD src0_sel:DWORD src1_sel:WORD_0
	v_and_b32_e32 v9, s74, v3
	v_and_b32_e32 v4, 1, v9
	v_add_co_u32_e64 v10, s[24:25], -1, v4
	v_addc_co_u32_e64 v34, s[24:25], 0, -1, s[24:25]
	v_cmp_ne_u32_e64 s[24:25], 0, v4
	v_mad_u32_u24 v3, v9, 20, v25
	v_xor_b32_e32 v4, s25, v34
	; wave barrier
	ds_read_b32 v33, v3 offset:16
	v_mov_b32_e32 v3, 0
	v_and_b32_e32 v34, exec_hi, v4
	v_lshlrev_b32_e32 v4, 30, v9
	v_xor_b32_e32 v10, s24, v10
	v_cmp_gt_i64_e64 s[24:25], 0, v[3:4]
	v_not_b32_e32 v4, v4
	v_ashrrev_i32_e32 v4, 31, v4
	v_and_b32_e32 v10, exec_lo, v10
	v_xor_b32_e32 v36, s25, v4
	v_xor_b32_e32 v4, s24, v4
	v_and_b32_e32 v10, v10, v4
	v_lshlrev_b32_e32 v4, 29, v9
	v_cmp_gt_i64_e64 s[24:25], 0, v[3:4]
	v_not_b32_e32 v4, v4
	v_ashrrev_i32_e32 v4, 31, v4
	v_and_b32_e32 v34, v34, v36
	v_xor_b32_e32 v36, s25, v4
	v_xor_b32_e32 v4, s24, v4
	v_and_b32_e32 v10, v10, v4
	v_lshlrev_b32_e32 v4, 28, v9
	v_cmp_gt_i64_e64 s[24:25], 0, v[3:4]
	v_not_b32_e32 v4, v4
	v_ashrrev_i32_e32 v4, 31, v4
	v_and_b32_e32 v34, v34, v36
	;; [unrolled: 8-line block ×5, first 2 shown]
	v_xor_b32_e32 v36, s25, v4
	v_xor_b32_e32 v4, s24, v4
	v_and_b32_e32 v34, v34, v36
	v_and_b32_e32 v36, v10, v4
	v_lshlrev_b32_e32 v4, 24, v9
	v_cmp_gt_i64_e64 s[24:25], 0, v[3:4]
	v_not_b32_e32 v4, v4
	v_ashrrev_i32_e32 v4, 31, v4
	v_mul_u32_u24_e32 v35, 20, v9
	v_xor_b32_e32 v9, s25, v4
	v_xor_b32_e32 v4, s24, v4
	v_and_b32_e32 v10, v34, v9
	v_and_b32_e32 v9, v36, v4
	v_mbcnt_lo_u32_b32 v4, v9, 0
	v_mbcnt_hi_u32_b32 v34, v10, v4
	v_cmp_ne_u64_e64 s[24:25], 0, v[9:10]
	v_cmp_eq_u32_e64 s[26:27], 0, v34
	s_and_b64 s[26:27], s[24:25], s[26:27]
	v_add_u32_e32 v35, v25, v35
	; wave barrier
	s_and_saveexec_b64 s[24:25], s[26:27]
	s_cbranch_execz .LBB63_35
; %bb.34:
	v_bcnt_u32_b32 v4, v9, 0
	v_bcnt_u32_b32 v4, v10, v4
	s_waitcnt lgkmcnt(0)
	v_add_u32_e32 v4, v33, v4
	ds_write_b32 v35, v4 offset:16
.LBB63_35:
	s_or_b64 exec, exec, s[24:25]
	v_xor_b32_sdwa v9, v5, s28 dst_sel:DWORD dst_unused:UNUSED_PAD src0_sel:WORD_1 src1_sel:DWORD
	v_lshrrev_b32_sdwa v4, s68, v9 dst_sel:DWORD dst_unused:UNUSED_PAD src0_sel:DWORD src1_sel:WORD_0
	v_and_b32_e32 v5, s74, v4
	v_mad_u32_u24 v4, v5, 20, v25
	; wave barrier
	ds_read_b32 v10, v4 offset:16
	v_and_b32_e32 v4, 1, v5
	v_add_co_u32_e64 v36, s[24:25], -1, v4
	v_addc_co_u32_e64 v38, s[24:25], 0, -1, s[24:25]
	v_cmp_ne_u32_e64 s[24:25], 0, v4
	v_xor_b32_e32 v4, s25, v38
	v_and_b32_e32 v38, exec_hi, v4
	v_lshlrev_b32_e32 v4, 30, v5
	v_xor_b32_e32 v36, s24, v36
	v_cmp_gt_i64_e64 s[24:25], 0, v[3:4]
	v_not_b32_e32 v4, v4
	v_ashrrev_i32_e32 v4, 31, v4
	v_and_b32_e32 v36, exec_lo, v36
	v_xor_b32_e32 v39, s25, v4
	v_xor_b32_e32 v4, s24, v4
	v_and_b32_e32 v36, v36, v4
	v_lshlrev_b32_e32 v4, 29, v5
	v_cmp_gt_i64_e64 s[24:25], 0, v[3:4]
	v_not_b32_e32 v4, v4
	v_ashrrev_i32_e32 v4, 31, v4
	v_and_b32_e32 v38, v38, v39
	v_xor_b32_e32 v39, s25, v4
	v_xor_b32_e32 v4, s24, v4
	v_and_b32_e32 v36, v36, v4
	v_lshlrev_b32_e32 v4, 28, v5
	v_cmp_gt_i64_e64 s[24:25], 0, v[3:4]
	v_not_b32_e32 v4, v4
	v_ashrrev_i32_e32 v4, 31, v4
	v_and_b32_e32 v38, v38, v39
	;; [unrolled: 8-line block ×5, first 2 shown]
	v_xor_b32_e32 v39, s25, v4
	v_xor_b32_e32 v4, s24, v4
	v_and_b32_e32 v36, v36, v4
	v_lshlrev_b32_e32 v4, 24, v5
	v_cmp_gt_i64_e64 s[24:25], 0, v[3:4]
	v_not_b32_e32 v3, v4
	v_ashrrev_i32_e32 v3, 31, v3
	v_xor_b32_e32 v4, s25, v3
	v_xor_b32_e32 v3, s24, v3
	v_and_b32_e32 v38, v38, v39
	v_and_b32_e32 v3, v36, v3
	v_mul_u32_u24_e32 v37, 20, v5
	v_and_b32_e32 v4, v38, v4
	v_mbcnt_lo_u32_b32 v5, v3, 0
	v_mbcnt_hi_u32_b32 v36, v4, v5
	v_cmp_ne_u64_e64 s[24:25], 0, v[3:4]
	v_cmp_eq_u32_e64 s[26:27], 0, v36
	s_and_b64 s[26:27], s[24:25], s[26:27]
	v_add_u32_e32 v38, v25, v37
	; wave barrier
	s_and_saveexec_b64 s[24:25], s[26:27]
	s_cbranch_execz .LBB63_37
; %bb.36:
	v_bcnt_u32_b32 v3, v3, 0
	v_bcnt_u32_b32 v3, v4, v3
	s_waitcnt lgkmcnt(0)
	v_add_u32_e32 v3, v10, v3
	ds_write_b32 v38, v3 offset:16
.LBB63_37:
	s_or_b64 exec, exec, s[24:25]
	v_xor_b32_e32 v45, 0x7fff, v6
	v_lshrrev_b32_sdwa v3, s68, v45 dst_sel:DWORD dst_unused:UNUSED_PAD src0_sel:DWORD src1_sel:WORD_0
	v_and_b32_e32 v5, s74, v3
	v_and_b32_e32 v4, 1, v5
	v_add_co_u32_e64 v40, s[24:25], -1, v4
	v_addc_co_u32_e64 v41, s[24:25], 0, -1, s[24:25]
	v_cmp_ne_u32_e64 s[24:25], 0, v4
	v_mad_u32_u24 v3, v5, 20, v25
	v_xor_b32_e32 v4, s25, v41
	; wave barrier
	ds_read_b32 v37, v3 offset:16
	v_mov_b32_e32 v3, 0
	v_and_b32_e32 v41, exec_hi, v4
	v_lshlrev_b32_e32 v4, 30, v5
	v_xor_b32_e32 v40, s24, v40
	v_cmp_gt_i64_e64 s[24:25], 0, v[3:4]
	v_not_b32_e32 v4, v4
	v_ashrrev_i32_e32 v4, 31, v4
	v_and_b32_e32 v40, exec_lo, v40
	v_xor_b32_e32 v42, s25, v4
	v_xor_b32_e32 v4, s24, v4
	v_and_b32_e32 v40, v40, v4
	v_lshlrev_b32_e32 v4, 29, v5
	v_cmp_gt_i64_e64 s[24:25], 0, v[3:4]
	v_not_b32_e32 v4, v4
	v_ashrrev_i32_e32 v4, 31, v4
	v_and_b32_e32 v41, v41, v42
	v_xor_b32_e32 v42, s25, v4
	v_xor_b32_e32 v4, s24, v4
	v_and_b32_e32 v40, v40, v4
	v_lshlrev_b32_e32 v4, 28, v5
	v_cmp_gt_i64_e64 s[24:25], 0, v[3:4]
	v_not_b32_e32 v4, v4
	v_ashrrev_i32_e32 v4, 31, v4
	v_and_b32_e32 v41, v41, v42
	;; [unrolled: 8-line block ×5, first 2 shown]
	v_xor_b32_e32 v42, s25, v4
	v_xor_b32_e32 v4, s24, v4
	v_and_b32_e32 v40, v40, v4
	v_lshlrev_b32_e32 v4, 24, v5
	v_cmp_gt_i64_e64 s[24:25], 0, v[3:4]
	v_not_b32_e32 v4, v4
	v_ashrrev_i32_e32 v4, 31, v4
	v_mul_u32_u24_e32 v39, 20, v5
	v_xor_b32_e32 v5, s25, v4
	v_xor_b32_e32 v4, s24, v4
	v_and_b32_e32 v41, v41, v42
	v_and_b32_e32 v4, v40, v4
	;; [unrolled: 1-line block ×3, first 2 shown]
	v_mbcnt_lo_u32_b32 v40, v4, 0
	v_mbcnt_hi_u32_b32 v47, v5, v40
	v_cmp_ne_u64_e64 s[24:25], 0, v[4:5]
	v_cmp_eq_u32_e64 s[26:27], 0, v47
	s_and_b64 s[26:27], s[24:25], s[26:27]
	v_add_u32_e32 v39, v25, v39
	; wave barrier
	s_and_saveexec_b64 s[24:25], s[26:27]
	s_cbranch_execz .LBB63_39
; %bb.38:
	v_bcnt_u32_b32 v4, v4, 0
	v_bcnt_u32_b32 v4, v5, v4
	s_waitcnt lgkmcnt(0)
	v_add_u32_e32 v4, v37, v4
	ds_write_b32 v39, v4 offset:16
.LBB63_39:
	s_or_b64 exec, exec, s[24:25]
	v_xor_b32_sdwa v46, v6, s28 dst_sel:DWORD dst_unused:UNUSED_PAD src0_sel:WORD_1 src1_sel:DWORD
	v_lshrrev_b32_sdwa v4, s68, v46 dst_sel:DWORD dst_unused:UNUSED_PAD src0_sel:DWORD src1_sel:WORD_0
	v_and_b32_e32 v5, s74, v4
	v_mad_u32_u24 v4, v5, 20, v25
	; wave barrier
	ds_read_b32 v48, v4 offset:16
	v_and_b32_e32 v4, 1, v5
	v_add_co_u32_e64 v40, s[24:25], -1, v4
	v_addc_co_u32_e64 v41, s[24:25], 0, -1, s[24:25]
	v_cmp_ne_u32_e64 s[24:25], 0, v4
	v_xor_b32_e32 v4, s25, v41
	v_and_b32_e32 v41, exec_hi, v4
	v_lshlrev_b32_e32 v4, 30, v5
	v_xor_b32_e32 v40, s24, v40
	v_cmp_gt_i64_e64 s[24:25], 0, v[3:4]
	v_not_b32_e32 v4, v4
	v_ashrrev_i32_e32 v4, 31, v4
	v_and_b32_e32 v40, exec_lo, v40
	v_xor_b32_e32 v42, s25, v4
	v_xor_b32_e32 v4, s24, v4
	v_and_b32_e32 v40, v40, v4
	v_lshlrev_b32_e32 v4, 29, v5
	v_cmp_gt_i64_e64 s[24:25], 0, v[3:4]
	v_not_b32_e32 v4, v4
	v_ashrrev_i32_e32 v4, 31, v4
	v_and_b32_e32 v41, v41, v42
	v_xor_b32_e32 v42, s25, v4
	v_xor_b32_e32 v4, s24, v4
	v_and_b32_e32 v40, v40, v4
	v_lshlrev_b32_e32 v4, 28, v5
	v_cmp_gt_i64_e64 s[24:25], 0, v[3:4]
	v_not_b32_e32 v4, v4
	v_ashrrev_i32_e32 v4, 31, v4
	v_and_b32_e32 v41, v41, v42
	;; [unrolled: 8-line block ×5, first 2 shown]
	v_xor_b32_e32 v42, s25, v4
	v_xor_b32_e32 v4, s24, v4
	v_and_b32_e32 v40, v40, v4
	v_lshlrev_b32_e32 v4, 24, v5
	v_cmp_gt_i64_e64 s[24:25], 0, v[3:4]
	v_not_b32_e32 v3, v4
	v_ashrrev_i32_e32 v3, 31, v3
	v_xor_b32_e32 v4, s25, v3
	v_xor_b32_e32 v3, s24, v3
	v_and_b32_e32 v41, v41, v42
	v_and_b32_e32 v3, v40, v3
	v_mul_u32_u24_e32 v6, 20, v5
	v_and_b32_e32 v4, v41, v4
	v_mbcnt_lo_u32_b32 v5, v3, 0
	v_mbcnt_hi_u32_b32 v50, v4, v5
	v_cmp_ne_u64_e64 s[24:25], 0, v[3:4]
	v_cmp_eq_u32_e64 s[26:27], 0, v50
	s_and_b64 s[26:27], s[24:25], s[26:27]
	v_add_u32_e32 v40, v25, v6
	; wave barrier
	s_and_saveexec_b64 s[24:25], s[26:27]
	s_cbranch_execz .LBB63_41
; %bb.40:
	v_bcnt_u32_b32 v3, v3, 0
	v_bcnt_u32_b32 v3, v4, v3
	s_waitcnt lgkmcnt(0)
	v_add_u32_e32 v3, v48, v3
	ds_write_b32 v40, v3 offset:16
.LBB63_41:
	s_or_b64 exec, exec, s[24:25]
	v_xor_b32_e32 v49, 0x7fff, v7
	v_lshrrev_b32_sdwa v3, s68, v49 dst_sel:DWORD dst_unused:UNUSED_PAD src0_sel:DWORD src1_sel:WORD_0
	v_and_b32_e32 v5, s74, v3
	v_and_b32_e32 v4, 1, v5
	v_add_co_u32_e64 v41, s[24:25], -1, v4
	v_addc_co_u32_e64 v42, s[24:25], 0, -1, s[24:25]
	v_cmp_ne_u32_e64 s[24:25], 0, v4
	v_mad_u32_u24 v3, v5, 20, v25
	v_xor_b32_e32 v4, s25, v42
	; wave barrier
	ds_read_b32 v51, v3 offset:16
	v_mov_b32_e32 v3, 0
	v_and_b32_e32 v42, exec_hi, v4
	v_lshlrev_b32_e32 v4, 30, v5
	v_xor_b32_e32 v41, s24, v41
	v_cmp_gt_i64_e64 s[24:25], 0, v[3:4]
	v_not_b32_e32 v4, v4
	v_ashrrev_i32_e32 v4, 31, v4
	v_and_b32_e32 v41, exec_lo, v41
	v_xor_b32_e32 v43, s25, v4
	v_xor_b32_e32 v4, s24, v4
	v_and_b32_e32 v41, v41, v4
	v_lshlrev_b32_e32 v4, 29, v5
	v_cmp_gt_i64_e64 s[24:25], 0, v[3:4]
	v_not_b32_e32 v4, v4
	v_ashrrev_i32_e32 v4, 31, v4
	v_and_b32_e32 v42, v42, v43
	v_xor_b32_e32 v43, s25, v4
	v_xor_b32_e32 v4, s24, v4
	v_and_b32_e32 v41, v41, v4
	v_lshlrev_b32_e32 v4, 28, v5
	v_cmp_gt_i64_e64 s[24:25], 0, v[3:4]
	v_not_b32_e32 v4, v4
	v_ashrrev_i32_e32 v4, 31, v4
	v_and_b32_e32 v42, v42, v43
	;; [unrolled: 8-line block ×5, first 2 shown]
	v_xor_b32_e32 v43, s25, v4
	v_xor_b32_e32 v4, s24, v4
	v_and_b32_e32 v41, v41, v4
	v_lshlrev_b32_e32 v4, 24, v5
	v_cmp_gt_i64_e64 s[24:25], 0, v[3:4]
	v_not_b32_e32 v4, v4
	v_ashrrev_i32_e32 v4, 31, v4
	v_mul_u32_u24_e32 v6, 20, v5
	v_xor_b32_e32 v5, s25, v4
	v_xor_b32_e32 v4, s24, v4
	v_and_b32_e32 v42, v42, v43
	v_and_b32_e32 v4, v41, v4
	;; [unrolled: 1-line block ×3, first 2 shown]
	v_mbcnt_lo_u32_b32 v41, v4, 0
	v_mbcnt_hi_u32_b32 v52, v5, v41
	v_cmp_ne_u64_e64 s[24:25], 0, v[4:5]
	v_cmp_eq_u32_e64 s[26:27], 0, v52
	s_and_b64 s[26:27], s[24:25], s[26:27]
	v_add_u32_e32 v41, v25, v6
	; wave barrier
	s_and_saveexec_b64 s[24:25], s[26:27]
	s_cbranch_execz .LBB63_43
; %bb.42:
	v_bcnt_u32_b32 v4, v4, 0
	v_bcnt_u32_b32 v4, v5, v4
	s_waitcnt lgkmcnt(0)
	v_add_u32_e32 v4, v51, v4
	ds_write_b32 v41, v4 offset:16
.LBB63_43:
	s_or_b64 exec, exec, s[24:25]
	v_xor_b32_sdwa v7, v7, s28 dst_sel:DWORD dst_unused:UNUSED_PAD src0_sel:WORD_1 src1_sel:DWORD
	v_lshrrev_b32_sdwa v4, s68, v7 dst_sel:DWORD dst_unused:UNUSED_PAD src0_sel:DWORD src1_sel:WORD_0
	v_and_b32_e32 v5, s74, v4
	v_mad_u32_u24 v4, v5, 20, v25
	; wave barrier
	ds_read_b32 v53, v4 offset:16
	v_and_b32_e32 v4, 1, v5
	v_add_co_u32_e64 v42, s[24:25], -1, v4
	v_addc_co_u32_e64 v43, s[24:25], 0, -1, s[24:25]
	v_cmp_ne_u32_e64 s[24:25], 0, v4
	v_xor_b32_e32 v4, s25, v43
	v_and_b32_e32 v43, exec_hi, v4
	v_lshlrev_b32_e32 v4, 30, v5
	v_xor_b32_e32 v42, s24, v42
	v_cmp_gt_i64_e64 s[24:25], 0, v[3:4]
	v_not_b32_e32 v4, v4
	v_ashrrev_i32_e32 v4, 31, v4
	v_and_b32_e32 v42, exec_lo, v42
	v_xor_b32_e32 v44, s25, v4
	v_xor_b32_e32 v4, s24, v4
	v_and_b32_e32 v42, v42, v4
	v_lshlrev_b32_e32 v4, 29, v5
	v_cmp_gt_i64_e64 s[24:25], 0, v[3:4]
	v_not_b32_e32 v4, v4
	v_ashrrev_i32_e32 v4, 31, v4
	v_and_b32_e32 v43, v43, v44
	v_xor_b32_e32 v44, s25, v4
	v_xor_b32_e32 v4, s24, v4
	v_and_b32_e32 v42, v42, v4
	v_lshlrev_b32_e32 v4, 28, v5
	v_cmp_gt_i64_e64 s[24:25], 0, v[3:4]
	v_not_b32_e32 v4, v4
	v_ashrrev_i32_e32 v4, 31, v4
	v_and_b32_e32 v43, v43, v44
	;; [unrolled: 8-line block ×5, first 2 shown]
	v_xor_b32_e32 v44, s25, v4
	v_xor_b32_e32 v4, s24, v4
	v_and_b32_e32 v42, v42, v4
	v_lshlrev_b32_e32 v4, 24, v5
	v_cmp_gt_i64_e64 s[24:25], 0, v[3:4]
	v_not_b32_e32 v3, v4
	v_ashrrev_i32_e32 v3, 31, v3
	v_xor_b32_e32 v4, s25, v3
	v_xor_b32_e32 v3, s24, v3
	v_and_b32_e32 v43, v43, v44
	v_and_b32_e32 v3, v42, v3
	v_mul_u32_u24_e32 v6, 20, v5
	v_and_b32_e32 v4, v43, v4
	v_mbcnt_lo_u32_b32 v5, v3, 0
	v_mbcnt_hi_u32_b32 v55, v4, v5
	v_cmp_ne_u64_e64 s[24:25], 0, v[3:4]
	v_cmp_eq_u32_e64 s[26:27], 0, v55
	s_and_b64 s[26:27], s[24:25], s[26:27]
	v_add_u32_e32 v42, v25, v6
	; wave barrier
	s_and_saveexec_b64 s[24:25], s[26:27]
	s_cbranch_execz .LBB63_45
; %bb.44:
	v_bcnt_u32_b32 v3, v3, 0
	v_bcnt_u32_b32 v3, v4, v3
	s_waitcnt lgkmcnt(0)
	v_add_u32_e32 v3, v53, v3
	ds_write_b32 v42, v3 offset:16
.LBB63_45:
	s_or_b64 exec, exec, s[24:25]
	v_xor_b32_e32 v54, 0x7fff, v8
	v_lshrrev_b32_sdwa v3, s68, v54 dst_sel:DWORD dst_unused:UNUSED_PAD src0_sel:DWORD src1_sel:WORD_0
	v_and_b32_e32 v5, s74, v3
	v_and_b32_e32 v4, 1, v5
	v_add_co_u32_e64 v43, s[24:25], -1, v4
	v_addc_co_u32_e64 v44, s[24:25], 0, -1, s[24:25]
	v_cmp_ne_u32_e64 s[24:25], 0, v4
	v_mad_u32_u24 v3, v5, 20, v25
	v_xor_b32_e32 v4, s25, v44
	; wave barrier
	ds_read_b32 v56, v3 offset:16
	v_mov_b32_e32 v3, 0
	v_and_b32_e32 v44, exec_hi, v4
	v_lshlrev_b32_e32 v4, 30, v5
	v_xor_b32_e32 v43, s24, v43
	v_cmp_gt_i64_e64 s[24:25], 0, v[3:4]
	v_not_b32_e32 v4, v4
	v_ashrrev_i32_e32 v4, 31, v4
	v_and_b32_e32 v43, exec_lo, v43
	v_xor_b32_e32 v57, s25, v4
	v_xor_b32_e32 v4, s24, v4
	v_and_b32_e32 v43, v43, v4
	v_lshlrev_b32_e32 v4, 29, v5
	v_cmp_gt_i64_e64 s[24:25], 0, v[3:4]
	v_not_b32_e32 v4, v4
	v_ashrrev_i32_e32 v4, 31, v4
	v_and_b32_e32 v44, v44, v57
	v_xor_b32_e32 v57, s25, v4
	v_xor_b32_e32 v4, s24, v4
	v_and_b32_e32 v43, v43, v4
	v_lshlrev_b32_e32 v4, 28, v5
	v_cmp_gt_i64_e64 s[24:25], 0, v[3:4]
	v_not_b32_e32 v4, v4
	v_ashrrev_i32_e32 v4, 31, v4
	v_and_b32_e32 v44, v44, v57
	;; [unrolled: 8-line block ×5, first 2 shown]
	v_xor_b32_e32 v57, s25, v4
	v_xor_b32_e32 v4, s24, v4
	v_and_b32_e32 v43, v43, v4
	v_lshlrev_b32_e32 v4, 24, v5
	v_cmp_gt_i64_e64 s[24:25], 0, v[3:4]
	v_not_b32_e32 v4, v4
	v_ashrrev_i32_e32 v4, 31, v4
	v_mul_u32_u24_e32 v6, 20, v5
	v_xor_b32_e32 v5, s25, v4
	v_xor_b32_e32 v4, s24, v4
	v_and_b32_e32 v44, v44, v57
	v_and_b32_e32 v4, v43, v4
	;; [unrolled: 1-line block ×3, first 2 shown]
	v_mbcnt_lo_u32_b32 v43, v4, 0
	v_mbcnt_hi_u32_b32 v57, v5, v43
	v_cmp_ne_u64_e64 s[24:25], 0, v[4:5]
	v_cmp_eq_u32_e64 s[26:27], 0, v57
	s_and_b64 s[26:27], s[24:25], s[26:27]
	v_add_u32_e32 v43, v25, v6
	; wave barrier
	s_and_saveexec_b64 s[24:25], s[26:27]
	s_cbranch_execz .LBB63_47
; %bb.46:
	v_bcnt_u32_b32 v4, v4, 0
	v_bcnt_u32_b32 v4, v5, v4
	s_waitcnt lgkmcnt(0)
	v_add_u32_e32 v4, v56, v4
	ds_write_b32 v43, v4 offset:16
.LBB63_47:
	s_or_b64 exec, exec, s[24:25]
	v_xor_b32_sdwa v8, v8, s28 dst_sel:DWORD dst_unused:UNUSED_PAD src0_sel:WORD_1 src1_sel:DWORD
	v_lshrrev_b32_sdwa v4, s68, v8 dst_sel:DWORD dst_unused:UNUSED_PAD src0_sel:DWORD src1_sel:WORD_0
	v_and_b32_e32 v5, s74, v4
	v_mad_u32_u24 v4, v5, 20, v25
	; wave barrier
	ds_read_b32 v58, v4 offset:16
	v_and_b32_e32 v4, 1, v5
	v_add_co_u32_e64 v44, s[24:25], -1, v4
	v_addc_co_u32_e64 v59, s[24:25], 0, -1, s[24:25]
	v_cmp_ne_u32_e64 s[24:25], 0, v4
	v_xor_b32_e32 v4, s25, v59
	v_and_b32_e32 v59, exec_hi, v4
	v_lshlrev_b32_e32 v4, 30, v5
	v_xor_b32_e32 v44, s24, v44
	v_cmp_gt_i64_e64 s[24:25], 0, v[3:4]
	v_not_b32_e32 v4, v4
	v_ashrrev_i32_e32 v4, 31, v4
	v_and_b32_e32 v44, exec_lo, v44
	v_xor_b32_e32 v60, s25, v4
	v_xor_b32_e32 v4, s24, v4
	v_and_b32_e32 v44, v44, v4
	v_lshlrev_b32_e32 v4, 29, v5
	v_cmp_gt_i64_e64 s[24:25], 0, v[3:4]
	v_not_b32_e32 v4, v4
	v_ashrrev_i32_e32 v4, 31, v4
	v_and_b32_e32 v59, v59, v60
	v_xor_b32_e32 v60, s25, v4
	v_xor_b32_e32 v4, s24, v4
	v_and_b32_e32 v44, v44, v4
	v_lshlrev_b32_e32 v4, 28, v5
	v_cmp_gt_i64_e64 s[24:25], 0, v[3:4]
	v_not_b32_e32 v4, v4
	v_ashrrev_i32_e32 v4, 31, v4
	v_and_b32_e32 v59, v59, v60
	;; [unrolled: 8-line block ×5, first 2 shown]
	v_xor_b32_e32 v60, s25, v4
	v_xor_b32_e32 v4, s24, v4
	v_and_b32_e32 v44, v44, v4
	v_lshlrev_b32_e32 v4, 24, v5
	v_cmp_gt_i64_e64 s[24:25], 0, v[3:4]
	v_not_b32_e32 v3, v4
	v_ashrrev_i32_e32 v3, 31, v3
	v_xor_b32_e32 v4, s25, v3
	v_xor_b32_e32 v3, s24, v3
	v_and_b32_e32 v59, v59, v60
	v_and_b32_e32 v3, v44, v3
	v_mul_u32_u24_e32 v6, 20, v5
	v_and_b32_e32 v4, v59, v4
	v_mbcnt_lo_u32_b32 v5, v3, 0
	v_mbcnt_hi_u32_b32 v59, v4, v5
	v_cmp_ne_u64_e64 s[24:25], 0, v[3:4]
	v_cmp_eq_u32_e64 s[26:27], 0, v59
	s_and_b64 s[26:27], s[24:25], s[26:27]
	v_add_u32_e32 v25, v25, v6
	; wave barrier
	s_and_saveexec_b64 s[24:25], s[26:27]
	s_cbranch_execz .LBB63_49
; %bb.48:
	v_bcnt_u32_b32 v3, v3, 0
	v_bcnt_u32_b32 v3, v4, v3
	s_waitcnt lgkmcnt(0)
	v_add_u32_e32 v3, v58, v3
	ds_write_b32 v25, v3 offset:16
.LBB63_49:
	s_or_b64 exec, exec, s[24:25]
	; wave barrier
	s_waitcnt lgkmcnt(0)
	s_barrier
	ds_read2_b32 v[5:6], v16 offset0:4 offset1:5
	ds_read2_b32 v[3:4], v16 offset0:6 offset1:7
	ds_read_b32 v44, v16 offset:32
	v_min_u32_e32 v15, 0xc0, v15
	v_or_b32_e32 v15, 63, v15
	s_waitcnt lgkmcnt(1)
	v_add3_u32 v60, v6, v5, v3
	s_waitcnt lgkmcnt(0)
	v_add3_u32 v44, v60, v4, v44
	v_and_b32_e32 v60, 15, v13
	v_cmp_ne_u32_e64 s[24:25], 0, v60
	v_mov_b32_dpp v61, v44 row_shr:1 row_mask:0xf bank_mask:0xf
	v_cndmask_b32_e64 v61, 0, v61, s[24:25]
	v_add_u32_e32 v44, v61, v44
	v_cmp_lt_u32_e64 s[24:25], 1, v60
	s_nop 0
	v_mov_b32_dpp v61, v44 row_shr:2 row_mask:0xf bank_mask:0xf
	v_cndmask_b32_e64 v61, 0, v61, s[24:25]
	v_add_u32_e32 v44, v44, v61
	v_cmp_lt_u32_e64 s[24:25], 3, v60
	s_nop 0
	;; [unrolled: 5-line block ×3, first 2 shown]
	v_mov_b32_dpp v61, v44 row_shr:8 row_mask:0xf bank_mask:0xf
	v_cndmask_b32_e64 v60, 0, v61, s[24:25]
	v_add_u32_e32 v44, v44, v60
	v_bfe_i32 v61, v13, 4, 1
	v_cmp_lt_u32_e64 s[24:25], 31, v13
	v_mov_b32_dpp v60, v44 row_bcast:15 row_mask:0xf bank_mask:0xf
	v_and_b32_e32 v60, v61, v60
	v_add_u32_e32 v44, v44, v60
	s_nop 1
	v_mov_b32_dpp v60, v44 row_bcast:31 row_mask:0xf bank_mask:0xf
	v_cndmask_b32_e64 v60, 0, v60, s[24:25]
	v_add_u32_e32 v44, v44, v60
	v_lshrrev_b32_e32 v60, 6, v0
	v_cmp_eq_u32_e64 s[24:25], v0, v15
	s_and_saveexec_b64 s[26:27], s[24:25]
; %bb.50:
	v_lshlrev_b32_e32 v15, 2, v60
	ds_write_b32 v15, v44
; %bb.51:
	s_or_b64 exec, exec, s[26:27]
	v_cmp_gt_u32_e64 s[24:25], 4, v0
	s_waitcnt lgkmcnt(0)
	s_barrier
	s_and_saveexec_b64 s[26:27], s[24:25]
	s_cbranch_execz .LBB63_53
; %bb.52:
	v_lshlrev_b32_e32 v15, 2, v0
	ds_read_b32 v61, v15
	v_and_b32_e32 v62, 3, v13
	v_cmp_ne_u32_e64 s[24:25], 0, v62
	s_waitcnt lgkmcnt(0)
	v_mov_b32_dpp v63, v61 row_shr:1 row_mask:0xf bank_mask:0xf
	v_cndmask_b32_e64 v63, 0, v63, s[24:25]
	v_add_u32_e32 v61, v63, v61
	v_cmp_lt_u32_e64 s[24:25], 1, v62
	s_nop 0
	v_mov_b32_dpp v63, v61 row_shr:2 row_mask:0xf bank_mask:0xf
	v_cndmask_b32_e64 v62, 0, v63, s[24:25]
	v_add_u32_e32 v61, v61, v62
	ds_write_b32 v15, v61
.LBB63_53:
	s_or_b64 exec, exec, s[26:27]
	v_cmp_lt_u32_e64 s[24:25], 63, v0
	v_mov_b32_e32 v15, 0
	s_waitcnt lgkmcnt(0)
	s_barrier
	s_and_saveexec_b64 s[26:27], s[24:25]
; %bb.54:
	v_lshl_add_u32 v15, v60, 2, -4
	ds_read_b32 v15, v15
; %bb.55:
	s_or_b64 exec, exec, s[26:27]
	v_add_u32_e32 v60, -1, v13
	v_and_b32_e32 v61, 64, v13
	v_cmp_lt_i32_e64 s[24:25], v60, v61
	v_cndmask_b32_e64 v60, v60, v13, s[24:25]
	s_waitcnt lgkmcnt(0)
	v_add_u32_e32 v44, v15, v44
	v_lshlrev_b32_e32 v60, 2, v60
	ds_bpermute_b32 v44, v60, v44
	v_cmp_eq_u32_e64 s[24:25], 0, v13
	s_waitcnt lgkmcnt(0)
	v_cndmask_b32_e64 v15, v44, v15, s[24:25]
	v_cmp_ne_u32_e64 s[24:25], 0, v0
	v_cndmask_b32_e64 v15, 0, v15, s[24:25]
	v_add_u32_e32 v5, v15, v5
	v_add_u32_e32 v6, v5, v6
	v_add_u32_e32 v3, v6, v3
	v_add_u32_e32 v4, v3, v4
	ds_write2_b32 v16, v15, v5 offset0:4 offset1:5
	ds_write2_b32 v16, v6, v3 offset0:6 offset1:7
	ds_write_b32 v16, v4 offset:32
	s_waitcnt lgkmcnt(0)
	s_barrier
	ds_read_b32 v4, v20 offset:16
	ds_read_b32 v5, v24 offset:16
	;; [unrolled: 1-line block ×13, first 2 shown]
	v_add_u32_e32 v16, 1, v0
	s_movk_i32 s24, 0x100
	v_cmp_ne_u32_e64 s[24:25], s24, v16
	v_mov_b32_e32 v3, 0xc00
	s_and_saveexec_b64 s[26:27], s[24:25]
; %bb.56:
	v_mul_u32_u24_e32 v3, 20, v16
	ds_read_b32 v3, v3 offset:16
; %bb.57:
	s_or_b64 exec, exec, s[26:27]
	s_waitcnt lgkmcnt(12)
	v_add_u32_e32 v44, v4, v18
	s_waitcnt lgkmcnt(11)
	v_add3_u32 v43, v21, v19, v5
	v_lshlrev_b32_e32 v4, 1, v44
	s_waitcnt lgkmcnt(10)
	v_add3_u32 v42, v26, v23, v6
	s_waitcnt lgkmcnt(0)
	s_barrier
	ds_write_b16 v4, v12 offset:2048
	v_lshlrev_b32_e32 v4, 1, v43
	v_add3_u32 v41, v32, v27, v15
	ds_write_b16 v4, v17 offset:2048
	v_lshlrev_b32_e32 v4, 1, v42
	v_add3_u32 v40, v34, v33, v20
	;; [unrolled: 3-line block ×9, first 2 shown]
	ds_write_b16 v4, v7 offset:2048
	v_lshlrev_b32_e32 v4, 1, v34
	ds_write_b16 v4, v54 offset:2048
	v_lshlrev_b32_e32 v4, 1, v33
	ds_write_b16 v4, v8 offset:2048
	v_sub_u32_e32 v31, v3, v30
	v_lshl_or_b32 v3, s6, 8, v0
	v_mov_b32_e32 v4, 0
	v_lshlrev_b64 v[5:6], 2, v[3:4]
	v_mov_b32_e32 v9, s73
	v_add_co_u32_e64 v5, s[24:25], s72, v5
	v_addc_co_u32_e64 v6, s[24:25], v9, v6, s[24:25]
	v_or_b32_e32 v3, 2.0, v31
	s_mov_b64 s[26:27], 0
	s_brev_b32 s34, -4
	s_mov_b32 s35, s7
	v_mov_b32_e32 v10, 0
	s_waitcnt lgkmcnt(0)
	s_barrier
	global_store_dword v[5:6], v3, off
                                        ; implicit-def: $sgpr24_sgpr25
	s_branch .LBB63_60
.LBB63_58:                              ;   in Loop: Header=BB63_60 Depth=1
	s_or_b64 exec, exec, s[30:31]
.LBB63_59:                              ;   in Loop: Header=BB63_60 Depth=1
	s_or_b64 exec, exec, s[28:29]
	v_and_b32_e32 v7, 0x3fffffff, v3
	v_add_u32_e32 v10, v7, v10
	v_cmp_gt_i32_e64 s[24:25], -2.0, v3
	s_and_b64 s[28:29], exec, s[24:25]
	s_or_b64 s[26:27], s[28:29], s[26:27]
	s_andn2_b64 exec, exec, s[26:27]
	s_cbranch_execz .LBB63_65
.LBB63_60:                              ; =>This Loop Header: Depth=1
                                        ;     Child Loop BB63_63 Depth 2
	s_or_b64 s[24:25], s[24:25], exec
	s_cmp_eq_u32 s35, 0
	s_cbranch_scc1 .LBB63_64
; %bb.61:                               ;   in Loop: Header=BB63_60 Depth=1
	s_add_i32 s35, s35, -1
	v_lshl_or_b32 v3, s35, 8, v0
	v_lshlrev_b64 v[7:8], 2, v[3:4]
	v_add_co_u32_e64 v7, s[24:25], s72, v7
	v_addc_co_u32_e64 v8, s[24:25], v9, v8, s[24:25]
	global_load_dword v3, v[7:8], off glc
	s_waitcnt vmcnt(0)
	v_cmp_gt_u32_e64 s[24:25], 2.0, v3
	s_and_saveexec_b64 s[28:29], s[24:25]
	s_cbranch_execz .LBB63_59
; %bb.62:                               ;   in Loop: Header=BB63_60 Depth=1
	s_mov_b64 s[30:31], 0
.LBB63_63:                              ;   Parent Loop BB63_60 Depth=1
                                        ; =>  This Inner Loop Header: Depth=2
	global_load_dword v3, v[7:8], off glc
	s_waitcnt vmcnt(0)
	v_cmp_lt_u32_e64 s[24:25], s34, v3
	s_or_b64 s[30:31], s[24:25], s[30:31]
	s_andn2_b64 exec, exec, s[30:31]
	s_cbranch_execnz .LBB63_63
	s_branch .LBB63_58
.LBB63_64:                              ;   in Loop: Header=BB63_60 Depth=1
                                        ; implicit-def: $sgpr35
	s_and_b64 s[28:29], exec, s[24:25]
	s_or_b64 s[26:27], s[28:29], s[26:27]
	s_andn2_b64 exec, exec, s[26:27]
	s_cbranch_execnz .LBB63_60
.LBB63_65:
	s_or_b64 exec, exec, s[26:27]
	v_add_u32_e32 v3, v10, v31
	v_or_b32_e32 v3, 0x80000000, v3
	v_lshlrev_b32_e32 v32, 3, v0
	global_store_dword v[5:6], v3, off
	global_load_dwordx2 v[3:4], v32, s[64:65]
	v_sub_co_u32_e64 v5, s[24:25], v10, v30
	v_subb_co_u32_e64 v6, s[24:25], 0, 0, s[24:25]
	s_waitcnt vmcnt(0)
	v_add_co_u32_e64 v3, s[24:25], v5, v3
	v_addc_co_u32_e64 v4, s[24:25], v6, v4, s[24:25]
	v_cmp_gt_u32_e64 s[24:25], s70, v0
	ds_write_b64 v32, v[3:4]
	s_waitcnt lgkmcnt(0)
	s_barrier
	s_and_saveexec_b64 s[28:29], s[24:25]
	s_cbranch_execz .LBB63_67
; %bb.66:
	v_mad_i32_i24 v3, v0, -6, v32
	ds_read_u16 v5, v3 offset:2048
	v_mov_b32_e32 v6, s59
	v_lshlrev_b32_e32 v7, 1, v0
	s_waitcnt lgkmcnt(0)
	v_lshrrev_b32_sdwa v3, s68, v5 dst_sel:DWORD dst_unused:UNUSED_PAD src0_sel:DWORD src1_sel:WORD_0
	v_and_b32_e32 v3, s74, v3
	v_lshlrev_b32_e32 v3, 3, v3
	ds_read_b64 v[3:4], v3
	v_xor_b32_e32 v5, 0x7fff, v5
	s_waitcnt lgkmcnt(0)
	v_lshlrev_b64 v[3:4], 1, v[3:4]
	v_add_co_u32_e64 v3, s[26:27], s58, v3
	v_addc_co_u32_e64 v4, s[26:27], v6, v4, s[26:27]
	v_add_co_u32_e64 v3, s[26:27], v3, v7
	v_addc_co_u32_e64 v4, s[26:27], 0, v4, s[26:27]
	global_store_short v[3:4], v5, off
.LBB63_67:
	s_or_b64 exec, exec, s[28:29]
	v_or_b32_e32 v3, 0x100, v0
	v_cmp_gt_u32_e64 s[26:27], s70, v3
	s_and_saveexec_b64 s[30:31], s[26:27]
	s_cbranch_execz .LBB63_69
; %bb.68:
	v_mad_i32_i24 v3, v0, -6, v32
	ds_read_u16 v5, v3 offset:2560
	v_mov_b32_e32 v6, s59
	v_lshlrev_b32_e32 v7, 1, v0
	s_waitcnt lgkmcnt(0)
	v_lshrrev_b32_sdwa v3, s68, v5 dst_sel:DWORD dst_unused:UNUSED_PAD src0_sel:DWORD src1_sel:WORD_0
	v_and_b32_e32 v3, s74, v3
	v_lshlrev_b32_e32 v3, 3, v3
	ds_read_b64 v[3:4], v3
	v_xor_b32_e32 v5, 0x7fff, v5
	s_waitcnt lgkmcnt(0)
	v_lshlrev_b64 v[3:4], 1, v[3:4]
	v_add_co_u32_e64 v3, s[28:29], s58, v3
	v_addc_co_u32_e64 v4, s[28:29], v6, v4, s[28:29]
	v_add_co_u32_e64 v3, s[28:29], v3, v7
	v_addc_co_u32_e64 v4, s[28:29], 0, v4, s[28:29]
	global_store_short v[3:4], v5, off offset:512
.LBB63_69:
	s_or_b64 exec, exec, s[30:31]
	v_or_b32_e32 v45, 0x200, v0
	v_cmp_gt_u32_e64 s[28:29], s70, v45
	s_and_saveexec_b64 s[34:35], s[28:29]
	s_cbranch_execz .LBB63_71
; %bb.70:
	v_mad_i32_i24 v3, v0, -6, v32
	ds_read_u16 v5, v3 offset:3072
	v_mov_b32_e32 v6, s59
	v_lshlrev_b32_e32 v7, 1, v0
	s_waitcnt lgkmcnt(0)
	v_lshrrev_b32_sdwa v3, s68, v5 dst_sel:DWORD dst_unused:UNUSED_PAD src0_sel:DWORD src1_sel:WORD_0
	v_and_b32_e32 v3, s74, v3
	v_lshlrev_b32_e32 v3, 3, v3
	ds_read_b64 v[3:4], v3
	v_xor_b32_e32 v5, 0x7fff, v5
	s_waitcnt lgkmcnt(0)
	v_lshlrev_b64 v[3:4], 1, v[3:4]
	v_add_co_u32_e64 v3, s[30:31], s58, v3
	v_addc_co_u32_e64 v4, s[30:31], v6, v4, s[30:31]
	v_add_co_u32_e64 v3, s[30:31], v3, v7
	v_addc_co_u32_e64 v4, s[30:31], 0, v4, s[30:31]
	global_store_short v[3:4], v5, off offset:1024
.LBB63_71:
	;; [unrolled: 24-line block ×6, first 2 shown]
	s_or_b64 exec, exec, s[42:43]
	v_or_b32_e32 v50, 0x700, v0
	v_cmp_gt_u32_e64 s[40:41], s70, v50
	s_and_saveexec_b64 s[44:45], s[40:41]
	s_cbranch_execz .LBB63_81
; %bb.80:
	v_lshlrev_b32_e32 v5, 1, v0
	ds_read_u16 v6, v5 offset:5632
	v_mov_b32_e32 v7, s59
	s_waitcnt lgkmcnt(0)
	v_lshrrev_b32_sdwa v3, s68, v6 dst_sel:DWORD dst_unused:UNUSED_PAD src0_sel:DWORD src1_sel:WORD_0
	v_and_b32_e32 v3, s74, v3
	v_lshlrev_b32_e32 v3, 3, v3
	ds_read_b64 v[3:4], v3
	v_xor_b32_e32 v6, 0x7fff, v6
	s_waitcnt lgkmcnt(0)
	v_lshlrev_b64 v[3:4], 1, v[3:4]
	v_add_co_u32_e64 v3, s[42:43], s58, v3
	v_addc_co_u32_e64 v4, s[42:43], v7, v4, s[42:43]
	v_add_co_u32_e64 v3, s[42:43], v3, v5
	v_addc_co_u32_e64 v4, s[42:43], 0, v4, s[42:43]
	global_store_short v[3:4], v6, off offset:3584
.LBB63_81:
	s_or_b64 exec, exec, s[44:45]
	v_or_b32_e32 v51, 0x800, v0
	v_cmp_gt_u32_e64 s[42:43], s70, v51
	s_and_saveexec_b64 s[46:47], s[42:43]
	s_cbranch_execz .LBB63_83
; %bb.82:
	v_lshlrev_b32_e32 v3, 1, v0
	ds_read_u16 v5, v3 offset:6144
	v_mov_b32_e32 v6, s59
	v_lshlrev_b32_e32 v7, 1, v51
	s_waitcnt lgkmcnt(0)
	v_lshrrev_b32_sdwa v3, s68, v5 dst_sel:DWORD dst_unused:UNUSED_PAD src0_sel:DWORD src1_sel:WORD_0
	v_and_b32_e32 v3, s74, v3
	v_lshlrev_b32_e32 v3, 3, v3
	ds_read_b64 v[3:4], v3
	v_xor_b32_e32 v5, 0x7fff, v5
	s_waitcnt lgkmcnt(0)
	v_lshlrev_b64 v[3:4], 1, v[3:4]
	v_add_co_u32_e64 v3, s[44:45], s58, v3
	v_addc_co_u32_e64 v4, s[44:45], v6, v4, s[44:45]
	v_add_co_u32_e64 v3, s[44:45], v3, v7
	v_addc_co_u32_e64 v4, s[44:45], 0, v4, s[44:45]
	global_store_short v[3:4], v5, off
.LBB63_83:
	s_or_b64 exec, exec, s[46:47]
	v_or_b32_e32 v52, 0x900, v0
	v_cmp_gt_u32_e64 s[44:45], s70, v52
	s_and_saveexec_b64 s[48:49], s[44:45]
	s_cbranch_execz .LBB63_85
; %bb.84:
	v_lshlrev_b32_e32 v3, 1, v0
	ds_read_u16 v5, v3 offset:6656
	v_mov_b32_e32 v6, s59
	v_lshlrev_b32_e32 v7, 1, v52
	s_waitcnt lgkmcnt(0)
	v_lshrrev_b32_sdwa v3, s68, v5 dst_sel:DWORD dst_unused:UNUSED_PAD src0_sel:DWORD src1_sel:WORD_0
	v_and_b32_e32 v3, s74, v3
	v_lshlrev_b32_e32 v3, 3, v3
	ds_read_b64 v[3:4], v3
	v_xor_b32_e32 v5, 0x7fff, v5
	s_waitcnt lgkmcnt(0)
	v_lshlrev_b64 v[3:4], 1, v[3:4]
	v_add_co_u32_e64 v3, s[46:47], s58, v3
	v_addc_co_u32_e64 v4, s[46:47], v6, v4, s[46:47]
	v_add_co_u32_e64 v3, s[46:47], v3, v7
	v_addc_co_u32_e64 v4, s[46:47], 0, v4, s[46:47]
	global_store_short v[3:4], v5, off
.LBB63_85:
	;; [unrolled: 24-line block ×4, first 2 shown]
	s_or_b64 exec, exec, s[70:71]
	s_lshl_b64 s[52:53], s[54:55], 3
	s_add_u32 s52, s60, s52
	s_addc_u32 s53, s61, s53
	v_lshlrev_b32_e32 v3, 3, v13
	v_mov_b32_e32 v4, s53
	v_add_co_u32_e64 v3, s[52:53], s52, v3
	v_addc_co_u32_e64 v4, s[52:53], 0, v4, s[52:53]
	v_lshlrev_b32_e32 v5, 3, v14
	v_add_co_u32_e64 v27, s[52:53], v3, v5
	v_addc_co_u32_e64 v28, s[52:53], 0, v4, s[52:53]
                                        ; implicit-def: $vgpr3_vgpr4
	s_and_saveexec_b64 s[52:53], vcc
	s_xor_b64 s[52:53], exec, s[52:53]
	s_cbranch_execz .LBB63_101
; %bb.90:
	global_load_dwordx2 v[3:4], v[27:28], off
	s_or_b64 exec, exec, s[52:53]
                                        ; implicit-def: $vgpr5_vgpr6
	s_and_saveexec_b64 s[52:53], s[0:1]
	s_cbranch_execnz .LBB63_102
.LBB63_91:
	s_or_b64 exec, exec, s[52:53]
                                        ; implicit-def: $vgpr7_vgpr8
	s_and_saveexec_b64 s[0:1], s[2:3]
	s_cbranch_execz .LBB63_103
.LBB63_92:
	global_load_dwordx2 v[7:8], v[27:28], off offset:1024
	s_or_b64 exec, exec, s[0:1]
                                        ; implicit-def: $vgpr9_vgpr10
	s_and_saveexec_b64 s[0:1], s[50:51]
	s_cbranch_execnz .LBB63_104
.LBB63_93:
	s_or_b64 exec, exec, s[0:1]
                                        ; implicit-def: $vgpr11_vgpr12
	s_and_saveexec_b64 s[0:1], s[8:9]
	s_cbranch_execz .LBB63_105
.LBB63_94:
	global_load_dwordx2 v[11:12], v[27:28], off offset:2048
	s_or_b64 exec, exec, s[0:1]
                                        ; implicit-def: $vgpr13_vgpr14
	s_and_saveexec_b64 s[0:1], s[10:11]
	s_cbranch_execnz .LBB63_106
.LBB63_95:
	s_or_b64 exec, exec, s[0:1]
                                        ; implicit-def: $vgpr15_vgpr16
	s_and_saveexec_b64 s[0:1], s[12:13]
	s_cbranch_execz .LBB63_107
.LBB63_96:
	global_load_dwordx2 v[15:16], v[27:28], off offset:3072
	s_or_b64 exec, exec, s[0:1]
                                        ; implicit-def: $vgpr17_vgpr18
	s_and_saveexec_b64 s[0:1], s[14:15]
	s_cbranch_execnz .LBB63_108
.LBB63_97:
	s_or_b64 exec, exec, s[0:1]
                                        ; implicit-def: $vgpr19_vgpr20
	s_and_saveexec_b64 s[0:1], s[16:17]
	s_cbranch_execz .LBB63_109
.LBB63_98:
	v_add_co_u32_e32 v19, vcc, 0x1000, v27
	v_addc_co_u32_e32 v20, vcc, 0, v28, vcc
	global_load_dwordx2 v[19:20], v[19:20], off
	s_or_b64 exec, exec, s[0:1]
                                        ; implicit-def: $vgpr21_vgpr22
	s_and_saveexec_b64 s[0:1], s[18:19]
	s_cbranch_execnz .LBB63_110
.LBB63_99:
	s_or_b64 exec, exec, s[0:1]
                                        ; implicit-def: $vgpr23_vgpr24
	s_and_saveexec_b64 s[0:1], s[20:21]
	s_cbranch_execz .LBB63_111
.LBB63_100:
	v_add_co_u32_e32 v23, vcc, 0x1000, v27
	v_addc_co_u32_e32 v24, vcc, 0, v28, vcc
	global_load_dwordx2 v[23:24], v[23:24], off offset:1024
	s_or_b64 exec, exec, s[0:1]
                                        ; implicit-def: $vgpr25_vgpr26
	s_and_saveexec_b64 s[0:1], s[22:23]
	s_cbranch_execnz .LBB63_112
	s_branch .LBB63_113
.LBB63_101:
	s_or_b64 exec, exec, s[52:53]
                                        ; implicit-def: $vgpr5_vgpr6
	s_and_saveexec_b64 s[52:53], s[0:1]
	s_cbranch_execz .LBB63_91
.LBB63_102:
	global_load_dwordx2 v[5:6], v[27:28], off offset:512
	s_or_b64 exec, exec, s[52:53]
                                        ; implicit-def: $vgpr7_vgpr8
	s_and_saveexec_b64 s[0:1], s[2:3]
	s_cbranch_execnz .LBB63_92
.LBB63_103:
	s_or_b64 exec, exec, s[0:1]
                                        ; implicit-def: $vgpr9_vgpr10
	s_and_saveexec_b64 s[0:1], s[50:51]
	s_cbranch_execz .LBB63_93
.LBB63_104:
	global_load_dwordx2 v[9:10], v[27:28], off offset:1536
	s_or_b64 exec, exec, s[0:1]
                                        ; implicit-def: $vgpr11_vgpr12
	s_and_saveexec_b64 s[0:1], s[8:9]
	s_cbranch_execnz .LBB63_94
.LBB63_105:
	s_or_b64 exec, exec, s[0:1]
                                        ; implicit-def: $vgpr13_vgpr14
	s_and_saveexec_b64 s[0:1], s[10:11]
	s_cbranch_execz .LBB63_95
.LBB63_106:
	global_load_dwordx2 v[13:14], v[27:28], off offset:2560
	s_or_b64 exec, exec, s[0:1]
                                        ; implicit-def: $vgpr15_vgpr16
	s_and_saveexec_b64 s[0:1], s[12:13]
	s_cbranch_execnz .LBB63_96
.LBB63_107:
	s_or_b64 exec, exec, s[0:1]
                                        ; implicit-def: $vgpr17_vgpr18
	s_and_saveexec_b64 s[0:1], s[14:15]
	s_cbranch_execz .LBB63_97
.LBB63_108:
	global_load_dwordx2 v[17:18], v[27:28], off offset:3584
	s_or_b64 exec, exec, s[0:1]
                                        ; implicit-def: $vgpr19_vgpr20
	s_and_saveexec_b64 s[0:1], s[16:17]
	s_cbranch_execnz .LBB63_98
.LBB63_109:
	s_or_b64 exec, exec, s[0:1]
                                        ; implicit-def: $vgpr21_vgpr22
	s_and_saveexec_b64 s[0:1], s[18:19]
	s_cbranch_execz .LBB63_99
.LBB63_110:
	v_add_co_u32_e32 v21, vcc, 0x1000, v27
	v_addc_co_u32_e32 v22, vcc, 0, v28, vcc
	global_load_dwordx2 v[21:22], v[21:22], off offset:512
	s_or_b64 exec, exec, s[0:1]
                                        ; implicit-def: $vgpr23_vgpr24
	s_and_saveexec_b64 s[0:1], s[20:21]
	s_cbranch_execnz .LBB63_100
.LBB63_111:
	s_or_b64 exec, exec, s[0:1]
                                        ; implicit-def: $vgpr25_vgpr26
	s_and_saveexec_b64 s[0:1], s[22:23]
	s_cbranch_execz .LBB63_113
.LBB63_112:
	v_add_co_u32_e32 v25, vcc, 0x1000, v27
	v_addc_co_u32_e32 v26, vcc, 0, v28, vcc
	global_load_dwordx2 v[25:26], v[25:26], off offset:1536
.LBB63_113:
	s_or_b64 exec, exec, s[0:1]
	v_mov_b32_e32 v62, 0
	v_mov_b32_e32 v64, 0
	s_and_saveexec_b64 s[0:1], s[24:25]
	s_cbranch_execz .LBB63_115
; %bb.114:
	v_lshlrev_b32_e32 v27, 1, v0
	ds_read_u16 v27, v27 offset:2048
	s_waitcnt lgkmcnt(0)
	v_lshrrev_b32_e32 v27, s68, v27
	v_and_b32_e32 v64, s74, v27
.LBB63_115:
	s_or_b64 exec, exec, s[0:1]
	s_and_saveexec_b64 s[0:1], s[26:27]
	s_cbranch_execz .LBB63_117
; %bb.116:
	v_lshlrev_b32_e32 v27, 1, v0
	ds_read_u16 v27, v27 offset:2560
	s_waitcnt lgkmcnt(0)
	v_lshrrev_b32_e32 v27, s68, v27
	v_and_b32_e32 v62, s74, v27
.LBB63_117:
	s_or_b64 exec, exec, s[0:1]
	v_mov_b32_e32 v60, 0
	v_mov_b32_e32 v63, 0
	s_and_saveexec_b64 s[0:1], s[28:29]
	s_cbranch_execz .LBB63_119
; %bb.118:
	v_lshlrev_b32_e32 v27, 1, v0
	ds_read_u16 v27, v27 offset:3072
	s_waitcnt lgkmcnt(0)
	v_lshrrev_b32_e32 v27, s68, v27
	v_and_b32_e32 v63, s74, v27
.LBB63_119:
	s_or_b64 exec, exec, s[0:1]
	s_and_saveexec_b64 s[0:1], s[30:31]
	s_cbranch_execz .LBB63_121
; %bb.120:
	v_lshlrev_b32_e32 v27, 1, v0
	ds_read_u16 v27, v27 offset:3584
	s_waitcnt lgkmcnt(0)
	v_lshrrev_b32_e32 v27, s68, v27
	v_and_b32_e32 v60, s74, v27
.LBB63_121:
	;; [unrolled: 22-line block ×6, first 2 shown]
	s_or_b64 exec, exec, s[0:1]
	v_lshlrev_b32_e32 v44, 3, v44
	s_waitcnt vmcnt(0)
	s_barrier
	ds_write_b64 v44, v[3:4] offset:2048
	v_lshlrev_b32_e32 v3, 3, v43
	ds_write_b64 v3, v[5:6] offset:2048
	v_lshlrev_b32_e32 v3, 3, v42
	ds_write_b64 v3, v[7:8] offset:2048
	v_lshlrev_b32_e32 v3, 3, v41
	ds_write_b64 v3, v[9:10] offset:2048
	v_lshlrev_b32_e32 v3, 3, v40
	ds_write_b64 v3, v[11:12] offset:2048
	v_lshlrev_b32_e32 v3, 3, v39
	ds_write_b64 v3, v[13:14] offset:2048
	v_lshlrev_b32_e32 v3, 3, v38
	ds_write_b64 v3, v[15:16] offset:2048
	v_lshlrev_b32_e32 v3, 3, v37
	ds_write_b64 v3, v[17:18] offset:2048
	v_lshlrev_b32_e32 v3, 3, v36
	ds_write_b64 v3, v[19:20] offset:2048
	v_lshlrev_b32_e32 v3, 3, v35
	ds_write_b64 v3, v[21:22] offset:2048
	v_lshlrev_b32_e32 v3, 3, v34
	ds_write_b64 v3, v[23:24] offset:2048
	v_lshlrev_b32_e32 v3, 3, v33
	ds_write_b64 v3, v[25:26] offset:2048
	s_waitcnt lgkmcnt(0)
	s_barrier
	s_and_saveexec_b64 s[0:1], s[24:25]
	s_cbranch_execz .LBB63_196
; %bb.138:
	v_lshlrev_b32_e32 v3, 3, v64
	ds_read_b64 v[3:4], v3
	ds_read_b64 v[5:6], v32 offset:2048
	v_mov_b32_e32 v7, s63
	s_waitcnt lgkmcnt(1)
	v_lshlrev_b64 v[3:4], 3, v[3:4]
	v_add_co_u32_e32 v3, vcc, s62, v3
	v_addc_co_u32_e32 v4, vcc, v7, v4, vcc
	v_add_co_u32_e32 v3, vcc, v3, v32
	v_addc_co_u32_e32 v4, vcc, 0, v4, vcc
	s_waitcnt lgkmcnt(0)
	global_store_dwordx2 v[3:4], v[5:6], off
	s_or_b64 exec, exec, s[0:1]
	s_and_saveexec_b64 s[0:1], s[26:27]
	s_cbranch_execnz .LBB63_197
.LBB63_139:
	s_or_b64 exec, exec, s[0:1]
	s_and_saveexec_b64 s[0:1], s[28:29]
	s_cbranch_execz .LBB63_198
.LBB63_140:
	v_lshlrev_b32_e32 v3, 3, v63
	ds_read_b64 v[3:4], v3
	ds_read_b64 v[5:6], v32 offset:6144
	v_mov_b32_e32 v7, s63
	s_waitcnt lgkmcnt(1)
	v_lshlrev_b64 v[3:4], 3, v[3:4]
	v_add_co_u32_e32 v3, vcc, s62, v3
	v_addc_co_u32_e32 v4, vcc, v7, v4, vcc
	v_lshlrev_b32_e32 v7, 3, v45
	v_add_co_u32_e32 v3, vcc, v3, v7
	v_addc_co_u32_e32 v4, vcc, 0, v4, vcc
	s_waitcnt lgkmcnt(0)
	global_store_dwordx2 v[3:4], v[5:6], off
	s_or_b64 exec, exec, s[0:1]
	s_and_saveexec_b64 s[0:1], s[30:31]
	s_cbranch_execnz .LBB63_199
.LBB63_141:
	s_or_b64 exec, exec, s[0:1]
	s_and_saveexec_b64 s[0:1], s[34:35]
	s_cbranch_execz .LBB63_200
.LBB63_142:
	v_lshlrev_b32_e32 v3, 3, v61
	ds_read_b64 v[3:4], v3
	ds_read_b64 v[5:6], v32 offset:10240
	v_mov_b32_e32 v7, s63
	s_waitcnt lgkmcnt(1)
	v_lshlrev_b64 v[3:4], 3, v[3:4]
	v_add_co_u32_e32 v3, vcc, s62, v3
	v_addc_co_u32_e32 v4, vcc, v7, v4, vcc
	v_lshlrev_b32_e32 v7, 3, v47
	v_add_co_u32_e32 v3, vcc, v3, v7
	v_addc_co_u32_e32 v4, vcc, 0, v4, vcc
	s_waitcnt lgkmcnt(0)
	global_store_dwordx2 v[3:4], v[5:6], off
	s_or_b64 exec, exec, s[0:1]
	s_and_saveexec_b64 s[0:1], s[36:37]
	s_cbranch_execnz .LBB63_201
.LBB63_143:
	s_or_b64 exec, exec, s[0:1]
	s_and_saveexec_b64 s[0:1], s[38:39]
	s_cbranch_execz .LBB63_202
.LBB63_144:
	v_lshlrev_b32_e32 v3, 3, v59
	ds_read_b64 v[3:4], v3
	ds_read_b64 v[5:6], v32 offset:14336
	v_mov_b32_e32 v7, s63
	s_waitcnt lgkmcnt(1)
	v_lshlrev_b64 v[3:4], 3, v[3:4]
	v_add_co_u32_e32 v3, vcc, s62, v3
	v_addc_co_u32_e32 v4, vcc, v7, v4, vcc
	v_lshlrev_b32_e32 v7, 3, v49
	v_add_co_u32_e32 v3, vcc, v3, v7
	v_addc_co_u32_e32 v4, vcc, 0, v4, vcc
	s_waitcnt lgkmcnt(0)
	global_store_dwordx2 v[3:4], v[5:6], off
	s_or_b64 exec, exec, s[0:1]
	s_and_saveexec_b64 s[0:1], s[40:41]
	s_cbranch_execnz .LBB63_203
.LBB63_145:
	s_or_b64 exec, exec, s[0:1]
	s_and_saveexec_b64 s[0:1], s[42:43]
	s_cbranch_execz .LBB63_204
.LBB63_146:
	v_lshlrev_b32_e32 v3, 3, v57
	ds_read_b64 v[3:4], v3
	ds_read_b64 v[5:6], v32 offset:18432
	v_mov_b32_e32 v7, s63
	s_waitcnt lgkmcnt(1)
	v_lshlrev_b64 v[3:4], 3, v[3:4]
	v_add_co_u32_e32 v3, vcc, s62, v3
	v_addc_co_u32_e32 v4, vcc, v7, v4, vcc
	v_lshlrev_b32_e32 v7, 3, v51
	v_add_co_u32_e32 v3, vcc, v3, v7
	v_addc_co_u32_e32 v4, vcc, 0, v4, vcc
	s_waitcnt lgkmcnt(0)
	global_store_dwordx2 v[3:4], v[5:6], off
	s_or_b64 exec, exec, s[0:1]
	s_and_saveexec_b64 s[0:1], s[44:45]
	s_cbranch_execnz .LBB63_205
.LBB63_147:
	s_or_b64 exec, exec, s[0:1]
	s_and_saveexec_b64 s[0:1], s[46:47]
	s_cbranch_execz .LBB63_206
.LBB63_148:
	v_lshlrev_b32_e32 v3, 3, v55
	ds_read_b64 v[3:4], v3
	ds_read_b64 v[5:6], v32 offset:22528
	v_mov_b32_e32 v7, s63
	s_waitcnt lgkmcnt(1)
	v_lshlrev_b64 v[3:4], 3, v[3:4]
	v_add_co_u32_e32 v3, vcc, s62, v3
	v_addc_co_u32_e32 v4, vcc, v7, v4, vcc
	v_lshlrev_b32_e32 v7, 3, v53
	v_add_co_u32_e32 v3, vcc, v3, v7
	v_addc_co_u32_e32 v4, vcc, 0, v4, vcc
	s_waitcnt lgkmcnt(0)
	global_store_dwordx2 v[3:4], v[5:6], off
	s_or_b64 exec, exec, s[0:1]
	s_and_saveexec_b64 s[0:1], s[48:49]
	s_cbranch_execnz .LBB63_207
.LBB63_149:
	s_or_b64 exec, exec, s[0:1]
	s_add_i32 s33, s33, -1
	s_cmp_eq_u32 s6, s33
	s_cbranch_scc0 .LBB63_151
.LBB63_150:
	ds_read_b64 v[3:4], v32
	v_add_co_u32_e32 v5, vcc, v31, v30
	v_addc_co_u32_e64 v6, s[0:1], 0, 0, vcc
	s_waitcnt lgkmcnt(0)
	v_add_co_u32_e32 v3, vcc, v5, v3
	v_addc_co_u32_e32 v4, vcc, v6, v4, vcc
	global_store_dwordx2 v32, v[3:4], s[66:67]
.LBB63_151:
	s_mov_b64 s[0:1], 0
.LBB63_152:
	s_and_b64 vcc, exec, s[0:1]
	s_cbranch_vccz .LBB63_195
; %bb.153:
	s_mov_b32 s55, 0
	s_lshl_b64 s[0:1], s[54:55], 1
	v_mbcnt_hi_u32_b32 v8, -1, v29
	s_add_u32 s0, s56, s0
	v_lshlrev_b32_e32 v4, 1, v8
	v_add_co_u32_e32 v4, vcc, s0, v4
	s_load_dword s8, s[4:5], 0x50
	s_load_dword s0, s[4:5], 0x5c
	s_addc_u32 s1, s57, s1
	v_and_b32_e32 v9, 0xc0, v0
	v_mul_u32_u24_e32 v7, 12, v9
	v_mov_b32_e32 v5, s1
	s_add_u32 s1, s4, 0x50
	v_addc_co_u32_e32 v5, vcc, 0, v5, vcc
	v_lshlrev_b32_e32 v6, 1, v7
	s_addc_u32 s2, s5, 0
	s_waitcnt lgkmcnt(0)
	s_lshr_b32 s3, s0, 16
	v_add_co_u32_e32 v4, vcc, v4, v6
	s_cmp_lt_u32 s6, s8
	v_addc_co_u32_e32 v5, vcc, 0, v5, vcc
	s_cselect_b32 s0, 12, 18
	global_load_ushort v10, v[4:5], off
	s_add_u32 s0, s1, s0
	v_mov_b32_e32 v3, 0
	s_addc_u32 s1, s2, 0
	global_load_ushort v12, v3, s[0:1]
	v_mul_u32_u24_e32 v6, 20, v0
	ds_write2_b32 v6, v3, v3 offset0:4 offset1:5
	ds_write2_b32 v6, v3, v3 offset0:6 offset1:7
	ds_write_b32 v6, v3 offset:32
	global_load_ushort v11, v[4:5], off offset:128
	global_load_ushort v15, v[4:5], off offset:256
	;; [unrolled: 1-line block ×11, first 2 shown]
	s_lshl_b32 s0, -1, s69
	v_mad_u32_u24 v1, v2, s3, v1
	s_not_b32 s9, s0
	s_waitcnt vmcnt(0) lgkmcnt(0)
	s_barrier
	; wave barrier
	v_xor_b32_e32 v5, 0x7fff, v10
	v_lshrrev_b32_sdwa v2, s68, v5 dst_sel:DWORD dst_unused:UNUSED_PAD src0_sel:DWORD src1_sel:WORD_0
	v_and_b32_e32 v13, s9, v2
	v_lshlrev_b32_e32 v4, 30, v13
	v_mad_u64_u32 v[1:2], s[0:1], v1, v12, v[0:1]
	v_and_b32_e32 v2, 1, v13
	v_add_co_u32_e32 v10, vcc, -1, v2
	v_addc_co_u32_e64 v12, s[0:1], 0, -1, vcc
	v_cmp_ne_u32_e32 vcc, 0, v2
	v_cmp_gt_i64_e64 s[0:1], 0, v[3:4]
	v_not_b32_e32 v2, v4
	v_lshlrev_b32_e32 v4, 29, v13
	v_xor_b32_e32 v12, vcc_hi, v12
	v_xor_b32_e32 v10, vcc_lo, v10
	v_ashrrev_i32_e32 v2, 31, v2
	v_cmp_gt_i64_e32 vcc, 0, v[3:4]
	v_not_b32_e32 v14, v4
	v_lshlrev_b32_e32 v4, 28, v13
	v_and_b32_e32 v12, exec_hi, v12
	v_and_b32_e32 v10, exec_lo, v10
	v_xor_b32_e32 v16, s1, v2
	v_xor_b32_e32 v2, s0, v2
	v_ashrrev_i32_e32 v14, 31, v14
	v_cmp_gt_i64_e64 s[0:1], 0, v[3:4]
	v_not_b32_e32 v17, v4
	v_lshlrev_b32_e32 v4, 27, v13
	v_lshrrev_b32_e32 v1, 6, v1
	v_and_b32_e32 v12, v12, v16
	v_and_b32_e32 v2, v10, v2
	v_xor_b32_e32 v10, vcc_hi, v14
	v_xor_b32_e32 v14, vcc_lo, v14
	v_ashrrev_i32_e32 v16, 31, v17
	v_cmp_gt_i64_e32 vcc, 0, v[3:4]
	v_not_b32_e32 v4, v4
	v_lshlrev_b32_e32 v20, 2, v1
	v_and_b32_e32 v1, v12, v10
	v_and_b32_e32 v2, v2, v14
	v_xor_b32_e32 v12, s1, v16
	v_xor_b32_e32 v14, s0, v16
	v_ashrrev_i32_e32 v4, 31, v4
	v_and_b32_e32 v1, v1, v12
	v_and_b32_e32 v2, v2, v14
	v_xor_b32_e32 v12, vcc_hi, v4
	v_xor_b32_e32 v4, vcc_lo, v4
	v_and_b32_e32 v2, v2, v4
	v_lshlrev_b32_e32 v4, 26, v13
	v_cmp_gt_i64_e32 vcc, 0, v[3:4]
	v_not_b32_e32 v4, v4
	v_ashrrev_i32_e32 v4, 31, v4
	v_and_b32_e32 v1, v1, v12
	v_xor_b32_e32 v12, vcc_hi, v4
	v_xor_b32_e32 v4, vcc_lo, v4
	v_and_b32_e32 v2, v2, v4
	v_lshlrev_b32_e32 v4, 25, v13
	v_cmp_gt_i64_e32 vcc, 0, v[3:4]
	v_not_b32_e32 v4, v4
	v_ashrrev_i32_e32 v4, 31, v4
	v_and_b32_e32 v1, v1, v12
	v_xor_b32_e32 v12, vcc_hi, v4
	v_xor_b32_e32 v4, vcc_lo, v4
	v_and_b32_e32 v1, v1, v12
	v_and_b32_e32 v12, v2, v4
	v_lshlrev_b32_e32 v4, 24, v13
	v_cmp_gt_i64_e32 vcc, 0, v[3:4]
	v_not_b32_e32 v2, v4
	v_ashrrev_i32_e32 v2, 31, v2
	v_mad_u32_u24 v10, v13, 20, v20
	v_xor_b32_e32 v4, vcc_hi, v2
	v_xor_b32_e32 v13, vcc_lo, v2
	v_and_b32_e32 v2, v1, v4
	v_and_b32_e32 v1, v12, v13
	v_mbcnt_lo_u32_b32 v4, v1, 0
	v_mbcnt_hi_u32_b32 v12, v2, v4
	v_cmp_ne_u64_e32 vcc, 0, v[1:2]
	v_cmp_eq_u32_e64 s[0:1], 0, v12
	s_and_b64 s[2:3], vcc, s[0:1]
	s_and_saveexec_b64 s[0:1], s[2:3]
; %bb.154:
	v_bcnt_u32_b32 v1, v1, 0
	v_bcnt_u32_b32 v1, v2, v1
	ds_write_b32 v10, v1 offset:16
; %bb.155:
	s_or_b64 exec, exec, s[0:1]
	v_xor_b32_e32 v11, 0x7fff, v11
	v_lshrrev_b32_sdwa v1, s68, v11 dst_sel:DWORD dst_unused:UNUSED_PAD src0_sel:DWORD src1_sel:WORD_0
	v_and_b32_e32 v1, s9, v1
	v_and_b32_e32 v2, 1, v1
	v_add_co_u32_e32 v4, vcc, -1, v2
	v_addc_co_u32_e64 v16, s[0:1], 0, -1, vcc
	v_cmp_ne_u32_e32 vcc, 0, v2
	v_xor_b32_e32 v4, vcc_lo, v4
	v_xor_b32_e32 v2, vcc_hi, v16
	v_and_b32_e32 v16, exec_lo, v4
	v_lshlrev_b32_e32 v4, 30, v1
	v_cmp_gt_i64_e32 vcc, 0, v[3:4]
	v_not_b32_e32 v4, v4
	v_ashrrev_i32_e32 v4, 31, v4
	v_xor_b32_e32 v17, vcc_hi, v4
	v_xor_b32_e32 v4, vcc_lo, v4
	v_and_b32_e32 v16, v16, v4
	v_lshlrev_b32_e32 v4, 29, v1
	v_cmp_gt_i64_e32 vcc, 0, v[3:4]
	v_not_b32_e32 v4, v4
	v_and_b32_e32 v2, exec_hi, v2
	v_ashrrev_i32_e32 v4, 31, v4
	v_and_b32_e32 v2, v2, v17
	v_xor_b32_e32 v17, vcc_hi, v4
	v_xor_b32_e32 v4, vcc_lo, v4
	v_and_b32_e32 v16, v16, v4
	v_lshlrev_b32_e32 v4, 28, v1
	v_cmp_gt_i64_e32 vcc, 0, v[3:4]
	v_not_b32_e32 v4, v4
	v_ashrrev_i32_e32 v4, 31, v4
	v_and_b32_e32 v2, v2, v17
	v_xor_b32_e32 v17, vcc_hi, v4
	v_xor_b32_e32 v4, vcc_lo, v4
	v_and_b32_e32 v16, v16, v4
	v_lshlrev_b32_e32 v4, 27, v1
	v_cmp_gt_i64_e32 vcc, 0, v[3:4]
	v_not_b32_e32 v4, v4
	;; [unrolled: 8-line block ×4, first 2 shown]
	v_ashrrev_i32_e32 v4, 31, v4
	v_and_b32_e32 v2, v2, v17
	v_xor_b32_e32 v17, vcc_hi, v4
	v_xor_b32_e32 v4, vcc_lo, v4
	v_and_b32_e32 v16, v16, v4
	v_lshlrev_b32_e32 v4, 24, v1
	v_mad_u32_u24 v14, v1, 20, v20
	v_cmp_gt_i64_e32 vcc, 0, v[3:4]
	v_not_b32_e32 v1, v4
	v_ashrrev_i32_e32 v1, 31, v1
	v_xor_b32_e32 v3, vcc_hi, v1
	v_xor_b32_e32 v1, vcc_lo, v1
	; wave barrier
	ds_read_b32 v13, v14 offset:16
	v_and_b32_e32 v2, v2, v17
	v_and_b32_e32 v1, v16, v1
	;; [unrolled: 1-line block ×3, first 2 shown]
	v_mbcnt_lo_u32_b32 v3, v1, 0
	v_mbcnt_hi_u32_b32 v16, v2, v3
	v_cmp_ne_u64_e32 vcc, 0, v[1:2]
	v_cmp_eq_u32_e64 s[0:1], 0, v16
	s_and_b64 s[2:3], vcc, s[0:1]
	; wave barrier
	s_and_saveexec_b64 s[0:1], s[2:3]
	s_cbranch_execz .LBB63_157
; %bb.156:
	v_bcnt_u32_b32 v1, v1, 0
	v_bcnt_u32_b32 v1, v2, v1
	s_waitcnt lgkmcnt(0)
	v_add_u32_e32 v1, v13, v1
	ds_write_b32 v14, v1 offset:16
.LBB63_157:
	s_or_b64 exec, exec, s[0:1]
	v_xor_b32_e32 v15, 0x7fff, v15
	v_lshrrev_b32_sdwa v1, s68, v15 dst_sel:DWORD dst_unused:UNUSED_PAD src0_sel:DWORD src1_sel:WORD_0
	v_and_b32_e32 v3, s9, v1
	v_and_b32_e32 v2, 1, v3
	v_add_co_u32_e32 v4, vcc, -1, v2
	v_addc_co_u32_e64 v22, s[0:1], 0, -1, vcc
	v_cmp_ne_u32_e32 vcc, 0, v2
	v_xor_b32_e32 v2, vcc_hi, v22
	v_mov_b32_e32 v1, 0
	v_and_b32_e32 v22, exec_hi, v2
	v_lshlrev_b32_e32 v2, 30, v3
	v_xor_b32_e32 v4, vcc_lo, v4
	v_cmp_gt_i64_e32 vcc, 0, v[1:2]
	v_not_b32_e32 v2, v2
	v_ashrrev_i32_e32 v2, 31, v2
	v_and_b32_e32 v4, exec_lo, v4
	v_xor_b32_e32 v23, vcc_hi, v2
	v_xor_b32_e32 v2, vcc_lo, v2
	v_and_b32_e32 v4, v4, v2
	v_lshlrev_b32_e32 v2, 29, v3
	v_cmp_gt_i64_e32 vcc, 0, v[1:2]
	v_not_b32_e32 v2, v2
	v_ashrrev_i32_e32 v2, 31, v2
	v_and_b32_e32 v22, v22, v23
	v_xor_b32_e32 v23, vcc_hi, v2
	v_xor_b32_e32 v2, vcc_lo, v2
	v_and_b32_e32 v4, v4, v2
	v_lshlrev_b32_e32 v2, 28, v3
	v_cmp_gt_i64_e32 vcc, 0, v[1:2]
	v_not_b32_e32 v2, v2
	v_ashrrev_i32_e32 v2, 31, v2
	v_and_b32_e32 v22, v22, v23
	;; [unrolled: 8-line block ×5, first 2 shown]
	v_xor_b32_e32 v23, vcc_hi, v2
	v_xor_b32_e32 v2, vcc_lo, v2
	v_and_b32_e32 v4, v4, v2
	v_lshlrev_b32_e32 v2, 24, v3
	v_cmp_gt_i64_e32 vcc, 0, v[1:2]
	v_not_b32_e32 v2, v2
	v_ashrrev_i32_e32 v2, 31, v2
	v_mad_u32_u24 v19, v3, 20, v20
	v_xor_b32_e32 v3, vcc_hi, v2
	v_xor_b32_e32 v2, vcc_lo, v2
	; wave barrier
	ds_read_b32 v17, v19 offset:16
	v_and_b32_e32 v22, v22, v23
	v_and_b32_e32 v2, v4, v2
	;; [unrolled: 1-line block ×3, first 2 shown]
	v_mbcnt_lo_u32_b32 v4, v2, 0
	v_mbcnt_hi_u32_b32 v22, v3, v4
	v_cmp_ne_u64_e32 vcc, 0, v[2:3]
	v_cmp_eq_u32_e64 s[0:1], 0, v22
	s_and_b64 s[2:3], vcc, s[0:1]
	; wave barrier
	s_and_saveexec_b64 s[0:1], s[2:3]
	s_cbranch_execz .LBB63_159
; %bb.158:
	v_bcnt_u32_b32 v2, v2, 0
	v_bcnt_u32_b32 v2, v3, v2
	s_waitcnt lgkmcnt(0)
	v_add_u32_e32 v2, v17, v2
	ds_write_b32 v19, v2 offset:16
.LBB63_159:
	s_or_b64 exec, exec, s[0:1]
	v_xor_b32_e32 v21, 0x7fff, v21
	v_lshrrev_b32_sdwa v2, s68, v21 dst_sel:DWORD dst_unused:UNUSED_PAD src0_sel:DWORD src1_sel:WORD_0
	v_and_b32_e32 v3, s9, v2
	v_and_b32_e32 v2, 1, v3
	v_add_co_u32_e32 v4, vcc, -1, v2
	v_addc_co_u32_e64 v27, s[0:1], 0, -1, vcc
	v_cmp_ne_u32_e32 vcc, 0, v2
	v_xor_b32_e32 v2, vcc_hi, v27
	v_and_b32_e32 v27, exec_hi, v2
	v_lshlrev_b32_e32 v2, 30, v3
	v_xor_b32_e32 v4, vcc_lo, v4
	v_cmp_gt_i64_e32 vcc, 0, v[1:2]
	v_not_b32_e32 v2, v2
	v_ashrrev_i32_e32 v2, 31, v2
	v_and_b32_e32 v4, exec_lo, v4
	v_xor_b32_e32 v28, vcc_hi, v2
	v_xor_b32_e32 v2, vcc_lo, v2
	v_and_b32_e32 v4, v4, v2
	v_lshlrev_b32_e32 v2, 29, v3
	v_cmp_gt_i64_e32 vcc, 0, v[1:2]
	v_not_b32_e32 v2, v2
	v_ashrrev_i32_e32 v2, 31, v2
	v_and_b32_e32 v27, v27, v28
	v_xor_b32_e32 v28, vcc_hi, v2
	v_xor_b32_e32 v2, vcc_lo, v2
	v_and_b32_e32 v4, v4, v2
	v_lshlrev_b32_e32 v2, 28, v3
	v_cmp_gt_i64_e32 vcc, 0, v[1:2]
	v_not_b32_e32 v2, v2
	v_ashrrev_i32_e32 v2, 31, v2
	v_and_b32_e32 v27, v27, v28
	;; [unrolled: 8-line block ×5, first 2 shown]
	v_xor_b32_e32 v28, vcc_hi, v2
	v_xor_b32_e32 v2, vcc_lo, v2
	v_and_b32_e32 v4, v4, v2
	v_lshlrev_b32_e32 v2, 24, v3
	v_cmp_gt_i64_e32 vcc, 0, v[1:2]
	v_not_b32_e32 v1, v2
	v_ashrrev_i32_e32 v1, 31, v1
	v_mad_u32_u24 v25, v3, 20, v20
	v_xor_b32_e32 v2, vcc_hi, v1
	v_xor_b32_e32 v1, vcc_lo, v1
	; wave barrier
	ds_read_b32 v23, v25 offset:16
	v_and_b32_e32 v27, v27, v28
	v_and_b32_e32 v1, v4, v1
	;; [unrolled: 1-line block ×3, first 2 shown]
	v_mbcnt_lo_u32_b32 v3, v1, 0
	v_mbcnt_hi_u32_b32 v27, v2, v3
	v_cmp_ne_u64_e32 vcc, 0, v[1:2]
	v_cmp_eq_u32_e64 s[0:1], 0, v27
	s_and_b64 s[2:3], vcc, s[0:1]
	; wave barrier
	s_and_saveexec_b64 s[0:1], s[2:3]
	s_cbranch_execz .LBB63_161
; %bb.160:
	v_bcnt_u32_b32 v1, v1, 0
	v_bcnt_u32_b32 v1, v2, v1
	s_waitcnt lgkmcnt(0)
	v_add_u32_e32 v1, v23, v1
	ds_write_b32 v25, v1 offset:16
.LBB63_161:
	s_or_b64 exec, exec, s[0:1]
	v_xor_b32_e32 v26, 0x7fff, v26
	v_lshrrev_b32_sdwa v1, s68, v26 dst_sel:DWORD dst_unused:UNUSED_PAD src0_sel:DWORD src1_sel:WORD_0
	v_and_b32_e32 v3, s9, v1
	v_and_b32_e32 v2, 1, v3
	v_add_co_u32_e32 v4, vcc, -1, v2
	v_addc_co_u32_e64 v32, s[0:1], 0, -1, vcc
	v_cmp_ne_u32_e32 vcc, 0, v2
	v_xor_b32_e32 v2, vcc_hi, v32
	v_mov_b32_e32 v1, 0
	v_and_b32_e32 v32, exec_hi, v2
	v_lshlrev_b32_e32 v2, 30, v3
	v_xor_b32_e32 v4, vcc_lo, v4
	v_cmp_gt_i64_e32 vcc, 0, v[1:2]
	v_not_b32_e32 v2, v2
	v_ashrrev_i32_e32 v2, 31, v2
	v_and_b32_e32 v4, exec_lo, v4
	v_xor_b32_e32 v33, vcc_hi, v2
	v_xor_b32_e32 v2, vcc_lo, v2
	v_and_b32_e32 v4, v4, v2
	v_lshlrev_b32_e32 v2, 29, v3
	v_cmp_gt_i64_e32 vcc, 0, v[1:2]
	v_not_b32_e32 v2, v2
	v_ashrrev_i32_e32 v2, 31, v2
	v_and_b32_e32 v32, v32, v33
	v_xor_b32_e32 v33, vcc_hi, v2
	v_xor_b32_e32 v2, vcc_lo, v2
	v_and_b32_e32 v4, v4, v2
	v_lshlrev_b32_e32 v2, 28, v3
	v_cmp_gt_i64_e32 vcc, 0, v[1:2]
	v_not_b32_e32 v2, v2
	v_ashrrev_i32_e32 v2, 31, v2
	v_and_b32_e32 v32, v32, v33
	v_xor_b32_e32 v33, vcc_hi, v2
	v_xor_b32_e32 v2, vcc_lo, v2
	v_and_b32_e32 v4, v4, v2
	v_lshlrev_b32_e32 v2, 27, v3
	v_cmp_gt_i64_e32 vcc, 0, v[1:2]
	v_not_b32_e32 v2, v2
	v_ashrrev_i32_e32 v2, 31, v2
	v_and_b32_e32 v32, v32, v33
	v_xor_b32_e32 v33, vcc_hi, v2
	v_xor_b32_e32 v2, vcc_lo, v2
	v_and_b32_e32 v4, v4, v2
	v_lshlrev_b32_e32 v2, 26, v3
	v_cmp_gt_i64_e32 vcc, 0, v[1:2]
	v_not_b32_e32 v2, v2
	v_ashrrev_i32_e32 v2, 31, v2
	v_and_b32_e32 v32, v32, v33
	v_xor_b32_e32 v33, vcc_hi, v2
	v_xor_b32_e32 v2, vcc_lo, v2
	v_and_b32_e32 v4, v4, v2
	v_lshlrev_b32_e32 v2, 25, v3
	v_cmp_gt_i64_e32 vcc, 0, v[1:2]
	v_not_b32_e32 v2, v2
	v_ashrrev_i32_e32 v2, 31, v2
	v_and_b32_e32 v32, v32, v33
	v_xor_b32_e32 v33, vcc_hi, v2
	v_xor_b32_e32 v2, vcc_lo, v2
	v_and_b32_e32 v4, v4, v2
	v_lshlrev_b32_e32 v2, 24, v3
	v_cmp_gt_i64_e32 vcc, 0, v[1:2]
	v_not_b32_e32 v2, v2
	v_ashrrev_i32_e32 v2, 31, v2
	v_mad_u32_u24 v30, v3, 20, v20
	v_xor_b32_e32 v3, vcc_hi, v2
	v_xor_b32_e32 v2, vcc_lo, v2
	; wave barrier
	ds_read_b32 v28, v30 offset:16
	v_and_b32_e32 v32, v32, v33
	v_and_b32_e32 v2, v4, v2
	;; [unrolled: 1-line block ×3, first 2 shown]
	v_mbcnt_lo_u32_b32 v4, v2, 0
	v_mbcnt_hi_u32_b32 v32, v3, v4
	v_cmp_ne_u64_e32 vcc, 0, v[2:3]
	v_cmp_eq_u32_e64 s[0:1], 0, v32
	s_and_b64 s[2:3], vcc, s[0:1]
	; wave barrier
	s_and_saveexec_b64 s[0:1], s[2:3]
	s_cbranch_execz .LBB63_163
; %bb.162:
	v_bcnt_u32_b32 v2, v2, 0
	v_bcnt_u32_b32 v2, v3, v2
	s_waitcnt lgkmcnt(0)
	v_add_u32_e32 v2, v28, v2
	ds_write_b32 v30, v2 offset:16
.LBB63_163:
	s_or_b64 exec, exec, s[0:1]
	v_xor_b32_e32 v31, 0x7fff, v31
	v_lshrrev_b32_sdwa v2, s68, v31 dst_sel:DWORD dst_unused:UNUSED_PAD src0_sel:DWORD src1_sel:WORD_0
	v_and_b32_e32 v3, s9, v2
	v_and_b32_e32 v2, 1, v3
	v_add_co_u32_e32 v4, vcc, -1, v2
	v_addc_co_u32_e64 v37, s[0:1], 0, -1, vcc
	v_cmp_ne_u32_e32 vcc, 0, v2
	v_xor_b32_e32 v2, vcc_hi, v37
	v_and_b32_e32 v37, exec_hi, v2
	v_lshlrev_b32_e32 v2, 30, v3
	v_xor_b32_e32 v4, vcc_lo, v4
	v_cmp_gt_i64_e32 vcc, 0, v[1:2]
	v_not_b32_e32 v2, v2
	v_ashrrev_i32_e32 v2, 31, v2
	v_and_b32_e32 v4, exec_lo, v4
	v_xor_b32_e32 v38, vcc_hi, v2
	v_xor_b32_e32 v2, vcc_lo, v2
	v_and_b32_e32 v4, v4, v2
	v_lshlrev_b32_e32 v2, 29, v3
	v_cmp_gt_i64_e32 vcc, 0, v[1:2]
	v_not_b32_e32 v2, v2
	v_ashrrev_i32_e32 v2, 31, v2
	v_and_b32_e32 v37, v37, v38
	v_xor_b32_e32 v38, vcc_hi, v2
	v_xor_b32_e32 v2, vcc_lo, v2
	v_and_b32_e32 v4, v4, v2
	v_lshlrev_b32_e32 v2, 28, v3
	v_cmp_gt_i64_e32 vcc, 0, v[1:2]
	v_not_b32_e32 v2, v2
	v_ashrrev_i32_e32 v2, 31, v2
	v_and_b32_e32 v37, v37, v38
	;; [unrolled: 8-line block ×5, first 2 shown]
	v_xor_b32_e32 v38, vcc_hi, v2
	v_xor_b32_e32 v2, vcc_lo, v2
	v_and_b32_e32 v4, v4, v2
	v_lshlrev_b32_e32 v2, 24, v3
	v_cmp_gt_i64_e32 vcc, 0, v[1:2]
	v_not_b32_e32 v1, v2
	v_ashrrev_i32_e32 v1, 31, v1
	v_mad_u32_u24 v35, v3, 20, v20
	v_xor_b32_e32 v2, vcc_hi, v1
	v_xor_b32_e32 v1, vcc_lo, v1
	; wave barrier
	ds_read_b32 v33, v35 offset:16
	v_and_b32_e32 v37, v37, v38
	v_and_b32_e32 v1, v4, v1
	;; [unrolled: 1-line block ×3, first 2 shown]
	v_mbcnt_lo_u32_b32 v3, v1, 0
	v_mbcnt_hi_u32_b32 v37, v2, v3
	v_cmp_ne_u64_e32 vcc, 0, v[1:2]
	v_cmp_eq_u32_e64 s[0:1], 0, v37
	s_and_b64 s[2:3], vcc, s[0:1]
	; wave barrier
	s_and_saveexec_b64 s[0:1], s[2:3]
	s_cbranch_execz .LBB63_165
; %bb.164:
	v_bcnt_u32_b32 v1, v1, 0
	v_bcnt_u32_b32 v1, v2, v1
	s_waitcnt lgkmcnt(0)
	v_add_u32_e32 v1, v33, v1
	ds_write_b32 v35, v1 offset:16
.LBB63_165:
	s_or_b64 exec, exec, s[0:1]
	v_xor_b32_e32 v36, 0x7fff, v36
	v_lshrrev_b32_sdwa v1, s68, v36 dst_sel:DWORD dst_unused:UNUSED_PAD src0_sel:DWORD src1_sel:WORD_0
	v_and_b32_e32 v3, s9, v1
	v_and_b32_e32 v2, 1, v3
	v_add_co_u32_e32 v4, vcc, -1, v2
	v_addc_co_u32_e64 v41, s[0:1], 0, -1, vcc
	v_cmp_ne_u32_e32 vcc, 0, v2
	v_xor_b32_e32 v2, vcc_hi, v41
	v_mov_b32_e32 v1, 0
	v_and_b32_e32 v41, exec_hi, v2
	v_lshlrev_b32_e32 v2, 30, v3
	v_xor_b32_e32 v4, vcc_lo, v4
	v_cmp_gt_i64_e32 vcc, 0, v[1:2]
	v_not_b32_e32 v2, v2
	v_ashrrev_i32_e32 v2, 31, v2
	v_and_b32_e32 v4, exec_lo, v4
	v_xor_b32_e32 v42, vcc_hi, v2
	v_xor_b32_e32 v2, vcc_lo, v2
	v_and_b32_e32 v4, v4, v2
	v_lshlrev_b32_e32 v2, 29, v3
	v_cmp_gt_i64_e32 vcc, 0, v[1:2]
	v_not_b32_e32 v2, v2
	v_ashrrev_i32_e32 v2, 31, v2
	v_and_b32_e32 v41, v41, v42
	v_xor_b32_e32 v42, vcc_hi, v2
	v_xor_b32_e32 v2, vcc_lo, v2
	v_and_b32_e32 v4, v4, v2
	v_lshlrev_b32_e32 v2, 28, v3
	v_cmp_gt_i64_e32 vcc, 0, v[1:2]
	v_not_b32_e32 v2, v2
	v_ashrrev_i32_e32 v2, 31, v2
	v_and_b32_e32 v41, v41, v42
	;; [unrolled: 8-line block ×5, first 2 shown]
	v_xor_b32_e32 v42, vcc_hi, v2
	v_xor_b32_e32 v2, vcc_lo, v2
	v_and_b32_e32 v4, v4, v2
	v_lshlrev_b32_e32 v2, 24, v3
	v_cmp_gt_i64_e32 vcc, 0, v[1:2]
	v_not_b32_e32 v2, v2
	v_ashrrev_i32_e32 v2, 31, v2
	v_mad_u32_u24 v40, v3, 20, v20
	v_xor_b32_e32 v3, vcc_hi, v2
	v_xor_b32_e32 v2, vcc_lo, v2
	; wave barrier
	ds_read_b32 v38, v40 offset:16
	v_and_b32_e32 v41, v41, v42
	v_and_b32_e32 v2, v4, v2
	;; [unrolled: 1-line block ×3, first 2 shown]
	v_mbcnt_lo_u32_b32 v4, v2, 0
	v_mbcnt_hi_u32_b32 v41, v3, v4
	v_cmp_ne_u64_e32 vcc, 0, v[2:3]
	v_cmp_eq_u32_e64 s[0:1], 0, v41
	s_and_b64 s[2:3], vcc, s[0:1]
	; wave barrier
	s_and_saveexec_b64 s[0:1], s[2:3]
	s_cbranch_execz .LBB63_167
; %bb.166:
	v_bcnt_u32_b32 v2, v2, 0
	v_bcnt_u32_b32 v2, v3, v2
	s_waitcnt lgkmcnt(0)
	v_add_u32_e32 v2, v38, v2
	ds_write_b32 v40, v2 offset:16
.LBB63_167:
	s_or_b64 exec, exec, s[0:1]
	v_xor_b32_e32 v39, 0x7fff, v39
	v_lshrrev_b32_sdwa v2, s68, v39 dst_sel:DWORD dst_unused:UNUSED_PAD src0_sel:DWORD src1_sel:WORD_0
	v_and_b32_e32 v3, s9, v2
	v_and_b32_e32 v2, 1, v3
	v_add_co_u32_e32 v4, vcc, -1, v2
	v_addc_co_u32_e64 v44, s[0:1], 0, -1, vcc
	v_cmp_ne_u32_e32 vcc, 0, v2
	v_xor_b32_e32 v2, vcc_hi, v44
	v_and_b32_e32 v44, exec_hi, v2
	v_lshlrev_b32_e32 v2, 30, v3
	v_xor_b32_e32 v4, vcc_lo, v4
	v_cmp_gt_i64_e32 vcc, 0, v[1:2]
	v_not_b32_e32 v2, v2
	v_ashrrev_i32_e32 v2, 31, v2
	v_and_b32_e32 v4, exec_lo, v4
	v_xor_b32_e32 v45, vcc_hi, v2
	v_xor_b32_e32 v2, vcc_lo, v2
	v_and_b32_e32 v4, v4, v2
	v_lshlrev_b32_e32 v2, 29, v3
	v_cmp_gt_i64_e32 vcc, 0, v[1:2]
	v_not_b32_e32 v2, v2
	v_ashrrev_i32_e32 v2, 31, v2
	v_and_b32_e32 v44, v44, v45
	v_xor_b32_e32 v45, vcc_hi, v2
	v_xor_b32_e32 v2, vcc_lo, v2
	v_and_b32_e32 v4, v4, v2
	v_lshlrev_b32_e32 v2, 28, v3
	v_cmp_gt_i64_e32 vcc, 0, v[1:2]
	v_not_b32_e32 v2, v2
	v_ashrrev_i32_e32 v2, 31, v2
	v_and_b32_e32 v44, v44, v45
	;; [unrolled: 8-line block ×5, first 2 shown]
	v_xor_b32_e32 v45, vcc_hi, v2
	v_xor_b32_e32 v2, vcc_lo, v2
	v_and_b32_e32 v4, v4, v2
	v_lshlrev_b32_e32 v2, 24, v3
	v_cmp_gt_i64_e32 vcc, 0, v[1:2]
	v_not_b32_e32 v1, v2
	v_ashrrev_i32_e32 v1, 31, v1
	v_mad_u32_u24 v43, v3, 20, v20
	v_xor_b32_e32 v2, vcc_hi, v1
	v_xor_b32_e32 v1, vcc_lo, v1
	; wave barrier
	ds_read_b32 v42, v43 offset:16
	v_and_b32_e32 v44, v44, v45
	v_and_b32_e32 v1, v4, v1
	;; [unrolled: 1-line block ×3, first 2 shown]
	v_mbcnt_lo_u32_b32 v3, v1, 0
	v_mbcnt_hi_u32_b32 v44, v2, v3
	v_cmp_ne_u64_e32 vcc, 0, v[1:2]
	v_cmp_eq_u32_e64 s[0:1], 0, v44
	s_and_b64 s[2:3], vcc, s[0:1]
	; wave barrier
	s_and_saveexec_b64 s[0:1], s[2:3]
	s_cbranch_execz .LBB63_169
; %bb.168:
	v_bcnt_u32_b32 v1, v1, 0
	v_bcnt_u32_b32 v1, v2, v1
	s_waitcnt lgkmcnt(0)
	v_add_u32_e32 v1, v42, v1
	ds_write_b32 v43, v1 offset:16
.LBB63_169:
	s_or_b64 exec, exec, s[0:1]
	v_xor_b32_e32 v34, 0x7fff, v34
	v_lshrrev_b32_sdwa v1, s68, v34 dst_sel:DWORD dst_unused:UNUSED_PAD src0_sel:DWORD src1_sel:WORD_0
	v_and_b32_e32 v3, s9, v1
	v_and_b32_e32 v2, 1, v3
	v_add_co_u32_e32 v4, vcc, -1, v2
	v_addc_co_u32_e64 v47, s[0:1], 0, -1, vcc
	v_cmp_ne_u32_e32 vcc, 0, v2
	v_xor_b32_e32 v2, vcc_hi, v47
	v_mov_b32_e32 v1, 0
	v_and_b32_e32 v47, exec_hi, v2
	v_lshlrev_b32_e32 v2, 30, v3
	v_xor_b32_e32 v4, vcc_lo, v4
	v_cmp_gt_i64_e32 vcc, 0, v[1:2]
	v_not_b32_e32 v2, v2
	v_ashrrev_i32_e32 v2, 31, v2
	v_and_b32_e32 v4, exec_lo, v4
	v_xor_b32_e32 v48, vcc_hi, v2
	v_xor_b32_e32 v2, vcc_lo, v2
	v_and_b32_e32 v4, v4, v2
	v_lshlrev_b32_e32 v2, 29, v3
	v_cmp_gt_i64_e32 vcc, 0, v[1:2]
	v_not_b32_e32 v2, v2
	v_ashrrev_i32_e32 v2, 31, v2
	v_and_b32_e32 v47, v47, v48
	v_xor_b32_e32 v48, vcc_hi, v2
	v_xor_b32_e32 v2, vcc_lo, v2
	v_and_b32_e32 v4, v4, v2
	v_lshlrev_b32_e32 v2, 28, v3
	v_cmp_gt_i64_e32 vcc, 0, v[1:2]
	v_not_b32_e32 v2, v2
	v_ashrrev_i32_e32 v2, 31, v2
	v_and_b32_e32 v47, v47, v48
	;; [unrolled: 8-line block ×5, first 2 shown]
	v_xor_b32_e32 v48, vcc_hi, v2
	v_xor_b32_e32 v2, vcc_lo, v2
	v_and_b32_e32 v4, v4, v2
	v_lshlrev_b32_e32 v2, 24, v3
	v_cmp_gt_i64_e32 vcc, 0, v[1:2]
	v_not_b32_e32 v2, v2
	v_ashrrev_i32_e32 v2, 31, v2
	v_mad_u32_u24 v46, v3, 20, v20
	v_xor_b32_e32 v3, vcc_hi, v2
	v_xor_b32_e32 v2, vcc_lo, v2
	; wave barrier
	ds_read_b32 v45, v46 offset:16
	v_and_b32_e32 v47, v47, v48
	v_and_b32_e32 v2, v4, v2
	;; [unrolled: 1-line block ×3, first 2 shown]
	v_mbcnt_lo_u32_b32 v4, v2, 0
	v_mbcnt_hi_u32_b32 v48, v3, v4
	v_cmp_ne_u64_e32 vcc, 0, v[2:3]
	v_cmp_eq_u32_e64 s[0:1], 0, v48
	s_and_b64 s[2:3], vcc, s[0:1]
	; wave barrier
	s_and_saveexec_b64 s[0:1], s[2:3]
	s_cbranch_execz .LBB63_171
; %bb.170:
	v_bcnt_u32_b32 v2, v2, 0
	v_bcnt_u32_b32 v2, v3, v2
	s_waitcnt lgkmcnt(0)
	v_add_u32_e32 v2, v45, v2
	ds_write_b32 v46, v2 offset:16
.LBB63_171:
	s_or_b64 exec, exec, s[0:1]
	v_xor_b32_e32 v47, 0x7fff, v29
	v_lshrrev_b32_sdwa v2, s68, v47 dst_sel:DWORD dst_unused:UNUSED_PAD src0_sel:DWORD src1_sel:WORD_0
	v_and_b32_e32 v3, s9, v2
	v_and_b32_e32 v2, 1, v3
	v_add_co_u32_e32 v4, vcc, -1, v2
	v_addc_co_u32_e64 v50, s[0:1], 0, -1, vcc
	v_cmp_ne_u32_e32 vcc, 0, v2
	v_xor_b32_e32 v2, vcc_hi, v50
	v_and_b32_e32 v50, exec_hi, v2
	v_lshlrev_b32_e32 v2, 30, v3
	v_xor_b32_e32 v4, vcc_lo, v4
	v_cmp_gt_i64_e32 vcc, 0, v[1:2]
	v_not_b32_e32 v2, v2
	v_ashrrev_i32_e32 v2, 31, v2
	v_and_b32_e32 v4, exec_lo, v4
	v_xor_b32_e32 v51, vcc_hi, v2
	v_xor_b32_e32 v2, vcc_lo, v2
	v_and_b32_e32 v4, v4, v2
	v_lshlrev_b32_e32 v2, 29, v3
	v_cmp_gt_i64_e32 vcc, 0, v[1:2]
	v_not_b32_e32 v2, v2
	v_ashrrev_i32_e32 v2, 31, v2
	v_and_b32_e32 v50, v50, v51
	v_xor_b32_e32 v51, vcc_hi, v2
	v_xor_b32_e32 v2, vcc_lo, v2
	v_and_b32_e32 v4, v4, v2
	v_lshlrev_b32_e32 v2, 28, v3
	v_cmp_gt_i64_e32 vcc, 0, v[1:2]
	v_not_b32_e32 v2, v2
	v_ashrrev_i32_e32 v2, 31, v2
	v_and_b32_e32 v50, v50, v51
	;; [unrolled: 8-line block ×5, first 2 shown]
	v_xor_b32_e32 v51, vcc_hi, v2
	v_xor_b32_e32 v2, vcc_lo, v2
	v_and_b32_e32 v4, v4, v2
	v_lshlrev_b32_e32 v2, 24, v3
	v_cmp_gt_i64_e32 vcc, 0, v[1:2]
	v_not_b32_e32 v1, v2
	v_ashrrev_i32_e32 v1, 31, v1
	v_mad_u32_u24 v29, v3, 20, v20
	v_xor_b32_e32 v2, vcc_hi, v1
	v_xor_b32_e32 v1, vcc_lo, v1
	; wave barrier
	ds_read_b32 v49, v29 offset:16
	v_and_b32_e32 v50, v50, v51
	v_and_b32_e32 v1, v4, v1
	;; [unrolled: 1-line block ×3, first 2 shown]
	v_mbcnt_lo_u32_b32 v3, v1, 0
	v_mbcnt_hi_u32_b32 v51, v2, v3
	v_cmp_ne_u64_e32 vcc, 0, v[1:2]
	v_cmp_eq_u32_e64 s[0:1], 0, v51
	s_and_b64 s[2:3], vcc, s[0:1]
	; wave barrier
	s_and_saveexec_b64 s[0:1], s[2:3]
	s_cbranch_execz .LBB63_173
; %bb.172:
	v_bcnt_u32_b32 v1, v1, 0
	v_bcnt_u32_b32 v1, v2, v1
	s_waitcnt lgkmcnt(0)
	v_add_u32_e32 v1, v49, v1
	ds_write_b32 v29, v1 offset:16
.LBB63_173:
	s_or_b64 exec, exec, s[0:1]
	v_xor_b32_e32 v50, 0x7fff, v24
	v_lshrrev_b32_sdwa v1, s68, v50 dst_sel:DWORD dst_unused:UNUSED_PAD src0_sel:DWORD src1_sel:WORD_0
	v_and_b32_e32 v3, s9, v1
	v_and_b32_e32 v2, 1, v3
	v_add_co_u32_e32 v4, vcc, -1, v2
	v_addc_co_u32_e64 v53, s[0:1], 0, -1, vcc
	v_cmp_ne_u32_e32 vcc, 0, v2
	v_xor_b32_e32 v2, vcc_hi, v53
	v_mov_b32_e32 v1, 0
	v_and_b32_e32 v53, exec_hi, v2
	v_lshlrev_b32_e32 v2, 30, v3
	v_xor_b32_e32 v4, vcc_lo, v4
	v_cmp_gt_i64_e32 vcc, 0, v[1:2]
	v_not_b32_e32 v2, v2
	v_ashrrev_i32_e32 v2, 31, v2
	v_and_b32_e32 v4, exec_lo, v4
	v_xor_b32_e32 v54, vcc_hi, v2
	v_xor_b32_e32 v2, vcc_lo, v2
	v_and_b32_e32 v4, v4, v2
	v_lshlrev_b32_e32 v2, 29, v3
	v_cmp_gt_i64_e32 vcc, 0, v[1:2]
	v_not_b32_e32 v2, v2
	v_ashrrev_i32_e32 v2, 31, v2
	v_and_b32_e32 v53, v53, v54
	v_xor_b32_e32 v54, vcc_hi, v2
	v_xor_b32_e32 v2, vcc_lo, v2
	v_and_b32_e32 v4, v4, v2
	v_lshlrev_b32_e32 v2, 28, v3
	v_cmp_gt_i64_e32 vcc, 0, v[1:2]
	v_not_b32_e32 v2, v2
	v_ashrrev_i32_e32 v2, 31, v2
	v_and_b32_e32 v53, v53, v54
	;; [unrolled: 8-line block ×5, first 2 shown]
	v_xor_b32_e32 v54, vcc_hi, v2
	v_xor_b32_e32 v2, vcc_lo, v2
	v_and_b32_e32 v4, v4, v2
	v_lshlrev_b32_e32 v2, 24, v3
	v_cmp_gt_i64_e32 vcc, 0, v[1:2]
	v_not_b32_e32 v2, v2
	v_ashrrev_i32_e32 v2, 31, v2
	v_mad_u32_u24 v24, v3, 20, v20
	v_xor_b32_e32 v3, vcc_hi, v2
	v_xor_b32_e32 v2, vcc_lo, v2
	; wave barrier
	ds_read_b32 v52, v24 offset:16
	v_and_b32_e32 v53, v53, v54
	v_and_b32_e32 v2, v4, v2
	;; [unrolled: 1-line block ×3, first 2 shown]
	v_mbcnt_lo_u32_b32 v4, v2, 0
	v_mbcnt_hi_u32_b32 v54, v3, v4
	v_cmp_ne_u64_e32 vcc, 0, v[2:3]
	v_cmp_eq_u32_e64 s[0:1], 0, v54
	s_and_b64 s[2:3], vcc, s[0:1]
	; wave barrier
	s_and_saveexec_b64 s[0:1], s[2:3]
	s_cbranch_execz .LBB63_175
; %bb.174:
	v_bcnt_u32_b32 v2, v2, 0
	v_bcnt_u32_b32 v2, v3, v2
	s_waitcnt lgkmcnt(0)
	v_add_u32_e32 v2, v52, v2
	ds_write_b32 v24, v2 offset:16
.LBB63_175:
	s_or_b64 exec, exec, s[0:1]
	v_xor_b32_e32 v53, 0x7fff, v18
	v_lshrrev_b32_sdwa v2, s68, v53 dst_sel:DWORD dst_unused:UNUSED_PAD src0_sel:DWORD src1_sel:WORD_0
	v_and_b32_e32 v3, s9, v2
	v_and_b32_e32 v2, 1, v3
	v_add_co_u32_e32 v4, vcc, -1, v2
	v_mad_u32_u24 v18, v3, 20, v20
	v_addc_co_u32_e64 v20, s[0:1], 0, -1, vcc
	v_cmp_ne_u32_e32 vcc, 0, v2
	v_xor_b32_e32 v2, vcc_hi, v20
	v_and_b32_e32 v20, exec_hi, v2
	v_lshlrev_b32_e32 v2, 30, v3
	v_xor_b32_e32 v4, vcc_lo, v4
	v_cmp_gt_i64_e32 vcc, 0, v[1:2]
	v_not_b32_e32 v2, v2
	v_ashrrev_i32_e32 v2, 31, v2
	v_and_b32_e32 v4, exec_lo, v4
	v_xor_b32_e32 v56, vcc_hi, v2
	v_xor_b32_e32 v2, vcc_lo, v2
	v_and_b32_e32 v4, v4, v2
	v_lshlrev_b32_e32 v2, 29, v3
	v_cmp_gt_i64_e32 vcc, 0, v[1:2]
	v_not_b32_e32 v2, v2
	v_ashrrev_i32_e32 v2, 31, v2
	v_and_b32_e32 v20, v20, v56
	v_xor_b32_e32 v56, vcc_hi, v2
	v_xor_b32_e32 v2, vcc_lo, v2
	v_and_b32_e32 v4, v4, v2
	v_lshlrev_b32_e32 v2, 28, v3
	v_cmp_gt_i64_e32 vcc, 0, v[1:2]
	v_not_b32_e32 v2, v2
	v_ashrrev_i32_e32 v2, 31, v2
	v_and_b32_e32 v20, v20, v56
	;; [unrolled: 8-line block ×5, first 2 shown]
	v_xor_b32_e32 v56, vcc_hi, v2
	v_xor_b32_e32 v2, vcc_lo, v2
	v_and_b32_e32 v4, v4, v2
	v_lshlrev_b32_e32 v2, 24, v3
	v_cmp_gt_i64_e32 vcc, 0, v[1:2]
	v_not_b32_e32 v1, v2
	v_ashrrev_i32_e32 v1, 31, v1
	v_xor_b32_e32 v2, vcc_hi, v1
	v_xor_b32_e32 v1, vcc_lo, v1
	; wave barrier
	ds_read_b32 v55, v18 offset:16
	v_and_b32_e32 v20, v20, v56
	v_and_b32_e32 v1, v4, v1
	;; [unrolled: 1-line block ×3, first 2 shown]
	v_mbcnt_lo_u32_b32 v3, v1, 0
	v_mbcnt_hi_u32_b32 v56, v2, v3
	v_cmp_ne_u64_e32 vcc, 0, v[1:2]
	v_cmp_eq_u32_e64 s[0:1], 0, v56
	s_and_b64 s[2:3], vcc, s[0:1]
	; wave barrier
	s_and_saveexec_b64 s[0:1], s[2:3]
	s_cbranch_execz .LBB63_177
; %bb.176:
	v_bcnt_u32_b32 v1, v1, 0
	v_bcnt_u32_b32 v1, v2, v1
	s_waitcnt lgkmcnt(0)
	v_add_u32_e32 v1, v55, v1
	ds_write_b32 v18, v1 offset:16
.LBB63_177:
	s_or_b64 exec, exec, s[0:1]
	; wave barrier
	s_waitcnt lgkmcnt(0)
	s_barrier
	ds_read2_b32 v[3:4], v6 offset0:4 offset1:5
	ds_read2_b32 v[1:2], v6 offset0:6 offset1:7
	ds_read_b32 v20, v6 offset:32
	v_min_u32_e32 v9, 0xc0, v9
	v_or_b32_e32 v9, 63, v9
	s_waitcnt lgkmcnt(1)
	v_add3_u32 v57, v4, v3, v1
	s_waitcnt lgkmcnt(0)
	v_add3_u32 v20, v57, v2, v20
	v_and_b32_e32 v57, 15, v8
	v_cmp_ne_u32_e32 vcc, 0, v57
	v_mov_b32_dpp v58, v20 row_shr:1 row_mask:0xf bank_mask:0xf
	v_cndmask_b32_e32 v58, 0, v58, vcc
	v_add_u32_e32 v20, v58, v20
	v_cmp_lt_u32_e32 vcc, 1, v57
	s_nop 0
	v_mov_b32_dpp v58, v20 row_shr:2 row_mask:0xf bank_mask:0xf
	v_cndmask_b32_e32 v58, 0, v58, vcc
	v_add_u32_e32 v20, v20, v58
	v_cmp_lt_u32_e32 vcc, 3, v57
	s_nop 0
	;; [unrolled: 5-line block ×3, first 2 shown]
	v_mov_b32_dpp v58, v20 row_shr:8 row_mask:0xf bank_mask:0xf
	v_cndmask_b32_e32 v57, 0, v58, vcc
	v_add_u32_e32 v20, v20, v57
	v_bfe_i32 v58, v8, 4, 1
	v_cmp_lt_u32_e32 vcc, 31, v8
	v_mov_b32_dpp v57, v20 row_bcast:15 row_mask:0xf bank_mask:0xf
	v_and_b32_e32 v57, v58, v57
	v_add_u32_e32 v20, v20, v57
	s_nop 1
	v_mov_b32_dpp v57, v20 row_bcast:31 row_mask:0xf bank_mask:0xf
	v_cndmask_b32_e32 v57, 0, v57, vcc
	v_add_u32_e32 v20, v20, v57
	v_lshrrev_b32_e32 v57, 6, v0
	v_cmp_eq_u32_e32 vcc, v0, v9
	s_and_saveexec_b64 s[0:1], vcc
; %bb.178:
	v_lshlrev_b32_e32 v9, 2, v57
	ds_write_b32 v9, v20
; %bb.179:
	s_or_b64 exec, exec, s[0:1]
	v_cmp_gt_u32_e32 vcc, 4, v0
	s_waitcnt lgkmcnt(0)
	s_barrier
	s_and_saveexec_b64 s[0:1], vcc
	s_cbranch_execz .LBB63_181
; %bb.180:
	v_lshlrev_b32_e32 v9, 2, v0
	ds_read_b32 v58, v9
	v_and_b32_e32 v59, 3, v8
	v_cmp_ne_u32_e32 vcc, 0, v59
	s_waitcnt lgkmcnt(0)
	v_mov_b32_dpp v60, v58 row_shr:1 row_mask:0xf bank_mask:0xf
	v_cndmask_b32_e32 v60, 0, v60, vcc
	v_add_u32_e32 v58, v60, v58
	v_cmp_lt_u32_e32 vcc, 1, v59
	s_nop 0
	v_mov_b32_dpp v60, v58 row_shr:2 row_mask:0xf bank_mask:0xf
	v_cndmask_b32_e32 v59, 0, v60, vcc
	v_add_u32_e32 v58, v58, v59
	ds_write_b32 v9, v58
.LBB63_181:
	s_or_b64 exec, exec, s[0:1]
	v_cmp_lt_u32_e32 vcc, 63, v0
	v_mov_b32_e32 v9, 0
	s_waitcnt lgkmcnt(0)
	s_barrier
	s_and_saveexec_b64 s[0:1], vcc
; %bb.182:
	v_lshl_add_u32 v9, v57, 2, -4
	ds_read_b32 v9, v9
; %bb.183:
	s_or_b64 exec, exec, s[0:1]
	v_add_u32_e32 v57, -1, v8
	v_and_b32_e32 v58, 64, v8
	v_cmp_lt_i32_e32 vcc, v57, v58
	v_cndmask_b32_e32 v57, v57, v8, vcc
	s_waitcnt lgkmcnt(0)
	v_add_u32_e32 v20, v9, v20
	v_lshlrev_b32_e32 v57, 2, v57
	ds_bpermute_b32 v20, v57, v20
	v_cmp_eq_u32_e32 vcc, 0, v8
	s_movk_i32 s0, 0x100
	s_waitcnt lgkmcnt(0)
	v_cndmask_b32_e32 v9, v20, v9, vcc
	v_cmp_ne_u32_e32 vcc, 0, v0
	v_cndmask_b32_e32 v9, 0, v9, vcc
	v_add_u32_e32 v3, v9, v3
	v_add_u32_e32 v4, v3, v4
	;; [unrolled: 1-line block ×4, first 2 shown]
	ds_write2_b32 v6, v9, v3 offset0:4 offset1:5
	ds_write2_b32 v6, v4, v1 offset0:6 offset1:7
	ds_write_b32 v6, v2 offset:32
	s_waitcnt lgkmcnt(0)
	s_barrier
	ds_read_b32 v2, v43 offset:16
	ds_read_b32 v3, v46 offset:16
	;; [unrolled: 1-line block ×13, first 2 shown]
	v_add_u32_e32 v6, 1, v0
	v_cmp_ne_u32_e32 vcc, s0, v6
	v_mov_b32_e32 v1, 0xc00
	s_and_saveexec_b64 s[0:1], vcc
; %bb.184:
	v_mul_u32_u24_e32 v1, 20, v6
	ds_read_b32 v1, v1 offset:16
; %bb.185:
	s_or_b64 exec, exec, s[0:1]
	s_waitcnt lgkmcnt(7)
	v_add_u32_e32 v29, v10, v12
	s_waitcnt lgkmcnt(6)
	v_add3_u32 v25, v16, v13, v14
	s_waitcnt lgkmcnt(5)
	v_add3_u32 v24, v22, v17, v18
	v_add3_u32 v17, v44, v42, v2
	v_lshlrev_b32_e32 v2, 1, v29
	s_waitcnt lgkmcnt(0)
	s_barrier
	ds_write_b16 v2, v5 offset:2048
	v_lshlrev_b32_e32 v2, 1, v25
	v_add3_u32 v22, v27, v23, v19
	ds_write_b16 v2, v11 offset:2048
	v_lshlrev_b32_e32 v2, 1, v24
	v_add3_u32 v20, v32, v28, v20
	;; [unrolled: 3-line block ×4, first 2 shown]
	ds_write_b16 v2, v26 offset:2048
	v_lshlrev_b32_e32 v2, 1, v19
	ds_write_b16 v2, v31 offset:2048
	v_lshlrev_b32_e32 v2, 1, v18
	v_add3_u32 v16, v48, v45, v3
	ds_write_b16 v2, v36 offset:2048
	v_lshlrev_b32_e32 v2, 1, v17
	v_add3_u32 v14, v51, v49, v4
	;; [unrolled: 3-line block ×4, first 2 shown]
	ds_write_b16 v2, v47 offset:2048
	v_lshlrev_b32_e32 v2, 1, v13
	ds_write_b16 v2, v50 offset:2048
	v_lshlrev_b32_e32 v2, 1, v12
	ds_write_b16 v2, v53 offset:2048
	v_sub_u32_e32 v10, v1, v9
	v_lshl_or_b32 v1, s6, 8, v0
	v_mov_b32_e32 v2, 0
	v_lshlrev_b64 v[3:4], 2, v[1:2]
	v_mov_b32_e32 v11, s73
	v_add_co_u32_e32 v3, vcc, s72, v3
	v_addc_co_u32_e32 v4, vcc, v11, v4, vcc
	v_or_b32_e32 v1, 2.0, v10
	s_mov_b64 s[0:1], 0
	s_brev_b32 s10, -4
	v_mov_b32_e32 v15, 0
	s_waitcnt lgkmcnt(0)
	s_barrier
	global_store_dword v[3:4], v1, off
                                        ; implicit-def: $sgpr2_sgpr3
	s_branch .LBB63_188
.LBB63_186:                             ;   in Loop: Header=BB63_188 Depth=1
	s_or_b64 exec, exec, s[4:5]
.LBB63_187:                             ;   in Loop: Header=BB63_188 Depth=1
	s_or_b64 exec, exec, s[2:3]
	v_and_b32_e32 v5, 0x3fffffff, v1
	v_add_u32_e32 v15, v5, v15
	v_cmp_gt_i32_e64 s[2:3], -2.0, v1
	s_and_b64 s[4:5], exec, s[2:3]
	s_or_b64 s[0:1], s[4:5], s[0:1]
	s_andn2_b64 exec, exec, s[0:1]
	s_cbranch_execz .LBB63_193
.LBB63_188:                             ; =>This Loop Header: Depth=1
                                        ;     Child Loop BB63_191 Depth 2
	s_or_b64 s[2:3], s[2:3], exec
	s_cmp_eq_u32 s7, 0
	s_cbranch_scc1 .LBB63_192
; %bb.189:                              ;   in Loop: Header=BB63_188 Depth=1
	s_add_i32 s7, s7, -1
	v_lshl_or_b32 v1, s7, 8, v0
	v_lshlrev_b64 v[5:6], 2, v[1:2]
	v_add_co_u32_e32 v5, vcc, s72, v5
	v_addc_co_u32_e32 v6, vcc, v11, v6, vcc
	global_load_dword v1, v[5:6], off glc
	s_waitcnt vmcnt(0)
	v_cmp_gt_u32_e32 vcc, 2.0, v1
	s_and_saveexec_b64 s[2:3], vcc
	s_cbranch_execz .LBB63_187
; %bb.190:                              ;   in Loop: Header=BB63_188 Depth=1
	s_mov_b64 s[4:5], 0
.LBB63_191:                             ;   Parent Loop BB63_188 Depth=1
                                        ; =>  This Inner Loop Header: Depth=2
	global_load_dword v1, v[5:6], off glc
	s_waitcnt vmcnt(0)
	v_cmp_lt_u32_e32 vcc, s10, v1
	s_or_b64 s[4:5], vcc, s[4:5]
	s_andn2_b64 exec, exec, s[4:5]
	s_cbranch_execnz .LBB63_191
	s_branch .LBB63_186
.LBB63_192:                             ;   in Loop: Header=BB63_188 Depth=1
                                        ; implicit-def: $sgpr7
	s_and_b64 s[4:5], exec, s[2:3]
	s_or_b64 s[0:1], s[4:5], s[0:1]
	s_andn2_b64 exec, exec, s[0:1]
	s_cbranch_execnz .LBB63_188
.LBB63_193:
	s_or_b64 exec, exec, s[0:1]
	v_add_u32_e32 v2, v15, v10
	v_or_b32_e32 v2, 0x80000000, v2
	v_lshlrev_b32_e32 v1, 3, v0
	global_store_dword v[3:4], v2, off
	global_load_dwordx2 v[2:3], v1, s[64:65]
	v_sub_co_u32_e32 v4, vcc, v15, v9
	v_subb_co_u32_e64 v5, s[0:1], 0, 0, vcc
	v_mad_i32_i24 v52, v0, -6, v1
	v_mov_b32_e32 v6, s59
	v_mov_b32_e32 v15, s59
	;; [unrolled: 1-line block ×4, first 2 shown]
	v_lshlrev_b32_e32 v11, 1, v0
	v_mov_b32_e32 v28, s59
	s_lshl_b64 s[0:1], s[54:55], 3
	s_add_u32 s0, s60, s0
	s_addc_u32 s1, s61, s1
	v_or_b32_e32 v61, 0x800, v0
	v_or_b32_e32 v65, 0xa00, v0
	s_add_i32 s8, s8, -1
	s_cmp_lg_u32 s6, s8
	s_waitcnt vmcnt(0)
	v_add_co_u32_e32 v2, vcc, v4, v2
	v_addc_co_u32_e32 v3, vcc, v5, v3, vcc
	ds_write_b64 v1, v[2:3]
	s_waitcnt lgkmcnt(0)
	s_barrier
	ds_read_u16 v2, v52 offset:2048
	ds_read_u16 v3, v52 offset:2560
	;; [unrolled: 1-line block ×8, first 2 shown]
	s_waitcnt lgkmcnt(7)
	v_lshrrev_b32_sdwa v27, s68, v2 dst_sel:DWORD dst_unused:UNUSED_PAD src0_sel:DWORD src1_sel:WORD_0
	v_xor_b32_e32 v37, 0x7fff, v2
	s_waitcnt lgkmcnt(6)
	v_lshrrev_b32_sdwa v2, s68, v3 dst_sel:DWORD dst_unused:UNUSED_PAD src0_sel:DWORD src1_sel:WORD_0
	v_xor_b32_e32 v38, 0x7fff, v3
	;; [unrolled: 3-line block ×4, first 2 shown]
	s_waitcnt lgkmcnt(3)
	v_lshrrev_b32_sdwa v5, s68, v26 dst_sel:DWORD dst_unused:UNUSED_PAD src0_sel:DWORD src1_sel:WORD_0
	v_and_b32_e32 v2, s9, v2
	v_xor_b32_e32 v41, 0x7fff, v26
	v_and_b32_e32 v26, s9, v27
	v_and_b32_e32 v3, s9, v3
	;; [unrolled: 1-line block ×4, first 2 shown]
	v_lshlrev_b32_e32 v54, 3, v2
	v_lshlrev_b32_e32 v53, 3, v26
	v_lshlrev_b32_e32 v55, 3, v3
	v_lshlrev_b32_e32 v56, 3, v4
	v_lshlrev_b32_e32 v57, 3, v5
	ds_read_b64 v[2:3], v54
	ds_read_b64 v[4:5], v55
	ds_read_b64 v[26:27], v56
	ds_read_b64 v[30:31], v57
	ds_read_b64 v[32:33], v53
	ds_read_u16 v42, v52 offset:6144
	ds_read_u16 v46, v52 offset:6656
	;; [unrolled: 1-line block ×4, first 2 shown]
	s_waitcnt lgkmcnt(4)
	v_lshlrev_b64 v[32:33], 1, v[32:33]
	v_lshlrev_b64 v[2:3], 1, v[2:3]
	v_add_co_u32_e32 v32, vcc, s58, v32
	v_addc_co_u32_e32 v6, vcc, v6, v33, vcc
	v_lshlrev_b64 v[4:5], 1, v[4:5]
	v_add_co_u32_e32 v33, vcc, s58, v2
	v_addc_co_u32_e32 v15, vcc, v15, v3, vcc
	;; [unrolled: 3-line block ×3, first 2 shown]
	v_add_co_u32_e32 v44, vcc, s58, v26
	v_addc_co_u32_e32 v23, vcc, v23, v27, vcc
	v_add_co_u32_e32 v2, vcc, v32, v11
	v_addc_co_u32_e32 v3, vcc, 0, v6, vcc
	;; [unrolled: 2-line block ×4, first 2 shown]
	v_lshlrev_b64 v[30:31], 1, v[30:31]
	v_add_co_u32_e32 v32, vcc, v44, v11
	v_addc_co_u32_e32 v33, vcc, 0, v23, vcc
	global_store_short v[2:3], v37, off
	global_store_short v[4:5], v38, off offset:512
	global_store_short v[26:27], v39, off offset:1024
	;; [unrolled: 1-line block ×3, first 2 shown]
	v_add_co_u32_e32 v2, vcc, s58, v30
	v_addc_co_u32_e32 v3, vcc, v28, v31, vcc
	v_add_co_u32_e32 v2, vcc, v2, v11
	v_addc_co_u32_e32 v3, vcc, 0, v3, vcc
	global_store_short v[2:3], v41, off offset:2048
	v_lshrrev_b32_sdwa v2, s68, v34 dst_sel:DWORD dst_unused:UNUSED_PAD src0_sel:DWORD src1_sel:WORD_0
	v_and_b32_e32 v2, s9, v2
	v_lshlrev_b32_e32 v21, 3, v2
	ds_read_b64 v[2:3], v21
	v_lshrrev_b32_sdwa v4, s68, v35 dst_sel:DWORD dst_unused:UNUSED_PAD src0_sel:DWORD src1_sel:WORD_0
	v_and_b32_e32 v4, s9, v4
	v_lshlrev_b32_e32 v23, 3, v4
	v_lshrrev_b32_sdwa v4, s68, v36 dst_sel:DWORD dst_unused:UNUSED_PAD src0_sel:DWORD src1_sel:WORD_0
	v_and_b32_e32 v4, s9, v4
	s_waitcnt lgkmcnt(0)
	v_lshlrev_b64 v[2:3], 1, v[2:3]
	v_lshlrev_b32_e32 v28, 3, v4
	v_lshrrev_b32_sdwa v4, s68, v42 dst_sel:DWORD dst_unused:UNUSED_PAD src0_sel:DWORD src1_sel:WORD_0
	v_and_b32_e32 v4, s9, v4
	v_mov_b32_e32 v15, s59
	v_add_co_u32_e32 v2, vcc, s58, v2
	v_lshlrev_b32_e32 v60, 3, v4
	ds_read_b64 v[4:5], v23
	ds_read_b64 v[26:27], v28
	;; [unrolled: 1-line block ×3, first 2 shown]
	v_addc_co_u32_e32 v3, vcc, v15, v3, vcc
	v_add_co_u32_e32 v2, vcc, v2, v11
	v_xor_b32_e32 v6, 0x7fff, v34
	v_addc_co_u32_e32 v3, vcc, 0, v3, vcc
	global_store_short v[2:3], v6, off offset:2560
	s_waitcnt lgkmcnt(2)
	v_lshlrev_b64 v[2:3], 1, v[4:5]
	v_mov_b32_e32 v4, s59
	v_add_co_u32_e32 v2, vcc, s58, v2
	v_addc_co_u32_e32 v3, vcc, v4, v3, vcc
	v_add_co_u32_e32 v2, vcc, v2, v11
	v_xor_b32_e32 v6, 0x7fff, v35
	v_addc_co_u32_e32 v3, vcc, 0, v3, vcc
	global_store_short v[2:3], v6, off offset:3072
	s_waitcnt lgkmcnt(1)
	v_lshlrev_b64 v[2:3], 1, v[26:27]
	v_mov_b32_e32 v5, s59
	v_add_co_u32_e32 v2, vcc, s58, v2
	;; [unrolled: 9-line block ×3, first 2 shown]
	v_addc_co_u32_e32 v43, vcc, v4, v3, vcc
	v_lshlrev_b32_e32 v2, 3, v8
	v_mov_b32_e32 v3, s1
	v_add_co_u32_e32 v2, vcc, s0, v2
	v_addc_co_u32_e32 v3, vcc, 0, v3, vcc
	v_lshlrev_b32_e32 v4, 3, v7
	v_add_co_u32_e32 v2, vcc, v2, v4
	v_addc_co_u32_e32 v3, vcc, 0, v3, vcc
	s_movk_i32 s0, 0x1000
	global_load_dwordx2 v[4:5], v[2:3], off
	global_load_dwordx2 v[6:7], v[2:3], off offset:512
	global_load_dwordx2 v[26:27], v[2:3], off offset:1024
	;; [unrolled: 1-line block ×7, first 2 shown]
	v_add_co_u32_e32 v2, vcc, s0, v2
	v_xor_b32_e32 v11, 0x7fff, v42
	v_lshlrev_b32_e32 v42, 1, v61
	v_addc_co_u32_e32 v3, vcc, 0, v3, vcc
	global_load_dwordx2 v[40:41], v[2:3], off
	global_load_dwordx2 v[44:45], v[2:3], off offset:512
	v_add_co_u32_e32 v42, vcc, v15, v42
	v_addc_co_u32_e32 v43, vcc, 0, v43, vcc
	global_store_short v[42:43], v11, off
	global_load_dwordx2 v[42:43], v[2:3], off offset:1024
	v_lshrrev_b32_sdwa v11, s68, v46 dst_sel:DWORD dst_unused:UNUSED_PAD src0_sel:DWORD src1_sel:WORD_0
	global_load_dwordx2 v[2:3], v[2:3], off offset:1536
	v_and_b32_e32 v11, s9, v11
	v_lshlrev_b32_e32 v62, 3, v11
	v_xor_b32_e32 v15, 0x7fff, v46
	ds_read_b64 v[46:47], v62
	v_lshrrev_b32_sdwa v11, s68, v58 dst_sel:DWORD dst_unused:UNUSED_PAD src0_sel:DWORD src1_sel:WORD_0
	v_and_b32_e32 v11, s9, v11
	v_lshlrev_b32_e32 v63, 3, v11
	v_lshrrev_b32_sdwa v11, s68, v59 dst_sel:DWORD dst_unused:UNUSED_PAD src0_sel:DWORD src1_sel:WORD_0
	s_waitcnt lgkmcnt(0)
	v_lshlrev_b64 v[46:47], 1, v[46:47]
	v_and_b32_e32 v11, s9, v11
	v_or_b32_e32 v8, 0x900, v0
	v_lshlrev_b32_e32 v64, 3, v11
	ds_read_b64 v[48:49], v63
	ds_read_b64 v[50:51], v64
	v_mov_b32_e32 v11, s59
	v_add_co_u32_e32 v46, vcc, s58, v46
	v_addc_co_u32_e32 v11, vcc, v11, v47, vcc
	v_lshlrev_b32_e32 v47, 1, v8
	v_add_co_u32_e32 v46, vcc, v46, v47
	v_addc_co_u32_e32 v47, vcc, 0, v11, vcc
	global_store_short v[46:47], v15, off
	s_waitcnt lgkmcnt(1)
	v_lshlrev_b64 v[46:47], 1, v[48:49]
	v_mov_b32_e32 v15, s59
	v_add_co_u32_e32 v46, vcc, s58, v46
	v_addc_co_u32_e32 v15, vcc, v15, v47, vcc
	v_lshlrev_b32_e32 v47, 1, v65
	v_add_co_u32_e32 v46, vcc, v46, v47
	v_xor_b32_e32 v11, 0x7fff, v58
	v_addc_co_u32_e32 v47, vcc, 0, v15, vcc
	global_store_short v[46:47], v11, off
	s_waitcnt lgkmcnt(0)
	v_lshlrev_b64 v[46:47], 1, v[50:51]
	v_or_b32_e32 v48, 0xb00, v0
	v_mov_b32_e32 v15, s59
	v_add_co_u32_e32 v46, vcc, s58, v46
	v_addc_co_u32_e32 v15, vcc, v15, v47, vcc
	v_lshlrev_b32_e32 v47, 1, v48
	v_add_co_u32_e32 v46, vcc, v46, v47
	v_xor_b32_e32 v11, 0x7fff, v59
	v_addc_co_u32_e32 v47, vcc, 0, v15, vcc
	global_store_short v[46:47], v11, off
	v_lshlrev_b32_e32 v11, 3, v29
	s_waitcnt vmcnt(0)
	s_barrier
	v_mad_u32_u24 v0, v0, 6, v52
	ds_write_b64 v11, v[4:5] offset:2048
	v_lshlrev_b32_e32 v4, 3, v25
	ds_write_b64 v4, v[6:7] offset:2048
	v_lshlrev_b32_e32 v4, 3, v24
	;; [unrolled: 2-line block ×10, first 2 shown]
	v_mov_b32_e32 v17, s63
	ds_write_b64 v4, v[42:43] offset:2048
	v_lshlrev_b32_e32 v4, 3, v12
	ds_write_b64 v4, v[2:3] offset:2048
	s_waitcnt lgkmcnt(0)
	s_barrier
	ds_read_b64 v[6:7], v53
	ds_read2st64_b64 v[2:5], v0 offset0:4 offset1:8
	ds_read_b64 v[11:12], v54
	ds_read_b64 v[13:14], v55
	;; [unrolled: 1-line block ×3, first 2 shown]
	s_waitcnt lgkmcnt(4)
	v_lshlrev_b64 v[6:7], 3, v[6:7]
	v_add_co_u32_e32 v6, vcc, s62, v6
	v_addc_co_u32_e32 v7, vcc, v17, v7, vcc
	v_add_co_u32_e32 v6, vcc, v6, v1
	v_addc_co_u32_e32 v7, vcc, 0, v7, vcc
	s_waitcnt lgkmcnt(3)
	global_store_dwordx2 v[6:7], v[2:3], off
	s_waitcnt lgkmcnt(2)
	v_lshlrev_b64 v[2:3], 3, v[11:12]
	v_mov_b32_e32 v6, s63
	v_add_co_u32_e32 v2, vcc, s62, v2
	v_addc_co_u32_e32 v3, vcc, v6, v3, vcc
	v_add_co_u32_e32 v2, vcc, v2, v1
	v_addc_co_u32_e32 v3, vcc, 0, v3, vcc
	s_waitcnt lgkmcnt(1)
	v_lshlrev_b64 v[6:7], 3, v[13:14]
	global_store_dwordx2 v[2:3], v[4:5], off offset:2048
	ds_read2st64_b64 v[2:5], v0 offset0:12 offset1:16
	v_mov_b32_e32 v11, s63
	v_add_co_u32_e32 v6, vcc, s62, v6
	v_addc_co_u32_e32 v7, vcc, v11, v7, vcc
	v_or_b32_e32 v11, 0x1000, v1
	v_add_co_u32_e32 v6, vcc, v6, v11
	v_addc_co_u32_e32 v7, vcc, 0, v7, vcc
	s_waitcnt lgkmcnt(0)
	global_store_dwordx2 v[6:7], v[2:3], off
	v_lshlrev_b64 v[2:3], 3, v[15:16]
	v_mov_b32_e32 v6, s63
	v_add_co_u32_e32 v2, vcc, s62, v2
	v_addc_co_u32_e32 v3, vcc, v6, v3, vcc
	v_or_b32_e32 v6, 0x1800, v1
	v_add_co_u32_e32 v2, vcc, v2, v6
	v_addc_co_u32_e32 v3, vcc, 0, v3, vcc
	global_store_dwordx2 v[2:3], v[4:5], off
	ds_read_b64 v[6:7], v57
	ds_read2st64_b64 v[2:5], v0 offset0:20 offset1:24
	ds_read_b64 v[11:12], v21
	ds_read_b64 v[13:14], v23
	;; [unrolled: 1-line block ×3, first 2 shown]
	s_waitcnt lgkmcnt(4)
	v_lshlrev_b64 v[6:7], 3, v[6:7]
	v_add_co_u32_e32 v6, vcc, s62, v6
	v_addc_co_u32_e32 v7, vcc, v17, v7, vcc
	v_or_b32_e32 v17, 0x2000, v1
	v_add_co_u32_e32 v6, vcc, v6, v17
	v_addc_co_u32_e32 v7, vcc, 0, v7, vcc
	s_waitcnt lgkmcnt(3)
	global_store_dwordx2 v[6:7], v[2:3], off
	s_waitcnt lgkmcnt(2)
	v_lshlrev_b64 v[2:3], 3, v[11:12]
	v_mov_b32_e32 v6, s63
	v_add_co_u32_e32 v2, vcc, s62, v2
	v_addc_co_u32_e32 v3, vcc, v6, v3, vcc
	v_or_b32_e32 v6, 0x2800, v1
	v_add_co_u32_e32 v2, vcc, v2, v6
	v_addc_co_u32_e32 v3, vcc, 0, v3, vcc
	s_waitcnt lgkmcnt(1)
	v_lshlrev_b64 v[6:7], 3, v[13:14]
	global_store_dwordx2 v[2:3], v[4:5], off
	ds_read2st64_b64 v[2:5], v0 offset0:28 offset1:32
	v_mov_b32_e32 v11, s63
	v_add_co_u32_e32 v6, vcc, s62, v6
	v_addc_co_u32_e32 v7, vcc, v11, v7, vcc
	v_or_b32_e32 v11, 0x3000, v1
	v_add_co_u32_e32 v6, vcc, v6, v11
	v_addc_co_u32_e32 v7, vcc, 0, v7, vcc
	s_waitcnt lgkmcnt(0)
	global_store_dwordx2 v[6:7], v[2:3], off
	v_lshlrev_b64 v[2:3], 3, v[15:16]
	v_mov_b32_e32 v6, s63
	v_add_co_u32_e32 v2, vcc, s62, v2
	v_addc_co_u32_e32 v3, vcc, v6, v3, vcc
	v_or_b32_e32 v6, 0x3800, v1
	v_add_co_u32_e32 v2, vcc, v2, v6
	v_addc_co_u32_e32 v3, vcc, 0, v3, vcc
	global_store_dwordx2 v[2:3], v[4:5], off
	ds_read_b64 v[6:7], v60
	ds_read2st64_b64 v[2:5], v0 offset0:36 offset1:40
	ds_read_b64 v[11:12], v62
	ds_read_b64 v[13:14], v63
	;; [unrolled: 1-line block ×3, first 2 shown]
	s_waitcnt lgkmcnt(4)
	v_lshlrev_b64 v[6:7], 3, v[6:7]
	v_mov_b32_e32 v17, s63
	v_add_co_u32_e32 v6, vcc, s62, v6
	v_addc_co_u32_e32 v7, vcc, v17, v7, vcc
	v_lshlrev_b32_e32 v17, 3, v61
	v_add_co_u32_e32 v6, vcc, v6, v17
	v_addc_co_u32_e32 v7, vcc, 0, v7, vcc
	s_waitcnt lgkmcnt(3)
	global_store_dwordx2 v[6:7], v[2:3], off
	s_waitcnt lgkmcnt(2)
	v_lshlrev_b64 v[2:3], 3, v[11:12]
	v_mov_b32_e32 v6, s63
	v_add_co_u32_e32 v2, vcc, s62, v2
	v_addc_co_u32_e32 v3, vcc, v6, v3, vcc
	v_lshlrev_b32_e32 v6, 3, v8
	v_add_co_u32_e32 v2, vcc, v2, v6
	v_addc_co_u32_e32 v3, vcc, 0, v3, vcc
	s_waitcnt lgkmcnt(1)
	v_lshlrev_b64 v[6:7], 3, v[13:14]
	global_store_dwordx2 v[2:3], v[4:5], off
	ds_read2st64_b64 v[2:5], v0 offset0:44 offset1:48
	v_mov_b32_e32 v0, s63
	v_add_co_u32_e32 v6, vcc, s62, v6
	v_addc_co_u32_e32 v0, vcc, v0, v7, vcc
	v_lshlrev_b32_e32 v7, 3, v65
	v_add_co_u32_e32 v6, vcc, v6, v7
	v_addc_co_u32_e32 v7, vcc, 0, v0, vcc
	s_waitcnt lgkmcnt(0)
	global_store_dwordx2 v[6:7], v[2:3], off
	v_lshlrev_b64 v[2:3], 3, v[15:16]
	v_mov_b32_e32 v0, s63
	v_add_co_u32_e32 v2, vcc, s62, v2
	v_addc_co_u32_e32 v0, vcc, v0, v3, vcc
	v_lshlrev_b32_e32 v3, 3, v48
	v_add_co_u32_e32 v2, vcc, v2, v3
	v_addc_co_u32_e32 v3, vcc, 0, v0, vcc
	global_store_dwordx2 v[2:3], v[4:5], off
	s_cbranch_scc1 .LBB63_195
; %bb.194:
	ds_read_b64 v[2:3], v1
	v_add_co_u32_e32 v0, vcc, v10, v9
	v_addc_co_u32_e64 v4, s[0:1], 0, 0, vcc
	s_waitcnt lgkmcnt(0)
	v_add_co_u32_e32 v2, vcc, v0, v2
	v_addc_co_u32_e32 v3, vcc, v4, v3, vcc
	global_store_dwordx2 v1, v[2:3], s[66:67]
.LBB63_195:
	s_endpgm
.LBB63_196:
	s_or_b64 exec, exec, s[0:1]
	s_and_saveexec_b64 s[0:1], s[26:27]
	s_cbranch_execz .LBB63_139
.LBB63_197:
	v_lshlrev_b32_e32 v3, 3, v62
	ds_read_b64 v[3:4], v3
	ds_read_b64 v[5:6], v32 offset:4096
	v_mov_b32_e32 v7, s63
	s_waitcnt lgkmcnt(1)
	v_lshlrev_b64 v[3:4], 3, v[3:4]
	v_add_co_u32_e32 v3, vcc, s62, v3
	v_addc_co_u32_e32 v4, vcc, v7, v4, vcc
	v_add_co_u32_e32 v3, vcc, v3, v32
	v_addc_co_u32_e32 v4, vcc, 0, v4, vcc
	s_waitcnt lgkmcnt(0)
	global_store_dwordx2 v[3:4], v[5:6], off offset:2048
	s_or_b64 exec, exec, s[0:1]
	s_and_saveexec_b64 s[0:1], s[28:29]
	s_cbranch_execnz .LBB63_140
.LBB63_198:
	s_or_b64 exec, exec, s[0:1]
	s_and_saveexec_b64 s[0:1], s[30:31]
	s_cbranch_execz .LBB63_141
.LBB63_199:
	v_lshlrev_b32_e32 v3, 3, v60
	ds_read_b64 v[3:4], v3
	ds_read_b64 v[5:6], v32 offset:8192
	v_mov_b32_e32 v7, s63
	s_waitcnt lgkmcnt(1)
	v_lshlrev_b64 v[3:4], 3, v[3:4]
	v_add_co_u32_e32 v3, vcc, s62, v3
	v_addc_co_u32_e32 v4, vcc, v7, v4, vcc
	v_lshlrev_b32_e32 v7, 3, v46
	v_add_co_u32_e32 v3, vcc, v3, v7
	v_addc_co_u32_e32 v4, vcc, 0, v4, vcc
	s_waitcnt lgkmcnt(0)
	global_store_dwordx2 v[3:4], v[5:6], off
	s_or_b64 exec, exec, s[0:1]
	s_and_saveexec_b64 s[0:1], s[34:35]
	s_cbranch_execnz .LBB63_142
.LBB63_200:
	s_or_b64 exec, exec, s[0:1]
	s_and_saveexec_b64 s[0:1], s[36:37]
	s_cbranch_execz .LBB63_143
.LBB63_201:
	v_lshlrev_b32_e32 v3, 3, v58
	ds_read_b64 v[3:4], v3
	ds_read_b64 v[5:6], v32 offset:12288
	v_mov_b32_e32 v7, s63
	s_waitcnt lgkmcnt(1)
	v_lshlrev_b64 v[3:4], 3, v[3:4]
	v_add_co_u32_e32 v3, vcc, s62, v3
	v_addc_co_u32_e32 v4, vcc, v7, v4, vcc
	v_lshlrev_b32_e32 v7, 3, v48
	v_add_co_u32_e32 v3, vcc, v3, v7
	v_addc_co_u32_e32 v4, vcc, 0, v4, vcc
	s_waitcnt lgkmcnt(0)
	global_store_dwordx2 v[3:4], v[5:6], off
	s_or_b64 exec, exec, s[0:1]
	s_and_saveexec_b64 s[0:1], s[38:39]
	s_cbranch_execnz .LBB63_144
.LBB63_202:
	s_or_b64 exec, exec, s[0:1]
	s_and_saveexec_b64 s[0:1], s[40:41]
	s_cbranch_execz .LBB63_145
.LBB63_203:
	v_lshlrev_b32_e32 v3, 3, v56
	ds_read_b64 v[3:4], v3
	ds_read_b64 v[5:6], v32 offset:16384
	v_mov_b32_e32 v7, s63
	s_waitcnt lgkmcnt(1)
	v_lshlrev_b64 v[3:4], 3, v[3:4]
	v_add_co_u32_e32 v3, vcc, s62, v3
	v_addc_co_u32_e32 v4, vcc, v7, v4, vcc
	v_lshlrev_b32_e32 v7, 3, v50
	v_add_co_u32_e32 v3, vcc, v3, v7
	v_addc_co_u32_e32 v4, vcc, 0, v4, vcc
	s_waitcnt lgkmcnt(0)
	global_store_dwordx2 v[3:4], v[5:6], off
	s_or_b64 exec, exec, s[0:1]
	s_and_saveexec_b64 s[0:1], s[42:43]
	s_cbranch_execnz .LBB63_146
.LBB63_204:
	s_or_b64 exec, exec, s[0:1]
	s_and_saveexec_b64 s[0:1], s[44:45]
	s_cbranch_execz .LBB63_147
.LBB63_205:
	v_lshlrev_b32_e32 v3, 3, v28
	ds_read_b64 v[3:4], v3
	ds_read_b64 v[5:6], v32 offset:20480
	v_mov_b32_e32 v7, s63
	s_waitcnt lgkmcnt(1)
	v_lshlrev_b64 v[3:4], 3, v[3:4]
	v_add_co_u32_e32 v3, vcc, s62, v3
	v_addc_co_u32_e32 v4, vcc, v7, v4, vcc
	v_lshlrev_b32_e32 v7, 3, v52
	v_add_co_u32_e32 v3, vcc, v3, v7
	v_addc_co_u32_e32 v4, vcc, 0, v4, vcc
	s_waitcnt lgkmcnt(0)
	global_store_dwordx2 v[3:4], v[5:6], off
	s_or_b64 exec, exec, s[0:1]
	s_and_saveexec_b64 s[0:1], s[46:47]
	s_cbranch_execnz .LBB63_148
.LBB63_206:
	s_or_b64 exec, exec, s[0:1]
	s_and_saveexec_b64 s[0:1], s[48:49]
	s_cbranch_execz .LBB63_149
.LBB63_207:
	v_lshlrev_b32_e32 v3, 3, v27
	ds_read_b64 v[3:4], v3
	ds_read_b64 v[5:6], v32 offset:24576
	v_mov_b32_e32 v7, s63
	s_waitcnt lgkmcnt(1)
	v_lshlrev_b64 v[3:4], 3, v[3:4]
	v_add_co_u32_e32 v3, vcc, s62, v3
	v_addc_co_u32_e32 v4, vcc, v7, v4, vcc
	v_lshlrev_b32_e32 v7, 3, v54
	v_add_co_u32_e32 v3, vcc, v3, v7
	v_addc_co_u32_e32 v4, vcc, 0, v4, vcc
	s_waitcnt lgkmcnt(0)
	global_store_dwordx2 v[3:4], v[5:6], off
	s_or_b64 exec, exec, s[0:1]
	s_add_i32 s33, s33, -1
	s_cmp_eq_u32 s6, s33
	s_cbranch_scc1 .LBB63_150
	s_branch .LBB63_151
	.section	.rodata,"a",@progbits
	.p2align	6, 0x0
	.amdhsa_kernel _ZN7rocprim17ROCPRIM_304000_NS6detail25onesweep_iteration_kernelINS1_34wrapped_radix_sort_onesweep_configINS0_14default_configEsN2at4cuda3cub6detail10OpaqueTypeILi8EEEEELb1EPsSC_PSA_SD_mNS0_19identity_decomposerEEEvT1_T2_T3_T4_jPT5_SK_PNS1_23onesweep_lookback_stateET6_jjj
		.amdhsa_group_segment_fixed_size 26624
		.amdhsa_private_segment_fixed_size 0
		.amdhsa_kernarg_size 336
		.amdhsa_user_sgpr_count 6
		.amdhsa_user_sgpr_private_segment_buffer 1
		.amdhsa_user_sgpr_dispatch_ptr 0
		.amdhsa_user_sgpr_queue_ptr 0
		.amdhsa_user_sgpr_kernarg_segment_ptr 1
		.amdhsa_user_sgpr_dispatch_id 0
		.amdhsa_user_sgpr_flat_scratch_init 0
		.amdhsa_user_sgpr_private_segment_size 0
		.amdhsa_uses_dynamic_stack 0
		.amdhsa_system_sgpr_private_segment_wavefront_offset 0
		.amdhsa_system_sgpr_workgroup_id_x 1
		.amdhsa_system_sgpr_workgroup_id_y 0
		.amdhsa_system_sgpr_workgroup_id_z 0
		.amdhsa_system_sgpr_workgroup_info 0
		.amdhsa_system_vgpr_workitem_id 2
		.amdhsa_next_free_vgpr 85
		.amdhsa_next_free_sgpr 98
		.amdhsa_reserve_vcc 1
		.amdhsa_reserve_flat_scratch 0
		.amdhsa_float_round_mode_32 0
		.amdhsa_float_round_mode_16_64 0
		.amdhsa_float_denorm_mode_32 3
		.amdhsa_float_denorm_mode_16_64 3
		.amdhsa_dx10_clamp 1
		.amdhsa_ieee_mode 1
		.amdhsa_fp16_overflow 0
		.amdhsa_exception_fp_ieee_invalid_op 0
		.amdhsa_exception_fp_denorm_src 0
		.amdhsa_exception_fp_ieee_div_zero 0
		.amdhsa_exception_fp_ieee_overflow 0
		.amdhsa_exception_fp_ieee_underflow 0
		.amdhsa_exception_fp_ieee_inexact 0
		.amdhsa_exception_int_div_zero 0
	.end_amdhsa_kernel
	.section	.text._ZN7rocprim17ROCPRIM_304000_NS6detail25onesweep_iteration_kernelINS1_34wrapped_radix_sort_onesweep_configINS0_14default_configEsN2at4cuda3cub6detail10OpaqueTypeILi8EEEEELb1EPsSC_PSA_SD_mNS0_19identity_decomposerEEEvT1_T2_T3_T4_jPT5_SK_PNS1_23onesweep_lookback_stateET6_jjj,"axG",@progbits,_ZN7rocprim17ROCPRIM_304000_NS6detail25onesweep_iteration_kernelINS1_34wrapped_radix_sort_onesweep_configINS0_14default_configEsN2at4cuda3cub6detail10OpaqueTypeILi8EEEEELb1EPsSC_PSA_SD_mNS0_19identity_decomposerEEEvT1_T2_T3_T4_jPT5_SK_PNS1_23onesweep_lookback_stateET6_jjj,comdat
.Lfunc_end63:
	.size	_ZN7rocprim17ROCPRIM_304000_NS6detail25onesweep_iteration_kernelINS1_34wrapped_radix_sort_onesweep_configINS0_14default_configEsN2at4cuda3cub6detail10OpaqueTypeILi8EEEEELb1EPsSC_PSA_SD_mNS0_19identity_decomposerEEEvT1_T2_T3_T4_jPT5_SK_PNS1_23onesweep_lookback_stateET6_jjj, .Lfunc_end63-_ZN7rocprim17ROCPRIM_304000_NS6detail25onesweep_iteration_kernelINS1_34wrapped_radix_sort_onesweep_configINS0_14default_configEsN2at4cuda3cub6detail10OpaqueTypeILi8EEEEELb1EPsSC_PSA_SD_mNS0_19identity_decomposerEEEvT1_T2_T3_T4_jPT5_SK_PNS1_23onesweep_lookback_stateET6_jjj
                                        ; -- End function
	.set _ZN7rocprim17ROCPRIM_304000_NS6detail25onesweep_iteration_kernelINS1_34wrapped_radix_sort_onesweep_configINS0_14default_configEsN2at4cuda3cub6detail10OpaqueTypeILi8EEEEELb1EPsSC_PSA_SD_mNS0_19identity_decomposerEEEvT1_T2_T3_T4_jPT5_SK_PNS1_23onesweep_lookback_stateET6_jjj.num_vgpr, 66
	.set _ZN7rocprim17ROCPRIM_304000_NS6detail25onesweep_iteration_kernelINS1_34wrapped_radix_sort_onesweep_configINS0_14default_configEsN2at4cuda3cub6detail10OpaqueTypeILi8EEEEELb1EPsSC_PSA_SD_mNS0_19identity_decomposerEEEvT1_T2_T3_T4_jPT5_SK_PNS1_23onesweep_lookback_stateET6_jjj.num_agpr, 0
	.set _ZN7rocprim17ROCPRIM_304000_NS6detail25onesweep_iteration_kernelINS1_34wrapped_radix_sort_onesweep_configINS0_14default_configEsN2at4cuda3cub6detail10OpaqueTypeILi8EEEEELb1EPsSC_PSA_SD_mNS0_19identity_decomposerEEEvT1_T2_T3_T4_jPT5_SK_PNS1_23onesweep_lookback_stateET6_jjj.numbered_sgpr, 75
	.set _ZN7rocprim17ROCPRIM_304000_NS6detail25onesweep_iteration_kernelINS1_34wrapped_radix_sort_onesweep_configINS0_14default_configEsN2at4cuda3cub6detail10OpaqueTypeILi8EEEEELb1EPsSC_PSA_SD_mNS0_19identity_decomposerEEEvT1_T2_T3_T4_jPT5_SK_PNS1_23onesweep_lookback_stateET6_jjj.num_named_barrier, 0
	.set _ZN7rocprim17ROCPRIM_304000_NS6detail25onesweep_iteration_kernelINS1_34wrapped_radix_sort_onesweep_configINS0_14default_configEsN2at4cuda3cub6detail10OpaqueTypeILi8EEEEELb1EPsSC_PSA_SD_mNS0_19identity_decomposerEEEvT1_T2_T3_T4_jPT5_SK_PNS1_23onesweep_lookback_stateET6_jjj.private_seg_size, 0
	.set _ZN7rocprim17ROCPRIM_304000_NS6detail25onesweep_iteration_kernelINS1_34wrapped_radix_sort_onesweep_configINS0_14default_configEsN2at4cuda3cub6detail10OpaqueTypeILi8EEEEELb1EPsSC_PSA_SD_mNS0_19identity_decomposerEEEvT1_T2_T3_T4_jPT5_SK_PNS1_23onesweep_lookback_stateET6_jjj.uses_vcc, 1
	.set _ZN7rocprim17ROCPRIM_304000_NS6detail25onesweep_iteration_kernelINS1_34wrapped_radix_sort_onesweep_configINS0_14default_configEsN2at4cuda3cub6detail10OpaqueTypeILi8EEEEELb1EPsSC_PSA_SD_mNS0_19identity_decomposerEEEvT1_T2_T3_T4_jPT5_SK_PNS1_23onesweep_lookback_stateET6_jjj.uses_flat_scratch, 0
	.set _ZN7rocprim17ROCPRIM_304000_NS6detail25onesweep_iteration_kernelINS1_34wrapped_radix_sort_onesweep_configINS0_14default_configEsN2at4cuda3cub6detail10OpaqueTypeILi8EEEEELb1EPsSC_PSA_SD_mNS0_19identity_decomposerEEEvT1_T2_T3_T4_jPT5_SK_PNS1_23onesweep_lookback_stateET6_jjj.has_dyn_sized_stack, 0
	.set _ZN7rocprim17ROCPRIM_304000_NS6detail25onesweep_iteration_kernelINS1_34wrapped_radix_sort_onesweep_configINS0_14default_configEsN2at4cuda3cub6detail10OpaqueTypeILi8EEEEELb1EPsSC_PSA_SD_mNS0_19identity_decomposerEEEvT1_T2_T3_T4_jPT5_SK_PNS1_23onesweep_lookback_stateET6_jjj.has_recursion, 0
	.set _ZN7rocprim17ROCPRIM_304000_NS6detail25onesweep_iteration_kernelINS1_34wrapped_radix_sort_onesweep_configINS0_14default_configEsN2at4cuda3cub6detail10OpaqueTypeILi8EEEEELb1EPsSC_PSA_SD_mNS0_19identity_decomposerEEEvT1_T2_T3_T4_jPT5_SK_PNS1_23onesweep_lookback_stateET6_jjj.has_indirect_call, 0
	.section	.AMDGPU.csdata,"",@progbits
; Kernel info:
; codeLenInByte = 19376
; TotalNumSgprs: 79
; NumVgprs: 66
; ScratchSize: 0
; MemoryBound: 0
; FloatMode: 240
; IeeeMode: 1
; LDSByteSize: 26624 bytes/workgroup (compile time only)
; SGPRBlocks: 12
; VGPRBlocks: 21
; NumSGPRsForWavesPerEU: 102
; NumVGPRsForWavesPerEU: 85
; Occupancy: 2
; WaveLimiterHint : 1
; COMPUTE_PGM_RSRC2:SCRATCH_EN: 0
; COMPUTE_PGM_RSRC2:USER_SGPR: 6
; COMPUTE_PGM_RSRC2:TRAP_HANDLER: 0
; COMPUTE_PGM_RSRC2:TGID_X_EN: 1
; COMPUTE_PGM_RSRC2:TGID_Y_EN: 0
; COMPUTE_PGM_RSRC2:TGID_Z_EN: 0
; COMPUTE_PGM_RSRC2:TIDIG_COMP_CNT: 2
	.section	.text._ZN7rocprim17ROCPRIM_304000_NS6detail28radix_sort_block_sort_kernelINS1_36wrapped_radix_sort_block_sort_configINS0_13kernel_configILj256ELj4ELj4294967295EEEsN2at4cuda3cub6detail10OpaqueTypeILi8EEEEELb0EPKsPsPKSB_PSB_NS0_19identity_decomposerEEEvT1_T2_T3_T4_jT5_jj,"axG",@progbits,_ZN7rocprim17ROCPRIM_304000_NS6detail28radix_sort_block_sort_kernelINS1_36wrapped_radix_sort_block_sort_configINS0_13kernel_configILj256ELj4ELj4294967295EEEsN2at4cuda3cub6detail10OpaqueTypeILi8EEEEELb0EPKsPsPKSB_PSB_NS0_19identity_decomposerEEEvT1_T2_T3_T4_jT5_jj,comdat
	.protected	_ZN7rocprim17ROCPRIM_304000_NS6detail28radix_sort_block_sort_kernelINS1_36wrapped_radix_sort_block_sort_configINS0_13kernel_configILj256ELj4ELj4294967295EEEsN2at4cuda3cub6detail10OpaqueTypeILi8EEEEELb0EPKsPsPKSB_PSB_NS0_19identity_decomposerEEEvT1_T2_T3_T4_jT5_jj ; -- Begin function _ZN7rocprim17ROCPRIM_304000_NS6detail28radix_sort_block_sort_kernelINS1_36wrapped_radix_sort_block_sort_configINS0_13kernel_configILj256ELj4ELj4294967295EEEsN2at4cuda3cub6detail10OpaqueTypeILi8EEEEELb0EPKsPsPKSB_PSB_NS0_19identity_decomposerEEEvT1_T2_T3_T4_jT5_jj
	.globl	_ZN7rocprim17ROCPRIM_304000_NS6detail28radix_sort_block_sort_kernelINS1_36wrapped_radix_sort_block_sort_configINS0_13kernel_configILj256ELj4ELj4294967295EEEsN2at4cuda3cub6detail10OpaqueTypeILi8EEEEELb0EPKsPsPKSB_PSB_NS0_19identity_decomposerEEEvT1_T2_T3_T4_jT5_jj
	.p2align	8
	.type	_ZN7rocprim17ROCPRIM_304000_NS6detail28radix_sort_block_sort_kernelINS1_36wrapped_radix_sort_block_sort_configINS0_13kernel_configILj256ELj4ELj4294967295EEEsN2at4cuda3cub6detail10OpaqueTypeILi8EEEEELb0EPKsPsPKSB_PSB_NS0_19identity_decomposerEEEvT1_T2_T3_T4_jT5_jj,@function
_ZN7rocprim17ROCPRIM_304000_NS6detail28radix_sort_block_sort_kernelINS1_36wrapped_radix_sort_block_sort_configINS0_13kernel_configILj256ELj4ELj4294967295EEEsN2at4cuda3cub6detail10OpaqueTypeILi8EEEEELb0EPKsPsPKSB_PSB_NS0_19identity_decomposerEEEvT1_T2_T3_T4_jT5_jj: ; @_ZN7rocprim17ROCPRIM_304000_NS6detail28radix_sort_block_sort_kernelINS1_36wrapped_radix_sort_block_sort_configINS0_13kernel_configILj256ELj4ELj4294967295EEEsN2at4cuda3cub6detail10OpaqueTypeILi8EEEEELb0EPKsPsPKSB_PSB_NS0_19identity_decomposerEEEvT1_T2_T3_T4_jT5_jj
; %bb.0:
	s_load_dword s2, s[4:5], 0x20
	s_load_dwordx8 s[36:43], s[4:5], 0x0
	s_lshl_b32 s28, s6, 10
	s_mov_b32 s29, 0
	v_mbcnt_lo_u32_b32 v3, -1, 0
	s_waitcnt lgkmcnt(0)
	s_lshr_b32 s0, s2, 10
	s_cmp_lg_u32 s6, s0
	s_cselect_b64 s[30:31], -1, 0
	s_lshl_b64 s[34:35], s[28:29], 1
	s_add_u32 s1, s36, s34
	v_mbcnt_hi_u32_b32 v9, -1, v3
	s_addc_u32 s3, s37, s35
	v_lshlrev_b32_e32 v10, 2, v0
	v_lshlrev_b32_e32 v3, 1, v9
	v_and_b32_e32 v11, 0x300, v10
	v_mov_b32_e32 v4, s3
	v_add_co_u32_e32 v3, vcc, s1, v3
	v_addc_co_u32_e32 v4, vcc, 0, v4, vcc
	v_lshlrev_b32_e32 v5, 1, v11
	v_add_co_u32_e32 v7, vcc, v3, v5
	s_cmp_eq_u32 s6, s0
	v_addc_co_u32_e32 v8, vcc, 0, v4, vcc
	v_lshlrev_b32_e32 v16, 3, v9
	v_lshlrev_b32_e32 v15, 3, v11
	v_add_u32_e32 v12, v9, v11
	s_cbranch_scc1 .LBB64_2
; %bb.1:
	s_lshl_b64 s[0:1], s[28:29], 3
	s_add_u32 s0, s40, s0
	s_addc_u32 s1, s41, s1
	v_mov_b32_e32 v3, s1
	v_add_co_u32_e32 v4, vcc, s0, v16
	v_addc_co_u32_e32 v3, vcc, 0, v3, vcc
	v_add_co_u32_e32 v5, vcc, v4, v15
	v_addc_co_u32_e32 v6, vcc, 0, v3, vcc
	global_load_ushort v13, v[7:8], off
	global_load_ushort v14, v[7:8], off offset:128
	global_load_ushort v17, v[7:8], off offset:256
	global_load_ushort v24, v[7:8], off offset:384
	global_load_dwordx2 v[3:4], v[5:6], off
	global_load_dwordx2 v[18:19], v[5:6], off offset:512
	global_load_dwordx2 v[20:21], v[5:6], off offset:1024
	;; [unrolled: 1-line block ×3, first 2 shown]
	s_mov_b32 s0, 0x5040100
	s_waitcnt vmcnt(6)
	v_perm_b32 v5, v14, v13, s0
	s_waitcnt vmcnt(4)
	v_perm_b32 v6, v24, v17, s0
	v_add_u32_e32 v17, v9, v11
	v_add_u32_e32 v11, 64, v17
	;; [unrolled: 1-line block ×4, first 2 shown]
	s_sub_i32 s33, s2, s28
	s_cbranch_execz .LBB64_3
	s_branch .LBB64_17
.LBB64_2:
                                        ; implicit-def: $vgpr5_vgpr6
                                        ; implicit-def: $vgpr3_vgpr4
                                        ; implicit-def: $vgpr18_vgpr19
                                        ; implicit-def: $vgpr20_vgpr21
                                        ; implicit-def: $vgpr22_vgpr23
                                        ; implicit-def: $vgpr17
                                        ; implicit-def: $vgpr11
                                        ; implicit-def: $vgpr13
                                        ; implicit-def: $vgpr14
	s_sub_i32 s33, s2, s28
.LBB64_3:
	v_mov_b32_e32 v5, 0x7fff7fff
	v_cmp_gt_u32_e32 vcc, s33, v12
	v_mov_b32_e32 v6, v5
	s_and_saveexec_b64 s[0:1], vcc
	s_cbranch_execz .LBB64_5
; %bb.4:
	global_load_ushort v3, v[7:8], off
	s_movk_i32 s2, 0x7fff
	s_waitcnt vmcnt(4)
	v_mov_b32_e32 v4, 0x5040100
	s_waitcnt vmcnt(0)
	v_perm_b32 v3, s2, v3, v4
	v_mov_b32_e32 v4, v5
	v_mov_b32_e32 v6, v4
	;; [unrolled: 1-line block ×3, first 2 shown]
.LBB64_5:
	s_or_b64 exec, exec, s[0:1]
	v_add_u32_e32 v11, 64, v12
	v_cmp_gt_u32_e64 s[0:1], s33, v11
	s_and_saveexec_b64 s[2:3], s[0:1]
	s_cbranch_execz .LBB64_7
; %bb.6:
	global_load_ushort v3, v[7:8], off offset:128
	s_mov_b32 s6, 0x5040100
	s_waitcnt vmcnt(0)
	v_perm_b32 v5, v3, v5, s6
.LBB64_7:
	s_or_b64 exec, exec, s[2:3]
	v_add_u32_e32 v13, 0x80, v12
	v_cmp_gt_u32_e64 s[2:3], s33, v13
	s_and_saveexec_b64 s[6:7], s[2:3]
	s_cbranch_execz .LBB64_9
; %bb.8:
	global_load_ushort v3, v[7:8], off offset:256
	s_mov_b32 s8, 0xffff
	s_waitcnt vmcnt(0)
	v_bfi_b32 v6, s8, v3, v6
.LBB64_9:
	s_or_b64 exec, exec, s[6:7]
	v_add_u32_e32 v14, 0xc0, v12
	v_cmp_gt_u32_e64 s[6:7], s33, v14
	s_and_saveexec_b64 s[8:9], s[6:7]
	s_cbranch_execz .LBB64_11
; %bb.10:
	global_load_ushort v3, v[7:8], off offset:384
	s_mov_b32 s10, 0x5040100
	s_waitcnt vmcnt(0)
	v_perm_b32 v6, v3, v6, s10
.LBB64_11:
	s_or_b64 exec, exec, s[8:9]
	s_lshl_b64 s[8:9], s[28:29], 3
	s_add_u32 s8, s40, s8
	s_addc_u32 s9, s41, s9
	s_waitcnt vmcnt(3)
	v_mov_b32_e32 v3, s9
	v_add_co_u32_e64 v4, s[8:9], s8, v16
	v_addc_co_u32_e64 v3, s[8:9], 0, v3, s[8:9]
	v_add_co_u32_e64 v7, s[8:9], v4, v15
	v_addc_co_u32_e64 v8, s[8:9], 0, v3, s[8:9]
                                        ; implicit-def: $vgpr3_vgpr4
	s_and_saveexec_b64 s[8:9], vcc
	s_cbranch_execnz .LBB64_54
; %bb.12:
	s_or_b64 exec, exec, s[8:9]
                                        ; implicit-def: $vgpr18_vgpr19
	s_and_saveexec_b64 s[8:9], s[0:1]
	s_cbranch_execnz .LBB64_55
.LBB64_13:
	s_or_b64 exec, exec, s[8:9]
                                        ; implicit-def: $vgpr20_vgpr21
	s_and_saveexec_b64 s[0:1], s[2:3]
	s_cbranch_execnz .LBB64_56
.LBB64_14:
	s_or_b64 exec, exec, s[0:1]
                                        ; implicit-def: $vgpr22_vgpr23
	s_and_saveexec_b64 s[0:1], s[6:7]
	s_cbranch_execz .LBB64_16
.LBB64_15:
	global_load_dwordx2 v[22:23], v[7:8], off offset:1536
.LBB64_16:
	s_or_b64 exec, exec, s[0:1]
	v_mov_b32_e32 v17, v12
.LBB64_17:
	s_load_dwordx2 s[36:37], s[4:5], 0x28
	s_load_dword s0, s[4:5], 0x3c
	s_movk_i32 s2, 0x8000
	v_xor_b32_e32 v7, 0xffff8000, v6
	v_xor_b32_sdwa v6, v6, s2 dst_sel:DWORD dst_unused:UNUSED_PAD src0_sel:WORD_1 src1_sel:DWORD
	v_and_b32_e32 v8, 64, v9
	s_waitcnt lgkmcnt(0)
	s_lshr_b32 s1, s0, 16
	s_and_b32 s0, s0, 0xffff
	v_mad_u32_u24 v1, v2, s1, v1
	v_mad_u64_u32 v[1:2], s[0:1], v1, s0, v[0:1]
	v_xor_b32_e32 v2, 0xffff8000, v5
	v_xor_b32_sdwa v5, v5, s2 dst_sel:DWORD dst_unused:UNUSED_PAD src0_sel:WORD_1 src1_sel:DWORD
	v_lshrrev_b32_e32 v1, 4, v1
	v_and_b32_e32 v26, 0xffffffc, v1
	v_and_b32_e32 v1, 15, v9
	v_cmp_eq_u32_e64 s[0:1], 0, v1
	v_cmp_lt_u32_e64 s[2:3], 1, v1
	v_cmp_lt_u32_e64 s[4:5], 3, v1
	;; [unrolled: 1-line block ×3, first 2 shown]
	v_and_b32_e32 v1, 16, v9
	v_cmp_eq_u32_e64 s[8:9], 0, v1
	v_or_b32_e32 v1, 63, v0
	v_cmp_eq_u32_e64 s[12:13], v0, v1
	v_subrev_co_u32_e64 v1, s[18:19], 1, v9
	v_cmp_lt_i32_e32 vcc, v1, v8
	v_and_b32_e32 v8, 3, v9
	v_lshlrev_b32_e32 v25, 2, v10
	v_cmp_lt_u32_e64 s[10:11], 31, v9
	v_cndmask_b32_e32 v1, v1, v9, vcc
	v_cmp_eq_u32_e64 s[22:23], 0, v8
	v_cmp_lt_u32_e64 s[24:25], 1, v8
	v_lshlrev_b32_e32 v31, 1, v11
	v_mul_lo_u32 v8, v17, 6
	v_mul_lo_u32 v9, v11, 6
	;; [unrolled: 1-line block ×4, first 2 shown]
	s_mov_b32 s26, 0
	v_lshlrev_b32_e32 v27, 2, v1
	v_lshrrev_b32_e32 v1, 4, v0
	s_mov_b32 s44, s26
	v_and_b32_e32 v28, 12, v1
	v_mul_i32_i24_e32 v1, -12, v0
	v_lshlrev_b32_e32 v30, 1, v17
	v_lshlrev_b32_e32 v32, 1, v13
	;; [unrolled: 1-line block ×3, first 2 shown]
	s_mov_b32 s41, 0x5040100
	s_mov_b32 s27, s26
	;; [unrolled: 1-line block ×3, first 2 shown]
	v_mov_b32_e32 v13, s26
	v_mov_b32_e32 v15, s44
	s_add_i32 s40, s37, s36
	v_cmp_gt_u32_e64 s[14:15], 4, v0
	v_cmp_lt_u32_e64 s[16:17], 63, v0
	v_cmp_eq_u32_e64 s[20:21], 0, v0
	v_add_u32_e32 v29, -4, v28
	v_perm_b32 v40, v5, v2, s41
	v_perm_b32 v49, v6, v7, s41
	v_mov_b32_e32 v14, s27
	v_mov_b32_e32 v16, s45
	;; [unrolled: 1-line block ×3, first 2 shown]
	v_add_u32_e32 v34, v25, v1
	v_add_u32_e32 v35, v30, v8
	;; [unrolled: 1-line block ×5, first 2 shown]
	s_branch .LBB64_19
.LBB64_18:                              ;   in Loop: Header=BB64_19 Depth=1
	s_andn2_b64 vcc, exec, s[26:27]
	s_cbranch_vccz .LBB64_35
.LBB64_19:                              ; =>This Inner Loop Header: Depth=1
	s_min_u32 s26, s37, 8
	s_lshl_b32 s26, -1, s26
	s_not_b32 s44, s26
	v_lshrrev_b32_sdwa v1, s36, v40 dst_sel:DWORD dst_unused:UNUSED_PAD src0_sel:DWORD src1_sel:WORD_0
	v_and_b32_e32 v1, s44, v1
	s_waitcnt vmcnt(0)
	v_mov_b32_e32 v12, v4
	v_and_b32_e32 v2, 1, v1
	v_mov_b32_e32 v11, v3
	v_mov_b32_e32 v9, v18
	v_add_co_u32_e32 v4, vcc, -1, v2
	v_mov_b32_e32 v10, v19
	v_addc_co_u32_e64 v18, s[26:27], 0, -1, vcc
	v_cmp_ne_u32_e32 vcc, 0, v2
	v_xor_b32_e32 v2, vcc_hi, v18
	v_lshlrev_b32_e32 v18, 30, v1
	v_xor_b32_e32 v4, vcc_lo, v4
	v_cmp_gt_i64_e32 vcc, 0, v[17:18]
	v_not_b32_e32 v18, v18
	v_ashrrev_i32_e32 v18, 31, v18
	v_and_b32_e32 v4, exec_lo, v4
	v_xor_b32_e32 v19, vcc_hi, v18
	v_xor_b32_e32 v18, vcc_lo, v18
	v_and_b32_e32 v4, v4, v18
	v_lshlrev_b32_e32 v18, 29, v1
	v_cmp_gt_i64_e32 vcc, 0, v[17:18]
	v_not_b32_e32 v18, v18
	v_and_b32_e32 v2, exec_hi, v2
	v_ashrrev_i32_e32 v18, 31, v18
	v_and_b32_e32 v2, v2, v19
	v_xor_b32_e32 v19, vcc_hi, v18
	v_xor_b32_e32 v18, vcc_lo, v18
	v_and_b32_e32 v4, v4, v18
	v_lshlrev_b32_e32 v18, 28, v1
	v_cmp_gt_i64_e32 vcc, 0, v[17:18]
	v_not_b32_e32 v18, v18
	v_ashrrev_i32_e32 v18, 31, v18
	v_and_b32_e32 v2, v2, v19
	v_xor_b32_e32 v19, vcc_hi, v18
	v_xor_b32_e32 v18, vcc_lo, v18
	v_and_b32_e32 v4, v4, v18
	v_lshlrev_b32_e32 v18, 27, v1
	v_cmp_gt_i64_e32 vcc, 0, v[17:18]
	v_not_b32_e32 v18, v18
	;; [unrolled: 8-line block ×4, first 2 shown]
	v_ashrrev_i32_e32 v18, 31, v18
	v_and_b32_e32 v2, v2, v19
	v_xor_b32_e32 v19, vcc_hi, v18
	v_xor_b32_e32 v18, vcc_lo, v18
	v_and_b32_e32 v4, v4, v18
	v_lshlrev_b32_e32 v18, 24, v1
	v_lshlrev_b32_e32 v3, 4, v1
	v_cmp_gt_i64_e32 vcc, 0, v[17:18]
	v_not_b32_e32 v1, v18
	v_ashrrev_i32_e32 v1, 31, v1
	v_xor_b32_e32 v18, vcc_hi, v1
	v_xor_b32_e32 v1, vcc_lo, v1
	v_and_b32_e32 v2, v2, v19
	v_and_b32_e32 v1, v4, v1
	;; [unrolled: 1-line block ×3, first 2 shown]
	v_mbcnt_lo_u32_b32 v4, v1, 0
	v_mbcnt_hi_u32_b32 v19, v2, v4
	v_cmp_ne_u64_e32 vcc, 0, v[1:2]
	v_mov_b32_e32 v7, v20
	v_mov_b32_e32 v5, v22
	v_cmp_eq_u32_e64 s[26:27], 0, v19
	v_mov_b32_e32 v39, v49
	v_mov_b32_e32 v8, v21
	v_mov_b32_e32 v6, v23
	s_and_b64 s[46:47], vcc, s[26:27]
	v_add_u32_e32 v20, v26, v3
	ds_write2_b64 v25, v[13:14], v[15:16] offset0:2 offset1:3
	s_waitcnt lgkmcnt(0)
	s_barrier
	; wave barrier
	s_and_saveexec_b64 s[26:27], s[46:47]
; %bb.20:                               ;   in Loop: Header=BB64_19 Depth=1
	v_bcnt_u32_b32 v1, v1, 0
	v_bcnt_u32_b32 v1, v2, v1
	ds_write_b32 v20, v1 offset:16
; %bb.21:                               ;   in Loop: Header=BB64_19 Depth=1
	s_or_b64 exec, exec, s[26:27]
	v_lshrrev_b32_e32 v41, 16, v40
	v_lshrrev_b32_e32 v1, s36, v41
	v_and_b32_e32 v1, s44, v1
	v_lshlrev_b32_e32 v2, 4, v1
	v_add_u32_e32 v22, v26, v2
	v_and_b32_e32 v2, 1, v1
	v_add_co_u32_e32 v3, vcc, -1, v2
	v_addc_co_u32_e64 v4, s[26:27], 0, -1, vcc
	v_cmp_ne_u32_e32 vcc, 0, v2
	v_lshlrev_b32_e32 v18, 30, v1
	v_xor_b32_e32 v2, vcc_hi, v4
	v_xor_b32_e32 v3, vcc_lo, v3
	v_cmp_gt_i64_e32 vcc, 0, v[17:18]
	v_not_b32_e32 v4, v18
	v_ashrrev_i32_e32 v4, 31, v4
	v_and_b32_e32 v2, exec_hi, v2
	v_xor_b32_e32 v18, vcc_hi, v4
	v_and_b32_e32 v3, exec_lo, v3
	v_xor_b32_e32 v4, vcc_lo, v4
	v_and_b32_e32 v2, v2, v18
	v_lshlrev_b32_e32 v18, 29, v1
	v_and_b32_e32 v3, v3, v4
	v_cmp_gt_i64_e32 vcc, 0, v[17:18]
	v_not_b32_e32 v4, v18
	v_ashrrev_i32_e32 v4, 31, v4
	v_xor_b32_e32 v18, vcc_hi, v4
	v_xor_b32_e32 v4, vcc_lo, v4
	v_and_b32_e32 v2, v2, v18
	v_lshlrev_b32_e32 v18, 28, v1
	v_and_b32_e32 v3, v3, v4
	v_cmp_gt_i64_e32 vcc, 0, v[17:18]
	v_not_b32_e32 v4, v18
	v_ashrrev_i32_e32 v4, 31, v4
	v_xor_b32_e32 v18, vcc_hi, v4
	;; [unrolled: 8-line block ×5, first 2 shown]
	v_and_b32_e32 v2, v2, v18
	v_lshlrev_b32_e32 v18, 24, v1
	v_xor_b32_e32 v4, vcc_lo, v4
	v_cmp_gt_i64_e32 vcc, 0, v[17:18]
	v_not_b32_e32 v1, v18
	v_ashrrev_i32_e32 v1, 31, v1
	v_and_b32_e32 v3, v3, v4
	v_xor_b32_e32 v4, vcc_hi, v1
	v_xor_b32_e32 v1, vcc_lo, v1
	; wave barrier
	ds_read_b32 v21, v22 offset:16
	v_and_b32_e32 v1, v3, v1
	v_and_b32_e32 v2, v2, v4
	v_mbcnt_lo_u32_b32 v3, v1, 0
	v_mbcnt_hi_u32_b32 v23, v2, v3
	v_cmp_ne_u64_e32 vcc, 0, v[1:2]
	v_cmp_eq_u32_e64 s[26:27], 0, v23
	s_and_b64 s[46:47], vcc, s[26:27]
	; wave barrier
	s_and_saveexec_b64 s[26:27], s[46:47]
	s_cbranch_execz .LBB64_23
; %bb.22:                               ;   in Loop: Header=BB64_19 Depth=1
	v_bcnt_u32_b32 v1, v1, 0
	v_bcnt_u32_b32 v1, v2, v1
	s_waitcnt lgkmcnt(0)
	v_add_u32_e32 v1, v21, v1
	ds_write_b32 v22, v1 offset:16
.LBB64_23:                              ;   in Loop: Header=BB64_19 Depth=1
	s_or_b64 exec, exec, s[26:27]
	v_lshrrev_b32_sdwa v1, s36, v39 dst_sel:DWORD dst_unused:UNUSED_PAD src0_sel:DWORD src1_sel:WORD_0
	v_and_b32_e32 v1, s44, v1
	v_lshlrev_b32_e32 v2, 4, v1
	v_add_u32_e32 v43, v26, v2
	v_and_b32_e32 v2, 1, v1
	v_add_co_u32_e32 v3, vcc, -1, v2
	v_addc_co_u32_e64 v4, s[26:27], 0, -1, vcc
	v_cmp_ne_u32_e32 vcc, 0, v2
	v_lshlrev_b32_e32 v18, 30, v1
	v_xor_b32_e32 v2, vcc_hi, v4
	v_xor_b32_e32 v3, vcc_lo, v3
	v_cmp_gt_i64_e32 vcc, 0, v[17:18]
	v_not_b32_e32 v4, v18
	v_ashrrev_i32_e32 v4, 31, v4
	v_and_b32_e32 v2, exec_hi, v2
	v_xor_b32_e32 v18, vcc_hi, v4
	v_and_b32_e32 v3, exec_lo, v3
	v_xor_b32_e32 v4, vcc_lo, v4
	v_and_b32_e32 v2, v2, v18
	v_lshlrev_b32_e32 v18, 29, v1
	v_and_b32_e32 v3, v3, v4
	v_cmp_gt_i64_e32 vcc, 0, v[17:18]
	v_not_b32_e32 v4, v18
	v_ashrrev_i32_e32 v4, 31, v4
	v_xor_b32_e32 v18, vcc_hi, v4
	v_xor_b32_e32 v4, vcc_lo, v4
	v_and_b32_e32 v2, v2, v18
	v_lshlrev_b32_e32 v18, 28, v1
	v_and_b32_e32 v3, v3, v4
	v_cmp_gt_i64_e32 vcc, 0, v[17:18]
	v_not_b32_e32 v4, v18
	v_ashrrev_i32_e32 v4, 31, v4
	v_xor_b32_e32 v18, vcc_hi, v4
	;; [unrolled: 8-line block ×5, first 2 shown]
	v_and_b32_e32 v2, v2, v18
	v_lshlrev_b32_e32 v18, 24, v1
	v_xor_b32_e32 v4, vcc_lo, v4
	v_cmp_gt_i64_e32 vcc, 0, v[17:18]
	v_not_b32_e32 v1, v18
	v_ashrrev_i32_e32 v1, 31, v1
	v_and_b32_e32 v3, v3, v4
	v_xor_b32_e32 v4, vcc_hi, v1
	v_xor_b32_e32 v1, vcc_lo, v1
	; wave barrier
	ds_read_b32 v24, v43 offset:16
	v_and_b32_e32 v1, v3, v1
	v_and_b32_e32 v2, v2, v4
	v_mbcnt_lo_u32_b32 v3, v1, 0
	v_mbcnt_hi_u32_b32 v44, v2, v3
	v_cmp_ne_u64_e32 vcc, 0, v[1:2]
	v_cmp_eq_u32_e64 s[26:27], 0, v44
	s_and_b64 s[46:47], vcc, s[26:27]
	; wave barrier
	s_and_saveexec_b64 s[26:27], s[46:47]
	s_cbranch_execz .LBB64_25
; %bb.24:                               ;   in Loop: Header=BB64_19 Depth=1
	v_bcnt_u32_b32 v1, v1, 0
	v_bcnt_u32_b32 v1, v2, v1
	s_waitcnt lgkmcnt(0)
	v_add_u32_e32 v1, v24, v1
	ds_write_b32 v43, v1 offset:16
.LBB64_25:                              ;   in Loop: Header=BB64_19 Depth=1
	s_or_b64 exec, exec, s[26:27]
	v_lshrrev_b32_e32 v42, 16, v39
	v_lshrrev_b32_e32 v1, s36, v42
	v_and_b32_e32 v1, s44, v1
	v_lshlrev_b32_e32 v2, 4, v1
	v_add_u32_e32 v46, v26, v2
	v_and_b32_e32 v2, 1, v1
	v_add_co_u32_e32 v3, vcc, -1, v2
	v_addc_co_u32_e64 v4, s[26:27], 0, -1, vcc
	v_cmp_ne_u32_e32 vcc, 0, v2
	v_lshlrev_b32_e32 v18, 30, v1
	v_xor_b32_e32 v2, vcc_hi, v4
	v_xor_b32_e32 v3, vcc_lo, v3
	v_cmp_gt_i64_e32 vcc, 0, v[17:18]
	v_not_b32_e32 v4, v18
	v_ashrrev_i32_e32 v4, 31, v4
	v_and_b32_e32 v2, exec_hi, v2
	v_xor_b32_e32 v18, vcc_hi, v4
	v_and_b32_e32 v3, exec_lo, v3
	v_xor_b32_e32 v4, vcc_lo, v4
	v_and_b32_e32 v2, v2, v18
	v_lshlrev_b32_e32 v18, 29, v1
	v_and_b32_e32 v3, v3, v4
	v_cmp_gt_i64_e32 vcc, 0, v[17:18]
	v_not_b32_e32 v4, v18
	v_ashrrev_i32_e32 v4, 31, v4
	v_xor_b32_e32 v18, vcc_hi, v4
	v_xor_b32_e32 v4, vcc_lo, v4
	v_and_b32_e32 v2, v2, v18
	v_lshlrev_b32_e32 v18, 28, v1
	v_and_b32_e32 v3, v3, v4
	v_cmp_gt_i64_e32 vcc, 0, v[17:18]
	v_not_b32_e32 v4, v18
	v_ashrrev_i32_e32 v4, 31, v4
	v_xor_b32_e32 v18, vcc_hi, v4
	;; [unrolled: 8-line block ×5, first 2 shown]
	v_and_b32_e32 v2, v2, v18
	v_lshlrev_b32_e32 v18, 24, v1
	v_xor_b32_e32 v4, vcc_lo, v4
	v_cmp_gt_i64_e32 vcc, 0, v[17:18]
	v_not_b32_e32 v1, v18
	v_ashrrev_i32_e32 v1, 31, v1
	v_and_b32_e32 v3, v3, v4
	v_xor_b32_e32 v4, vcc_hi, v1
	v_xor_b32_e32 v1, vcc_lo, v1
	; wave barrier
	ds_read_b32 v45, v46 offset:16
	v_and_b32_e32 v1, v3, v1
	v_and_b32_e32 v2, v2, v4
	v_mbcnt_lo_u32_b32 v3, v1, 0
	v_mbcnt_hi_u32_b32 v18, v2, v3
	v_cmp_ne_u64_e32 vcc, 0, v[1:2]
	v_cmp_eq_u32_e64 s[26:27], 0, v18
	s_and_b64 s[44:45], vcc, s[26:27]
	; wave barrier
	s_and_saveexec_b64 s[26:27], s[44:45]
	s_cbranch_execz .LBB64_27
; %bb.26:                               ;   in Loop: Header=BB64_19 Depth=1
	v_bcnt_u32_b32 v1, v1, 0
	v_bcnt_u32_b32 v1, v2, v1
	s_waitcnt lgkmcnt(0)
	v_add_u32_e32 v1, v45, v1
	ds_write_b32 v46, v1 offset:16
.LBB64_27:                              ;   in Loop: Header=BB64_19 Depth=1
	s_or_b64 exec, exec, s[26:27]
	; wave barrier
	s_waitcnt lgkmcnt(0)
	s_barrier
	ds_read2_b64 v[1:4], v25 offset0:2 offset1:3
	s_waitcnt lgkmcnt(0)
	v_add_u32_e32 v47, v2, v1
	v_add3_u32 v4, v47, v3, v4
	s_nop 1
	v_mov_b32_dpp v47, v4 row_shr:1 row_mask:0xf bank_mask:0xf
	v_cndmask_b32_e64 v47, v47, 0, s[0:1]
	v_add_u32_e32 v4, v47, v4
	s_nop 1
	v_mov_b32_dpp v47, v4 row_shr:2 row_mask:0xf bank_mask:0xf
	v_cndmask_b32_e64 v47, 0, v47, s[2:3]
	v_add_u32_e32 v4, v4, v47
	;; [unrolled: 4-line block ×4, first 2 shown]
	s_nop 1
	v_mov_b32_dpp v47, v4 row_bcast:15 row_mask:0xf bank_mask:0xf
	v_cndmask_b32_e64 v47, v47, 0, s[8:9]
	v_add_u32_e32 v4, v4, v47
	s_nop 1
	v_mov_b32_dpp v47, v4 row_bcast:31 row_mask:0xf bank_mask:0xf
	v_cndmask_b32_e64 v47, 0, v47, s[10:11]
	v_add_u32_e32 v4, v4, v47
	s_and_saveexec_b64 s[26:27], s[12:13]
; %bb.28:                               ;   in Loop: Header=BB64_19 Depth=1
	ds_write_b32 v28, v4
; %bb.29:                               ;   in Loop: Header=BB64_19 Depth=1
	s_or_b64 exec, exec, s[26:27]
	s_waitcnt lgkmcnt(0)
	s_barrier
	s_and_saveexec_b64 s[26:27], s[14:15]
	s_cbranch_execz .LBB64_31
; %bb.30:                               ;   in Loop: Header=BB64_19 Depth=1
	ds_read_b32 v47, v34
	s_waitcnt lgkmcnt(0)
	s_nop 0
	v_mov_b32_dpp v48, v47 row_shr:1 row_mask:0xf bank_mask:0xf
	v_cndmask_b32_e64 v48, v48, 0, s[22:23]
	v_add_u32_e32 v47, v48, v47
	s_nop 1
	v_mov_b32_dpp v48, v47 row_shr:2 row_mask:0xf bank_mask:0xf
	v_cndmask_b32_e64 v48, 0, v48, s[24:25]
	v_add_u32_e32 v47, v47, v48
	ds_write_b32 v34, v47
.LBB64_31:                              ;   in Loop: Header=BB64_19 Depth=1
	s_or_b64 exec, exec, s[26:27]
	v_mov_b32_e32 v47, 0
	s_waitcnt lgkmcnt(0)
	s_barrier
	s_and_saveexec_b64 s[26:27], s[16:17]
; %bb.32:                               ;   in Loop: Header=BB64_19 Depth=1
	ds_read_b32 v47, v29
; %bb.33:                               ;   in Loop: Header=BB64_19 Depth=1
	s_or_b64 exec, exec, s[26:27]
	s_waitcnt lgkmcnt(0)
	v_add_u32_e32 v4, v47, v4
	ds_bpermute_b32 v4, v27, v4
	s_add_i32 s36, s36, 8
	s_cmp_ge_u32 s36, s40
	s_mov_b64 s[26:27], -1
                                        ; implicit-def: $vgpr49
	s_waitcnt lgkmcnt(0)
	v_cndmask_b32_e64 v4, v4, v47, s[18:19]
	v_cndmask_b32_e64 v47, v4, 0, s[20:21]
	v_add_u32_e32 v48, v47, v1
	v_add_u32_e32 v1, v48, v2
	;; [unrolled: 1-line block ×3, first 2 shown]
	ds_write2_b64 v25, v[47:48], v[1:2] offset0:2 offset1:3
	s_waitcnt lgkmcnt(0)
	s_barrier
	ds_read_b32 v1, v20 offset:16
	ds_read_b32 v2, v22 offset:16
	;; [unrolled: 1-line block ×4, first 2 shown]
	v_mov_b32_e32 v48, v40
	s_waitcnt lgkmcnt(3)
	v_add_u32_e32 v1, v1, v19
	v_mul_lo_u32 v47, v1, 6
	s_waitcnt lgkmcnt(2)
	v_add3_u32 v46, v23, v21, v2
	s_waitcnt lgkmcnt(1)
	v_add3_u32 v44, v44, v24, v3
	;; [unrolled: 2-line block ×3, first 2 shown]
	v_lshlrev_b32_e32 v45, 1, v1
	v_lshlrev_b32_e32 v2, 1, v46
	;; [unrolled: 1-line block ×4, first 2 shown]
                                        ; implicit-def: $vgpr3_vgpr4
                                        ; implicit-def: $vgpr18_vgpr19
                                        ; implicit-def: $vgpr20_vgpr21
                                        ; implicit-def: $vgpr22_vgpr23
	s_cbranch_scc1 .LBB64_18
; %bb.34:                               ;   in Loop: Header=BB64_19 Depth=1
	v_mad_u64_u32 v[3:4], s[26:27], v46, 6, v[2:3]
	v_mad_u64_u32 v[18:19], s[26:27], v44, 6, v[24:25]
	v_add_u32_e32 v21, v45, v47
	v_mad_u64_u32 v[19:20], s[26:27], v43, 6, v[1:2]
	s_barrier
	ds_write_b16 v45, v40
	ds_write_b16 v2, v41
	;; [unrolled: 1-line block ×4, first 2 shown]
	s_waitcnt lgkmcnt(0)
	s_barrier
	ds_read_u16 v40, v30
	ds_read_u16 v49, v31
	;; [unrolled: 1-line block ×4, first 2 shown]
	s_waitcnt lgkmcnt(0)
	s_barrier
	ds_write_b64 v21, v[11:12]
	ds_write_b64 v3, v[9:10]
	;; [unrolled: 1-line block ×4, first 2 shown]
	s_waitcnt lgkmcnt(0)
	s_barrier
	ds_read_b64 v[3:4], v35
	ds_read_b64 v[18:19], v36
	;; [unrolled: 1-line block ×4, first 2 shown]
	v_perm_b32 v40, v49, v40, s41
	v_perm_b32 v49, v51, v50, s41
	s_add_i32 s37, s37, -8
	s_mov_b64 s[26:27], 0
	s_waitcnt lgkmcnt(0)
	s_barrier
	s_branch .LBB64_18
.LBB64_35:
	s_barrier
	ds_write_b16 v45, v48
	ds_write_b16 v2, v41
	;; [unrolled: 1-line block ×4, first 2 shown]
	v_mad_u64_u32 v[2:3], s[0:1], v46, 6, v[2:3]
	v_lshlrev_b32_e32 v16, 1, v0
	v_mad_u64_u32 v[3:4], s[0:1], v44, 6, v[24:25]
	s_waitcnt lgkmcnt(0)
	s_barrier
	ds_read_u16 v15, v16
	ds_read_u16 v17, v16 offset:512
	ds_read_u16 v18, v16 offset:1024
	;; [unrolled: 1-line block ×3, first 2 shown]
	v_add_u32_e32 v20, v45, v47
	v_mad_u64_u32 v[13:14], s[0:1], v43, 6, v[1:2]
	v_mad_u32_u24 v1, v0, 6, v16
	s_waitcnt lgkmcnt(0)
	s_barrier
	ds_write_b64 v20, v[11:12]
	ds_write_b64 v2, v[9:10]
	;; [unrolled: 1-line block ×4, first 2 shown]
	s_waitcnt lgkmcnt(0)
	s_barrier
	ds_read2st64_b64 v[5:8], v1 offset1:4
	ds_read2st64_b64 v[1:4], v1 offset0:8 offset1:12
	s_add_u32 s0, s38, s34
	s_addc_u32 s1, s39, s35
	v_mov_b32_e32 v10, s1
	v_add_co_u32_e32 v9, vcc, s0, v16
	v_addc_co_u32_e32 v10, vcc, 0, v10, vcc
	v_xor_b32_e32 v15, 0xffff8000, v15
	v_xor_b32_e32 v14, 0xffff8000, v17
	;; [unrolled: 1-line block ×4, first 2 shown]
	s_andn2_b64 vcc, exec, s[30:31]
	v_lshlrev_b32_e32 v11, 3, v0
	s_cbranch_vccnz .LBB64_37
; %bb.36:
	s_lshl_b64 s[0:1], s[28:29], 3
	s_add_u32 s0, s42, s0
	s_addc_u32 s1, s43, s1
	v_mov_b32_e32 v16, s1
	v_add_co_u32_e32 v17, vcc, s0, v11
	v_addc_co_u32_e32 v18, vcc, 0, v16, vcc
	v_add_co_u32_e32 v16, vcc, 0x1000, v17
	global_store_short v[9:10], v15, off
	global_store_short v[9:10], v14, off offset:512
	global_store_short v[9:10], v13, off offset:1024
	;; [unrolled: 1-line block ×3, first 2 shown]
	s_waitcnt lgkmcnt(1)
	global_store_dwordx2 v11, v[5:6], s[0:1]
	global_store_dwordx2 v11, v[7:8], s[0:1] offset:2048
	v_addc_co_u32_e32 v17, vcc, 0, v18, vcc
	s_mov_b64 s[6:7], -1
	s_waitcnt lgkmcnt(0)
	global_store_dwordx2 v[16:17], v[1:2], off
	s_cbranch_execz .LBB64_38
	s_branch .LBB64_51
.LBB64_37:
	s_mov_b64 s[6:7], 0
.LBB64_38:
	v_cmp_gt_u32_e32 vcc, s33, v0
	s_and_saveexec_b64 s[0:1], vcc
	s_cbranch_execz .LBB64_40
; %bb.39:
	global_store_short v[9:10], v15, off
.LBB64_40:
	s_or_b64 exec, exec, s[0:1]
	v_or_b32_e32 v15, 0x100, v0
	v_cmp_gt_u32_e64 s[0:1], s33, v15
	s_and_saveexec_b64 s[2:3], s[0:1]
	s_cbranch_execz .LBB64_42
; %bb.41:
	global_store_short v[9:10], v14, off offset:512
.LBB64_42:
	s_or_b64 exec, exec, s[2:3]
	v_or_b32_e32 v14, 0x200, v0
	v_cmp_gt_u32_e64 s[2:3], s33, v14
	s_and_saveexec_b64 s[4:5], s[2:3]
	s_cbranch_execz .LBB64_44
; %bb.43:
	global_store_short v[9:10], v13, off offset:1024
.LBB64_44:
	;; [unrolled: 8-line block ×3, first 2 shown]
	s_or_b64 exec, exec, s[4:5]
	s_lshl_b64 s[4:5], s[28:29], 3
	s_add_u32 s4, s42, s4
	s_addc_u32 s5, s43, s5
	v_mov_b32_e32 v0, s5
	v_add_co_u32_e64 v9, s[4:5], s4, v11
	v_addc_co_u32_e64 v10, s[4:5], 0, v0, s[4:5]
	s_and_saveexec_b64 s[4:5], vcc
	s_cbranch_execnz .LBB64_57
; %bb.47:
	s_or_b64 exec, exec, s[4:5]
	s_and_saveexec_b64 s[4:5], s[0:1]
	s_cbranch_execnz .LBB64_58
.LBB64_48:
	s_or_b64 exec, exec, s[4:5]
	s_and_saveexec_b64 s[0:1], s[2:3]
	s_cbranch_execz .LBB64_50
.LBB64_49:
	s_waitcnt lgkmcnt(1)
	v_add_co_u32_e32 v5, vcc, 0x1000, v9
	v_addc_co_u32_e32 v6, vcc, 0, v10, vcc
	s_waitcnt lgkmcnt(0)
	global_store_dwordx2 v[5:6], v[1:2], off
.LBB64_50:
	s_or_b64 exec, exec, s[0:1]
.LBB64_51:
	s_and_saveexec_b64 s[0:1], s[6:7]
	s_cbranch_execnz .LBB64_53
; %bb.52:
	s_endpgm
.LBB64_53:
	s_lshl_b64 s[0:1], s[28:29], 3
	s_add_u32 s0, s42, s0
	s_addc_u32 s1, s43, s1
	v_mov_b32_e32 v0, s1
	s_waitcnt lgkmcnt(0)
	v_add_co_u32_e32 v1, vcc, s0, v11
	v_addc_co_u32_e32 v2, vcc, 0, v0, vcc
	v_add_co_u32_e32 v0, vcc, 0x1000, v1
	v_addc_co_u32_e32 v1, vcc, 0, v2, vcc
	global_store_dwordx2 v[0:1], v[3:4], off offset:2048
	s_endpgm
.LBB64_54:
	global_load_dwordx2 v[3:4], v[7:8], off
	s_or_b64 exec, exec, s[8:9]
                                        ; implicit-def: $vgpr18_vgpr19
	s_and_saveexec_b64 s[8:9], s[0:1]
	s_cbranch_execz .LBB64_13
.LBB64_55:
	global_load_dwordx2 v[18:19], v[7:8], off offset:512
	s_or_b64 exec, exec, s[8:9]
                                        ; implicit-def: $vgpr20_vgpr21
	s_and_saveexec_b64 s[0:1], s[2:3]
	s_cbranch_execz .LBB64_14
.LBB64_56:
	global_load_dwordx2 v[20:21], v[7:8], off offset:1024
	s_or_b64 exec, exec, s[0:1]
                                        ; implicit-def: $vgpr22_vgpr23
	s_and_saveexec_b64 s[0:1], s[6:7]
	s_cbranch_execnz .LBB64_15
	s_branch .LBB64_16
.LBB64_57:
	s_waitcnt lgkmcnt(1)
	global_store_dwordx2 v[9:10], v[5:6], off
	s_or_b64 exec, exec, s[4:5]
	s_and_saveexec_b64 s[4:5], s[0:1]
	s_cbranch_execz .LBB64_48
.LBB64_58:
	s_waitcnt lgkmcnt(1)
	global_store_dwordx2 v[9:10], v[7:8], off offset:2048
	s_or_b64 exec, exec, s[4:5]
	s_and_saveexec_b64 s[0:1], s[2:3]
	s_cbranch_execnz .LBB64_49
	s_branch .LBB64_50
	.section	.rodata,"a",@progbits
	.p2align	6, 0x0
	.amdhsa_kernel _ZN7rocprim17ROCPRIM_304000_NS6detail28radix_sort_block_sort_kernelINS1_36wrapped_radix_sort_block_sort_configINS0_13kernel_configILj256ELj4ELj4294967295EEEsN2at4cuda3cub6detail10OpaqueTypeILi8EEEEELb0EPKsPsPKSB_PSB_NS0_19identity_decomposerEEEvT1_T2_T3_T4_jT5_jj
		.amdhsa_group_segment_fixed_size 8192
		.amdhsa_private_segment_fixed_size 0
		.amdhsa_kernarg_size 304
		.amdhsa_user_sgpr_count 6
		.amdhsa_user_sgpr_private_segment_buffer 1
		.amdhsa_user_sgpr_dispatch_ptr 0
		.amdhsa_user_sgpr_queue_ptr 0
		.amdhsa_user_sgpr_kernarg_segment_ptr 1
		.amdhsa_user_sgpr_dispatch_id 0
		.amdhsa_user_sgpr_flat_scratch_init 0
		.amdhsa_user_sgpr_private_segment_size 0
		.amdhsa_uses_dynamic_stack 0
		.amdhsa_system_sgpr_private_segment_wavefront_offset 0
		.amdhsa_system_sgpr_workgroup_id_x 1
		.amdhsa_system_sgpr_workgroup_id_y 0
		.amdhsa_system_sgpr_workgroup_id_z 0
		.amdhsa_system_sgpr_workgroup_info 0
		.amdhsa_system_vgpr_workitem_id 2
		.amdhsa_next_free_vgpr 52
		.amdhsa_next_free_sgpr 61
		.amdhsa_reserve_vcc 1
		.amdhsa_reserve_flat_scratch 0
		.amdhsa_float_round_mode_32 0
		.amdhsa_float_round_mode_16_64 0
		.amdhsa_float_denorm_mode_32 3
		.amdhsa_float_denorm_mode_16_64 3
		.amdhsa_dx10_clamp 1
		.amdhsa_ieee_mode 1
		.amdhsa_fp16_overflow 0
		.amdhsa_exception_fp_ieee_invalid_op 0
		.amdhsa_exception_fp_denorm_src 0
		.amdhsa_exception_fp_ieee_div_zero 0
		.amdhsa_exception_fp_ieee_overflow 0
		.amdhsa_exception_fp_ieee_underflow 0
		.amdhsa_exception_fp_ieee_inexact 0
		.amdhsa_exception_int_div_zero 0
	.end_amdhsa_kernel
	.section	.text._ZN7rocprim17ROCPRIM_304000_NS6detail28radix_sort_block_sort_kernelINS1_36wrapped_radix_sort_block_sort_configINS0_13kernel_configILj256ELj4ELj4294967295EEEsN2at4cuda3cub6detail10OpaqueTypeILi8EEEEELb0EPKsPsPKSB_PSB_NS0_19identity_decomposerEEEvT1_T2_T3_T4_jT5_jj,"axG",@progbits,_ZN7rocprim17ROCPRIM_304000_NS6detail28radix_sort_block_sort_kernelINS1_36wrapped_radix_sort_block_sort_configINS0_13kernel_configILj256ELj4ELj4294967295EEEsN2at4cuda3cub6detail10OpaqueTypeILi8EEEEELb0EPKsPsPKSB_PSB_NS0_19identity_decomposerEEEvT1_T2_T3_T4_jT5_jj,comdat
.Lfunc_end64:
	.size	_ZN7rocprim17ROCPRIM_304000_NS6detail28radix_sort_block_sort_kernelINS1_36wrapped_radix_sort_block_sort_configINS0_13kernel_configILj256ELj4ELj4294967295EEEsN2at4cuda3cub6detail10OpaqueTypeILi8EEEEELb0EPKsPsPKSB_PSB_NS0_19identity_decomposerEEEvT1_T2_T3_T4_jT5_jj, .Lfunc_end64-_ZN7rocprim17ROCPRIM_304000_NS6detail28radix_sort_block_sort_kernelINS1_36wrapped_radix_sort_block_sort_configINS0_13kernel_configILj256ELj4ELj4294967295EEEsN2at4cuda3cub6detail10OpaqueTypeILi8EEEEELb0EPKsPsPKSB_PSB_NS0_19identity_decomposerEEEvT1_T2_T3_T4_jT5_jj
                                        ; -- End function
	.set _ZN7rocprim17ROCPRIM_304000_NS6detail28radix_sort_block_sort_kernelINS1_36wrapped_radix_sort_block_sort_configINS0_13kernel_configILj256ELj4ELj4294967295EEEsN2at4cuda3cub6detail10OpaqueTypeILi8EEEEELb0EPKsPsPKSB_PSB_NS0_19identity_decomposerEEEvT1_T2_T3_T4_jT5_jj.num_vgpr, 52
	.set _ZN7rocprim17ROCPRIM_304000_NS6detail28radix_sort_block_sort_kernelINS1_36wrapped_radix_sort_block_sort_configINS0_13kernel_configILj256ELj4ELj4294967295EEEsN2at4cuda3cub6detail10OpaqueTypeILi8EEEEELb0EPKsPsPKSB_PSB_NS0_19identity_decomposerEEEvT1_T2_T3_T4_jT5_jj.num_agpr, 0
	.set _ZN7rocprim17ROCPRIM_304000_NS6detail28radix_sort_block_sort_kernelINS1_36wrapped_radix_sort_block_sort_configINS0_13kernel_configILj256ELj4ELj4294967295EEEsN2at4cuda3cub6detail10OpaqueTypeILi8EEEEELb0EPKsPsPKSB_PSB_NS0_19identity_decomposerEEEvT1_T2_T3_T4_jT5_jj.numbered_sgpr, 48
	.set _ZN7rocprim17ROCPRIM_304000_NS6detail28radix_sort_block_sort_kernelINS1_36wrapped_radix_sort_block_sort_configINS0_13kernel_configILj256ELj4ELj4294967295EEEsN2at4cuda3cub6detail10OpaqueTypeILi8EEEEELb0EPKsPsPKSB_PSB_NS0_19identity_decomposerEEEvT1_T2_T3_T4_jT5_jj.num_named_barrier, 0
	.set _ZN7rocprim17ROCPRIM_304000_NS6detail28radix_sort_block_sort_kernelINS1_36wrapped_radix_sort_block_sort_configINS0_13kernel_configILj256ELj4ELj4294967295EEEsN2at4cuda3cub6detail10OpaqueTypeILi8EEEEELb0EPKsPsPKSB_PSB_NS0_19identity_decomposerEEEvT1_T2_T3_T4_jT5_jj.private_seg_size, 0
	.set _ZN7rocprim17ROCPRIM_304000_NS6detail28radix_sort_block_sort_kernelINS1_36wrapped_radix_sort_block_sort_configINS0_13kernel_configILj256ELj4ELj4294967295EEEsN2at4cuda3cub6detail10OpaqueTypeILi8EEEEELb0EPKsPsPKSB_PSB_NS0_19identity_decomposerEEEvT1_T2_T3_T4_jT5_jj.uses_vcc, 1
	.set _ZN7rocprim17ROCPRIM_304000_NS6detail28radix_sort_block_sort_kernelINS1_36wrapped_radix_sort_block_sort_configINS0_13kernel_configILj256ELj4ELj4294967295EEEsN2at4cuda3cub6detail10OpaqueTypeILi8EEEEELb0EPKsPsPKSB_PSB_NS0_19identity_decomposerEEEvT1_T2_T3_T4_jT5_jj.uses_flat_scratch, 0
	.set _ZN7rocprim17ROCPRIM_304000_NS6detail28radix_sort_block_sort_kernelINS1_36wrapped_radix_sort_block_sort_configINS0_13kernel_configILj256ELj4ELj4294967295EEEsN2at4cuda3cub6detail10OpaqueTypeILi8EEEEELb0EPKsPsPKSB_PSB_NS0_19identity_decomposerEEEvT1_T2_T3_T4_jT5_jj.has_dyn_sized_stack, 0
	.set _ZN7rocprim17ROCPRIM_304000_NS6detail28radix_sort_block_sort_kernelINS1_36wrapped_radix_sort_block_sort_configINS0_13kernel_configILj256ELj4ELj4294967295EEEsN2at4cuda3cub6detail10OpaqueTypeILi8EEEEELb0EPKsPsPKSB_PSB_NS0_19identity_decomposerEEEvT1_T2_T3_T4_jT5_jj.has_recursion, 0
	.set _ZN7rocprim17ROCPRIM_304000_NS6detail28radix_sort_block_sort_kernelINS1_36wrapped_radix_sort_block_sort_configINS0_13kernel_configILj256ELj4ELj4294967295EEEsN2at4cuda3cub6detail10OpaqueTypeILi8EEEEELb0EPKsPsPKSB_PSB_NS0_19identity_decomposerEEEvT1_T2_T3_T4_jT5_jj.has_indirect_call, 0
	.section	.AMDGPU.csdata,"",@progbits
; Kernel info:
; codeLenInByte = 4028
; TotalNumSgprs: 52
; NumVgprs: 52
; ScratchSize: 0
; MemoryBound: 0
; FloatMode: 240
; IeeeMode: 1
; LDSByteSize: 8192 bytes/workgroup (compile time only)
; SGPRBlocks: 8
; VGPRBlocks: 12
; NumSGPRsForWavesPerEU: 65
; NumVGPRsForWavesPerEU: 52
; Occupancy: 4
; WaveLimiterHint : 1
; COMPUTE_PGM_RSRC2:SCRATCH_EN: 0
; COMPUTE_PGM_RSRC2:USER_SGPR: 6
; COMPUTE_PGM_RSRC2:TRAP_HANDLER: 0
; COMPUTE_PGM_RSRC2:TGID_X_EN: 1
; COMPUTE_PGM_RSRC2:TGID_Y_EN: 0
; COMPUTE_PGM_RSRC2:TGID_Z_EN: 0
; COMPUTE_PGM_RSRC2:TIDIG_COMP_CNT: 2
	.section	.text._ZN7rocprim17ROCPRIM_304000_NS6detail45device_block_merge_mergepath_partition_kernelINS1_37wrapped_merge_sort_block_merge_configINS0_14default_configEsN2at4cuda3cub6detail10OpaqueTypeILi8EEEEEPsjNS1_19radix_merge_compareILb0ELb0EsNS0_19identity_decomposerEEEEEvT0_T1_jPSH_T2_SH_,"axG",@progbits,_ZN7rocprim17ROCPRIM_304000_NS6detail45device_block_merge_mergepath_partition_kernelINS1_37wrapped_merge_sort_block_merge_configINS0_14default_configEsN2at4cuda3cub6detail10OpaqueTypeILi8EEEEEPsjNS1_19radix_merge_compareILb0ELb0EsNS0_19identity_decomposerEEEEEvT0_T1_jPSH_T2_SH_,comdat
	.protected	_ZN7rocprim17ROCPRIM_304000_NS6detail45device_block_merge_mergepath_partition_kernelINS1_37wrapped_merge_sort_block_merge_configINS0_14default_configEsN2at4cuda3cub6detail10OpaqueTypeILi8EEEEEPsjNS1_19radix_merge_compareILb0ELb0EsNS0_19identity_decomposerEEEEEvT0_T1_jPSH_T2_SH_ ; -- Begin function _ZN7rocprim17ROCPRIM_304000_NS6detail45device_block_merge_mergepath_partition_kernelINS1_37wrapped_merge_sort_block_merge_configINS0_14default_configEsN2at4cuda3cub6detail10OpaqueTypeILi8EEEEEPsjNS1_19radix_merge_compareILb0ELb0EsNS0_19identity_decomposerEEEEEvT0_T1_jPSH_T2_SH_
	.globl	_ZN7rocprim17ROCPRIM_304000_NS6detail45device_block_merge_mergepath_partition_kernelINS1_37wrapped_merge_sort_block_merge_configINS0_14default_configEsN2at4cuda3cub6detail10OpaqueTypeILi8EEEEEPsjNS1_19radix_merge_compareILb0ELb0EsNS0_19identity_decomposerEEEEEvT0_T1_jPSH_T2_SH_
	.p2align	8
	.type	_ZN7rocprim17ROCPRIM_304000_NS6detail45device_block_merge_mergepath_partition_kernelINS1_37wrapped_merge_sort_block_merge_configINS0_14default_configEsN2at4cuda3cub6detail10OpaqueTypeILi8EEEEEPsjNS1_19radix_merge_compareILb0ELb0EsNS0_19identity_decomposerEEEEEvT0_T1_jPSH_T2_SH_,@function
_ZN7rocprim17ROCPRIM_304000_NS6detail45device_block_merge_mergepath_partition_kernelINS1_37wrapped_merge_sort_block_merge_configINS0_14default_configEsN2at4cuda3cub6detail10OpaqueTypeILi8EEEEEPsjNS1_19radix_merge_compareILb0ELb0EsNS0_19identity_decomposerEEEEEvT0_T1_jPSH_T2_SH_: ; @_ZN7rocprim17ROCPRIM_304000_NS6detail45device_block_merge_mergepath_partition_kernelINS1_37wrapped_merge_sort_block_merge_configINS0_14default_configEsN2at4cuda3cub6detail10OpaqueTypeILi8EEEEEPsjNS1_19radix_merge_compareILb0ELb0EsNS0_19identity_decomposerEEEEEvT0_T1_jPSH_T2_SH_
; %bb.0:
	s_load_dwordx2 s[0:1], s[4:5], 0x8
	v_lshl_or_b32 v0, s6, 7, v0
	s_waitcnt lgkmcnt(0)
	v_cmp_gt_u32_e32 vcc, s1, v0
	s_and_saveexec_b64 s[2:3], vcc
	s_cbranch_execz .LBB65_6
; %bb.1:
	s_load_dword s1, s[4:5], 0x1c
	s_waitcnt lgkmcnt(0)
	s_lshr_b32 s2, s1, 9
	s_and_b32 s2, s2, 0x7ffffe
	s_add_i32 s3, s2, -1
	s_sub_i32 s2, 0, s2
	v_and_b32_e32 v1, s2, v0
	v_lshlrev_b32_e32 v3, 10, v1
	v_min_u32_e32 v1, s0, v3
	v_add_u32_e32 v3, s1, v3
	v_min_u32_e32 v3, s0, v3
	v_add_u32_e32 v4, s1, v3
	v_and_b32_e32 v2, s3, v0
	v_min_u32_e32 v4, s0, v4
	v_lshlrev_b32_e32 v2, 10, v2
	v_sub_u32_e32 v5, v4, v1
	v_min_u32_e32 v6, v5, v2
	v_sub_u32_e32 v2, v3, v1
	v_sub_u32_e32 v4, v4, v3
	v_sub_u32_e64 v5, v6, v4 clamp
	v_min_u32_e32 v7, v6, v2
	v_cmp_lt_u32_e32 vcc, v5, v7
	s_and_saveexec_b64 s[0:1], vcc
	s_cbranch_execz .LBB65_5
; %bb.2:
	s_load_dwordx2 s[2:3], s[4:5], 0x0
	v_mov_b32_e32 v4, 0
	v_mov_b32_e32 v2, v4
	v_lshlrev_b64 v[8:9], 1, v[1:2]
	s_waitcnt lgkmcnt(0)
	v_mov_b32_e32 v11, s3
	v_add_co_u32_e32 v2, vcc, s2, v8
	v_addc_co_u32_e32 v8, vcc, v11, v9, vcc
	v_lshlrev_b64 v[9:10], 1, v[3:4]
	v_add_co_u32_e32 v9, vcc, s2, v9
	v_addc_co_u32_e32 v10, vcc, v11, v10, vcc
	s_mov_b64 s[2:3], 0
.LBB65_3:                               ; =>This Inner Loop Header: Depth=1
	v_add_u32_e32 v3, v7, v5
	v_and_b32_e32 v11, -2, v3
	v_lshrrev_b32_e32 v13, 1, v3
	v_add_co_u32_e32 v11, vcc, v2, v11
	v_xad_u32 v3, v13, -1, v6
	v_addc_co_u32_e32 v12, vcc, 0, v8, vcc
	global_load_ushort v14, v[11:12], off
	v_lshlrev_b64 v[11:12], 1, v[3:4]
	v_add_co_u32_e32 v11, vcc, v9, v11
	v_addc_co_u32_e32 v12, vcc, v10, v12, vcc
	global_load_ushort v3, v[11:12], off
	v_add_u32_e32 v11, 1, v13
	s_waitcnt vmcnt(0)
	v_cmp_gt_i16_e32 vcc, v14, v3
	v_cndmask_b32_e32 v7, v7, v13, vcc
	v_cndmask_b32_e32 v5, v11, v5, vcc
	v_cmp_ge_u32_e32 vcc, v5, v7
	s_or_b64 s[2:3], vcc, s[2:3]
	s_andn2_b64 exec, exec, s[2:3]
	s_cbranch_execnz .LBB65_3
; %bb.4:
	s_or_b64 exec, exec, s[2:3]
.LBB65_5:
	s_or_b64 exec, exec, s[0:1]
	s_load_dwordx2 s[0:1], s[4:5], 0x10
	v_add_u32_e32 v2, v5, v1
	v_mov_b32_e32 v1, 0
	v_lshlrev_b64 v[0:1], 2, v[0:1]
	s_waitcnt lgkmcnt(0)
	v_mov_b32_e32 v3, s1
	v_add_co_u32_e32 v0, vcc, s0, v0
	v_addc_co_u32_e32 v1, vcc, v3, v1, vcc
	global_store_dword v[0:1], v2, off
.LBB65_6:
	s_endpgm
	.section	.rodata,"a",@progbits
	.p2align	6, 0x0
	.amdhsa_kernel _ZN7rocprim17ROCPRIM_304000_NS6detail45device_block_merge_mergepath_partition_kernelINS1_37wrapped_merge_sort_block_merge_configINS0_14default_configEsN2at4cuda3cub6detail10OpaqueTypeILi8EEEEEPsjNS1_19radix_merge_compareILb0ELb0EsNS0_19identity_decomposerEEEEEvT0_T1_jPSH_T2_SH_
		.amdhsa_group_segment_fixed_size 0
		.amdhsa_private_segment_fixed_size 0
		.amdhsa_kernarg_size 32
		.amdhsa_user_sgpr_count 6
		.amdhsa_user_sgpr_private_segment_buffer 1
		.amdhsa_user_sgpr_dispatch_ptr 0
		.amdhsa_user_sgpr_queue_ptr 0
		.amdhsa_user_sgpr_kernarg_segment_ptr 1
		.amdhsa_user_sgpr_dispatch_id 0
		.amdhsa_user_sgpr_flat_scratch_init 0
		.amdhsa_user_sgpr_private_segment_size 0
		.amdhsa_uses_dynamic_stack 0
		.amdhsa_system_sgpr_private_segment_wavefront_offset 0
		.amdhsa_system_sgpr_workgroup_id_x 1
		.amdhsa_system_sgpr_workgroup_id_y 0
		.amdhsa_system_sgpr_workgroup_id_z 0
		.amdhsa_system_sgpr_workgroup_info 0
		.amdhsa_system_vgpr_workitem_id 0
		.amdhsa_next_free_vgpr 15
		.amdhsa_next_free_sgpr 7
		.amdhsa_reserve_vcc 1
		.amdhsa_reserve_flat_scratch 0
		.amdhsa_float_round_mode_32 0
		.amdhsa_float_round_mode_16_64 0
		.amdhsa_float_denorm_mode_32 3
		.amdhsa_float_denorm_mode_16_64 3
		.amdhsa_dx10_clamp 1
		.amdhsa_ieee_mode 1
		.amdhsa_fp16_overflow 0
		.amdhsa_exception_fp_ieee_invalid_op 0
		.amdhsa_exception_fp_denorm_src 0
		.amdhsa_exception_fp_ieee_div_zero 0
		.amdhsa_exception_fp_ieee_overflow 0
		.amdhsa_exception_fp_ieee_underflow 0
		.amdhsa_exception_fp_ieee_inexact 0
		.amdhsa_exception_int_div_zero 0
	.end_amdhsa_kernel
	.section	.text._ZN7rocprim17ROCPRIM_304000_NS6detail45device_block_merge_mergepath_partition_kernelINS1_37wrapped_merge_sort_block_merge_configINS0_14default_configEsN2at4cuda3cub6detail10OpaqueTypeILi8EEEEEPsjNS1_19radix_merge_compareILb0ELb0EsNS0_19identity_decomposerEEEEEvT0_T1_jPSH_T2_SH_,"axG",@progbits,_ZN7rocprim17ROCPRIM_304000_NS6detail45device_block_merge_mergepath_partition_kernelINS1_37wrapped_merge_sort_block_merge_configINS0_14default_configEsN2at4cuda3cub6detail10OpaqueTypeILi8EEEEEPsjNS1_19radix_merge_compareILb0ELb0EsNS0_19identity_decomposerEEEEEvT0_T1_jPSH_T2_SH_,comdat
.Lfunc_end65:
	.size	_ZN7rocprim17ROCPRIM_304000_NS6detail45device_block_merge_mergepath_partition_kernelINS1_37wrapped_merge_sort_block_merge_configINS0_14default_configEsN2at4cuda3cub6detail10OpaqueTypeILi8EEEEEPsjNS1_19radix_merge_compareILb0ELb0EsNS0_19identity_decomposerEEEEEvT0_T1_jPSH_T2_SH_, .Lfunc_end65-_ZN7rocprim17ROCPRIM_304000_NS6detail45device_block_merge_mergepath_partition_kernelINS1_37wrapped_merge_sort_block_merge_configINS0_14default_configEsN2at4cuda3cub6detail10OpaqueTypeILi8EEEEEPsjNS1_19radix_merge_compareILb0ELb0EsNS0_19identity_decomposerEEEEEvT0_T1_jPSH_T2_SH_
                                        ; -- End function
	.set _ZN7rocprim17ROCPRIM_304000_NS6detail45device_block_merge_mergepath_partition_kernelINS1_37wrapped_merge_sort_block_merge_configINS0_14default_configEsN2at4cuda3cub6detail10OpaqueTypeILi8EEEEEPsjNS1_19radix_merge_compareILb0ELb0EsNS0_19identity_decomposerEEEEEvT0_T1_jPSH_T2_SH_.num_vgpr, 15
	.set _ZN7rocprim17ROCPRIM_304000_NS6detail45device_block_merge_mergepath_partition_kernelINS1_37wrapped_merge_sort_block_merge_configINS0_14default_configEsN2at4cuda3cub6detail10OpaqueTypeILi8EEEEEPsjNS1_19radix_merge_compareILb0ELb0EsNS0_19identity_decomposerEEEEEvT0_T1_jPSH_T2_SH_.num_agpr, 0
	.set _ZN7rocprim17ROCPRIM_304000_NS6detail45device_block_merge_mergepath_partition_kernelINS1_37wrapped_merge_sort_block_merge_configINS0_14default_configEsN2at4cuda3cub6detail10OpaqueTypeILi8EEEEEPsjNS1_19radix_merge_compareILb0ELb0EsNS0_19identity_decomposerEEEEEvT0_T1_jPSH_T2_SH_.numbered_sgpr, 7
	.set _ZN7rocprim17ROCPRIM_304000_NS6detail45device_block_merge_mergepath_partition_kernelINS1_37wrapped_merge_sort_block_merge_configINS0_14default_configEsN2at4cuda3cub6detail10OpaqueTypeILi8EEEEEPsjNS1_19radix_merge_compareILb0ELb0EsNS0_19identity_decomposerEEEEEvT0_T1_jPSH_T2_SH_.num_named_barrier, 0
	.set _ZN7rocprim17ROCPRIM_304000_NS6detail45device_block_merge_mergepath_partition_kernelINS1_37wrapped_merge_sort_block_merge_configINS0_14default_configEsN2at4cuda3cub6detail10OpaqueTypeILi8EEEEEPsjNS1_19radix_merge_compareILb0ELb0EsNS0_19identity_decomposerEEEEEvT0_T1_jPSH_T2_SH_.private_seg_size, 0
	.set _ZN7rocprim17ROCPRIM_304000_NS6detail45device_block_merge_mergepath_partition_kernelINS1_37wrapped_merge_sort_block_merge_configINS0_14default_configEsN2at4cuda3cub6detail10OpaqueTypeILi8EEEEEPsjNS1_19radix_merge_compareILb0ELb0EsNS0_19identity_decomposerEEEEEvT0_T1_jPSH_T2_SH_.uses_vcc, 1
	.set _ZN7rocprim17ROCPRIM_304000_NS6detail45device_block_merge_mergepath_partition_kernelINS1_37wrapped_merge_sort_block_merge_configINS0_14default_configEsN2at4cuda3cub6detail10OpaqueTypeILi8EEEEEPsjNS1_19radix_merge_compareILb0ELb0EsNS0_19identity_decomposerEEEEEvT0_T1_jPSH_T2_SH_.uses_flat_scratch, 0
	.set _ZN7rocprim17ROCPRIM_304000_NS6detail45device_block_merge_mergepath_partition_kernelINS1_37wrapped_merge_sort_block_merge_configINS0_14default_configEsN2at4cuda3cub6detail10OpaqueTypeILi8EEEEEPsjNS1_19radix_merge_compareILb0ELb0EsNS0_19identity_decomposerEEEEEvT0_T1_jPSH_T2_SH_.has_dyn_sized_stack, 0
	.set _ZN7rocprim17ROCPRIM_304000_NS6detail45device_block_merge_mergepath_partition_kernelINS1_37wrapped_merge_sort_block_merge_configINS0_14default_configEsN2at4cuda3cub6detail10OpaqueTypeILi8EEEEEPsjNS1_19radix_merge_compareILb0ELb0EsNS0_19identity_decomposerEEEEEvT0_T1_jPSH_T2_SH_.has_recursion, 0
	.set _ZN7rocprim17ROCPRIM_304000_NS6detail45device_block_merge_mergepath_partition_kernelINS1_37wrapped_merge_sort_block_merge_configINS0_14default_configEsN2at4cuda3cub6detail10OpaqueTypeILi8EEEEEPsjNS1_19radix_merge_compareILb0ELb0EsNS0_19identity_decomposerEEEEEvT0_T1_jPSH_T2_SH_.has_indirect_call, 0
	.section	.AMDGPU.csdata,"",@progbits
; Kernel info:
; codeLenInByte = 356
; TotalNumSgprs: 11
; NumVgprs: 15
; ScratchSize: 0
; MemoryBound: 0
; FloatMode: 240
; IeeeMode: 1
; LDSByteSize: 0 bytes/workgroup (compile time only)
; SGPRBlocks: 1
; VGPRBlocks: 3
; NumSGPRsForWavesPerEU: 11
; NumVGPRsForWavesPerEU: 15
; Occupancy: 10
; WaveLimiterHint : 0
; COMPUTE_PGM_RSRC2:SCRATCH_EN: 0
; COMPUTE_PGM_RSRC2:USER_SGPR: 6
; COMPUTE_PGM_RSRC2:TRAP_HANDLER: 0
; COMPUTE_PGM_RSRC2:TGID_X_EN: 1
; COMPUTE_PGM_RSRC2:TGID_Y_EN: 0
; COMPUTE_PGM_RSRC2:TGID_Z_EN: 0
; COMPUTE_PGM_RSRC2:TIDIG_COMP_CNT: 0
	.section	.text._ZN7rocprim17ROCPRIM_304000_NS6detail35device_block_merge_mergepath_kernelINS1_37wrapped_merge_sort_block_merge_configINS0_14default_configEsN2at4cuda3cub6detail10OpaqueTypeILi8EEEEEPsSC_PSA_SD_jNS1_19radix_merge_compareILb0ELb0EsNS0_19identity_decomposerEEEEEvT0_T1_T2_T3_T4_SL_jT5_PKSL_NS1_7vsmem_tE,"axG",@progbits,_ZN7rocprim17ROCPRIM_304000_NS6detail35device_block_merge_mergepath_kernelINS1_37wrapped_merge_sort_block_merge_configINS0_14default_configEsN2at4cuda3cub6detail10OpaqueTypeILi8EEEEEPsSC_PSA_SD_jNS1_19radix_merge_compareILb0ELb0EsNS0_19identity_decomposerEEEEEvT0_T1_T2_T3_T4_SL_jT5_PKSL_NS1_7vsmem_tE,comdat
	.protected	_ZN7rocprim17ROCPRIM_304000_NS6detail35device_block_merge_mergepath_kernelINS1_37wrapped_merge_sort_block_merge_configINS0_14default_configEsN2at4cuda3cub6detail10OpaqueTypeILi8EEEEEPsSC_PSA_SD_jNS1_19radix_merge_compareILb0ELb0EsNS0_19identity_decomposerEEEEEvT0_T1_T2_T3_T4_SL_jT5_PKSL_NS1_7vsmem_tE ; -- Begin function _ZN7rocprim17ROCPRIM_304000_NS6detail35device_block_merge_mergepath_kernelINS1_37wrapped_merge_sort_block_merge_configINS0_14default_configEsN2at4cuda3cub6detail10OpaqueTypeILi8EEEEEPsSC_PSA_SD_jNS1_19radix_merge_compareILb0ELb0EsNS0_19identity_decomposerEEEEEvT0_T1_T2_T3_T4_SL_jT5_PKSL_NS1_7vsmem_tE
	.globl	_ZN7rocprim17ROCPRIM_304000_NS6detail35device_block_merge_mergepath_kernelINS1_37wrapped_merge_sort_block_merge_configINS0_14default_configEsN2at4cuda3cub6detail10OpaqueTypeILi8EEEEEPsSC_PSA_SD_jNS1_19radix_merge_compareILb0ELb0EsNS0_19identity_decomposerEEEEEvT0_T1_T2_T3_T4_SL_jT5_PKSL_NS1_7vsmem_tE
	.p2align	8
	.type	_ZN7rocprim17ROCPRIM_304000_NS6detail35device_block_merge_mergepath_kernelINS1_37wrapped_merge_sort_block_merge_configINS0_14default_configEsN2at4cuda3cub6detail10OpaqueTypeILi8EEEEEPsSC_PSA_SD_jNS1_19radix_merge_compareILb0ELb0EsNS0_19identity_decomposerEEEEEvT0_T1_T2_T3_T4_SL_jT5_PKSL_NS1_7vsmem_tE,@function
_ZN7rocprim17ROCPRIM_304000_NS6detail35device_block_merge_mergepath_kernelINS1_37wrapped_merge_sort_block_merge_configINS0_14default_configEsN2at4cuda3cub6detail10OpaqueTypeILi8EEEEEPsSC_PSA_SD_jNS1_19radix_merge_compareILb0ELb0EsNS0_19identity_decomposerEEEEEvT0_T1_T2_T3_T4_SL_jT5_PKSL_NS1_7vsmem_tE: ; @_ZN7rocprim17ROCPRIM_304000_NS6detail35device_block_merge_mergepath_kernelINS1_37wrapped_merge_sort_block_merge_configINS0_14default_configEsN2at4cuda3cub6detail10OpaqueTypeILi8EEEEEPsSC_PSA_SD_jNS1_19radix_merge_compareILb0ELb0EsNS0_19identity_decomposerEEEEEvT0_T1_T2_T3_T4_SL_jT5_PKSL_NS1_7vsmem_tE
; %bb.0:
	s_load_dwordx2 s[10:11], s[4:5], 0x40
	s_load_dwordx4 s[20:23], s[4:5], 0x20
	s_add_u32 s2, s4, 64
	s_addc_u32 s3, s5, 0
	s_waitcnt lgkmcnt(0)
	s_mul_i32 s0, s11, s8
	s_add_i32 s0, s0, s7
	s_mul_i32 s0, s0, s10
	s_add_i32 s0, s0, s6
	s_cmp_ge_u32 s0, s22
	s_cbranch_scc1 .LBB66_105
; %bb.1:
	s_load_dwordx8 s[12:19], s[4:5], 0x0
	s_load_dwordx2 s[8:9], s[4:5], 0x30
	s_lshr_b32 s11, s20, 10
	s_cmp_lg_u32 s0, s11
	s_mov_b32 s1, 0
	s_cselect_b64 s[24:25], -1, 0
	s_lshl_b64 s[4:5], s[0:1], 2
	s_waitcnt lgkmcnt(0)
	s_add_u32 s4, s8, s4
	s_addc_u32 s5, s9, s5
	s_load_dwordx2 s[26:27], s[4:5], 0x0
	s_lshr_b32 s4, s21, 9
	s_and_b32 s4, s4, 0x7ffffe
	s_sub_i32 s4, 0, s4
	s_and_b32 s5, s0, s4
	s_lshl_b32 s7, s5, 10
	s_lshl_b32 s22, s0, 10
	s_lshl_b32 s5, s5, 11
	s_sub_i32 s8, s22, s7
	s_add_i32 s5, s5, s21
	s_add_i32 s8, s5, s8
	s_waitcnt lgkmcnt(0)
	s_sub_i32 s9, s8, s26
	s_sub_i32 s8, s8, s27
	;; [unrolled: 1-line block ×3, first 2 shown]
	s_min_u32 s28, s20, s9
	s_addk_i32 s8, 0x400
	s_or_b32 s4, s0, s4
	s_min_u32 s7, s20, s5
	s_add_i32 s5, s5, s21
	s_cmp_eq_u32 s4, -1
	s_cselect_b32 s4, s5, s8
	s_cselect_b32 s5, s7, s27
	s_min_u32 s4, s4, s20
	s_mov_b32 s27, s1
	s_sub_i32 s23, s5, s26
	s_sub_i32 s33, s4, s28
	s_lshl_b64 s[8:9], s[26:27], 1
	s_add_u32 s5, s12, s8
	s_mov_b32 s29, s1
	s_addc_u32 s7, s13, s9
	s_lshl_b64 s[8:9], s[28:29], 1
	s_add_u32 s4, s12, s8
	v_mov_b32_e32 v6, 0
	global_load_dword v1, v6, s[2:3] offset:14
	s_addc_u32 s8, s13, s9
	s_cmp_lt_u32 s6, s10
	s_cselect_b32 s1, 12, 18
	s_add_u32 s2, s2, s1
	s_addc_u32 s3, s3, 0
	global_load_ushort v2, v6, s[2:3]
	s_cmp_eq_u32 s0, s11
	v_cmp_gt_u32_e32 vcc, s23, v0
	v_lshlrev_b32_e32 v9, 1, v0
	s_waitcnt vmcnt(1)
	v_lshrrev_b32_e32 v3, 16, v1
	v_and_b32_e32 v1, 0xffff, v1
	v_mul_lo_u32 v1, v1, v3
	s_waitcnt vmcnt(0)
	v_mul_lo_u32 v7, v1, v2
	v_add_u32_e32 v5, v7, v0
	s_cbranch_scc1 .LBB66_3
; %bb.2:
	v_mov_b32_e32 v1, s7
	v_add_co_u32_e64 v3, s[0:1], s5, v9
	v_subrev_u32_e32 v2, s23, v0
	v_addc_co_u32_e64 v1, s[0:1], 0, v1, s[0:1]
	v_lshlrev_b32_e32 v2, 1, v2
	v_mov_b32_e32 v4, s8
	v_add_co_u32_e64 v8, s[0:1], s4, v2
	v_addc_co_u32_e64 v2, s[0:1], 0, v4, s[0:1]
	v_cndmask_b32_e32 v2, v2, v1, vcc
	v_cndmask_b32_e32 v1, v8, v3, vcc
	global_load_ushort v4, v[1:2], off
	v_lshlrev_b64 v[1:2], 1, v[5:6]
	v_mov_b32_e32 v3, s7
	v_add_co_u32_e32 v8, vcc, s5, v1
	v_addc_co_u32_e32 v3, vcc, v3, v2, vcc
	v_subrev_co_u32_e32 v1, vcc, s23, v5
	v_mov_b32_e32 v2, v6
	v_lshlrev_b64 v[1:2], 1, v[1:2]
	v_mov_b32_e32 v10, s8
	v_add_co_u32_e64 v1, s[0:1], s4, v1
	v_addc_co_u32_e64 v2, s[0:1], v10, v2, s[0:1]
	v_cndmask_b32_e32 v2, v2, v3, vcc
	v_cndmask_b32_e32 v1, v1, v8, vcc
	global_load_ushort v8, v[1:2], off
	v_add_u32_e32 v1, v5, v7
	v_mov_b32_e32 v2, v6
	v_lshlrev_b64 v[2:3], 1, v[1:2]
	v_mov_b32_e32 v10, s7
	v_add_co_u32_e32 v11, vcc, s5, v2
	v_addc_co_u32_e32 v10, vcc, v10, v3, vcc
	v_subrev_co_u32_e32 v2, vcc, s23, v1
	v_mov_b32_e32 v3, v6
	v_lshlrev_b64 v[2:3], 1, v[2:3]
	v_mov_b32_e32 v12, s8
	v_add_co_u32_e64 v2, s[0:1], s4, v2
	v_addc_co_u32_e64 v3, s[0:1], v12, v3, s[0:1]
	v_cndmask_b32_e32 v3, v3, v10, vcc
	v_cndmask_b32_e32 v2, v2, v11, vcc
	global_load_ushort v10, v[2:3], off
	v_add_u32_e32 v1, v1, v7
	v_mov_b32_e32 v2, v6
	;; [unrolled: 15-line block ×6, first 2 shown]
	v_lshlrev_b64 v[2:3], 1, v[1:2]
	v_mov_b32_e32 v15, s7
	v_add_co_u32_e32 v16, vcc, s5, v2
	v_addc_co_u32_e32 v3, vcc, v15, v3, vcc
	v_subrev_co_u32_e32 v1, vcc, s23, v1
	v_mov_b32_e32 v2, v6
	v_lshlrev_b64 v[1:2], 1, v[1:2]
	v_mov_b32_e32 v6, s8
	v_add_co_u32_e64 v1, s[0:1], s4, v1
	v_addc_co_u32_e64 v2, s[0:1], v6, v2, s[0:1]
	v_cndmask_b32_e32 v2, v2, v3, vcc
	v_cndmask_b32_e32 v1, v1, v16, vcc
	global_load_ushort v6, v[1:2], off
	s_mov_b32 s0, 0x5040100
	s_waitcnt vmcnt(6)
	v_perm_b32 v1, v8, v4, s0
	s_waitcnt vmcnt(4)
	v_perm_b32 v2, v11, v10, s0
	s_add_i32 s21, s33, s23
	s_waitcnt vmcnt(2)
	v_perm_b32 v3, v13, v12, s0
	s_waitcnt vmcnt(0)
	v_perm_b32 v4, v6, v14, s0
	s_cbranch_execz .LBB66_4
	s_branch .LBB66_21
.LBB66_3:
                                        ; implicit-def: $vgpr1_vgpr2_vgpr3_vgpr4
                                        ; implicit-def: $sgpr21
.LBB66_4:
	s_add_i32 s21, s33, s23
	v_mov_b32_e32 v1, 0
	v_cmp_gt_u32_e32 vcc, s21, v0
	v_mov_b32_e32 v2, v1
	v_mov_b32_e32 v3, v1
	;; [unrolled: 1-line block ×3, first 2 shown]
	s_and_saveexec_b64 s[0:1], vcc
	s_cbranch_execz .LBB66_6
; %bb.5:
	v_mov_b32_e32 v2, s7
	v_add_co_u32_e32 v4, vcc, s5, v9
	v_subrev_u32_e32 v3, s23, v0
	v_addc_co_u32_e32 v2, vcc, 0, v2, vcc
	v_lshlrev_b32_e32 v3, 1, v3
	v_mov_b32_e32 v6, s8
	v_add_co_u32_e32 v8, vcc, s4, v3
	v_addc_co_u32_e32 v3, vcc, 0, v6, vcc
	v_cmp_gt_u32_e32 vcc, s23, v0
	v_cndmask_b32_e32 v3, v3, v2, vcc
	v_cndmask_b32_e32 v2, v8, v4, vcc
	global_load_ushort v2, v[2:3], off
	v_mov_b32_e32 v11, v1
	v_mov_b32_e32 v12, v1
	v_mov_b32_e32 v13, v1
	s_waitcnt vmcnt(0)
	v_and_b32_e32 v10, 0xffff, v2
	v_mov_b32_e32 v1, v10
	v_mov_b32_e32 v2, v11
	;; [unrolled: 1-line block ×4, first 2 shown]
.LBB66_6:
	s_or_b64 exec, exec, s[0:1]
	v_cmp_gt_u32_e32 vcc, s21, v5
	s_and_saveexec_b64 s[2:3], vcc
	s_cbranch_execz .LBB66_8
; %bb.7:
	v_mov_b32_e32 v6, 0
	v_lshlrev_b64 v[10:11], 1, v[5:6]
	v_mov_b32_e32 v8, s7
	v_add_co_u32_e32 v12, vcc, s5, v10
	v_addc_co_u32_e32 v8, vcc, v8, v11, vcc
	v_subrev_co_u32_e32 v10, vcc, s23, v5
	v_mov_b32_e32 v11, v6
	v_lshlrev_b64 v[10:11], 1, v[10:11]
	v_mov_b32_e32 v6, s8
	v_add_co_u32_e64 v10, s[0:1], s4, v10
	v_addc_co_u32_e64 v6, s[0:1], v6, v11, s[0:1]
	v_cndmask_b32_e32 v11, v6, v8, vcc
	v_cndmask_b32_e32 v10, v10, v12, vcc
	global_load_ushort v6, v[10:11], off
	s_mov_b32 s0, 0x5040100
	s_waitcnt vmcnt(0)
	v_perm_b32 v1, v6, v1, s0
.LBB66_8:
	s_or_b64 exec, exec, s[2:3]
	v_add_u32_e32 v5, v5, v7
	v_cmp_gt_u32_e32 vcc, s21, v5
	s_and_saveexec_b64 s[2:3], vcc
	s_cbranch_execz .LBB66_10
; %bb.9:
	v_mov_b32_e32 v6, 0
	v_lshlrev_b64 v[10:11], 1, v[5:6]
	v_mov_b32_e32 v8, s7
	v_add_co_u32_e32 v12, vcc, s5, v10
	v_addc_co_u32_e32 v8, vcc, v8, v11, vcc
	v_subrev_co_u32_e32 v10, vcc, s23, v5
	v_mov_b32_e32 v11, v6
	v_lshlrev_b64 v[10:11], 1, v[10:11]
	v_mov_b32_e32 v6, s8
	v_add_co_u32_e64 v10, s[0:1], s4, v10
	v_addc_co_u32_e64 v6, s[0:1], v6, v11, s[0:1]
	v_cndmask_b32_e32 v11, v6, v8, vcc
	v_cndmask_b32_e32 v10, v10, v12, vcc
	global_load_ushort v6, v[10:11], off
	s_mov_b32 s0, 0xffff
	s_waitcnt vmcnt(0)
	v_bfi_b32 v2, s0, v6, v2
.LBB66_10:
	s_or_b64 exec, exec, s[2:3]
	v_add_u32_e32 v5, v5, v7
	v_cmp_gt_u32_e32 vcc, s21, v5
	s_and_saveexec_b64 s[2:3], vcc
	s_cbranch_execz .LBB66_12
; %bb.11:
	v_mov_b32_e32 v6, 0
	v_lshlrev_b64 v[10:11], 1, v[5:6]
	v_mov_b32_e32 v8, s7
	v_add_co_u32_e32 v12, vcc, s5, v10
	v_addc_co_u32_e32 v8, vcc, v8, v11, vcc
	v_subrev_co_u32_e32 v10, vcc, s23, v5
	v_mov_b32_e32 v11, v6
	v_lshlrev_b64 v[10:11], 1, v[10:11]
	v_mov_b32_e32 v6, s8
	v_add_co_u32_e64 v10, s[0:1], s4, v10
	v_addc_co_u32_e64 v6, s[0:1], v6, v11, s[0:1]
	v_cndmask_b32_e32 v11, v6, v8, vcc
	v_cndmask_b32_e32 v10, v10, v12, vcc
	global_load_ushort v6, v[10:11], off
	s_mov_b32 s0, 0x5040100
	s_waitcnt vmcnt(0)
	v_perm_b32 v2, v6, v2, s0
.LBB66_12:
	s_or_b64 exec, exec, s[2:3]
	v_add_u32_e32 v5, v5, v7
	v_cmp_gt_u32_e32 vcc, s21, v5
	s_and_saveexec_b64 s[2:3], vcc
	s_cbranch_execz .LBB66_14
; %bb.13:
	v_mov_b32_e32 v6, 0
	v_lshlrev_b64 v[10:11], 1, v[5:6]
	v_mov_b32_e32 v8, s7
	v_add_co_u32_e32 v12, vcc, s5, v10
	v_addc_co_u32_e32 v8, vcc, v8, v11, vcc
	v_subrev_co_u32_e32 v10, vcc, s23, v5
	v_mov_b32_e32 v11, v6
	v_lshlrev_b64 v[10:11], 1, v[10:11]
	v_mov_b32_e32 v6, s8
	v_add_co_u32_e64 v10, s[0:1], s4, v10
	v_addc_co_u32_e64 v6, s[0:1], v6, v11, s[0:1]
	v_cndmask_b32_e32 v11, v6, v8, vcc
	v_cndmask_b32_e32 v10, v10, v12, vcc
	global_load_ushort v6, v[10:11], off
	s_mov_b32 s0, 0xffff
	s_waitcnt vmcnt(0)
	v_bfi_b32 v3, s0, v6, v3
.LBB66_14:
	s_or_b64 exec, exec, s[2:3]
	v_add_u32_e32 v5, v5, v7
	;; [unrolled: 48-line block ×3, first 2 shown]
	v_cmp_gt_u32_e32 vcc, s21, v5
	s_and_saveexec_b64 s[2:3], vcc
	s_cbranch_execz .LBB66_20
; %bb.19:
	v_mov_b32_e32 v6, 0
	v_lshlrev_b64 v[7:8], 1, v[5:6]
	v_mov_b32_e32 v10, s7
	v_add_co_u32_e32 v7, vcc, s5, v7
	v_addc_co_u32_e32 v8, vcc, v10, v8, vcc
	v_subrev_co_u32_e32 v5, vcc, s23, v5
	v_lshlrev_b64 v[5:6], 1, v[5:6]
	v_mov_b32_e32 v10, s8
	v_add_co_u32_e64 v5, s[0:1], s4, v5
	v_addc_co_u32_e64 v6, s[0:1], v10, v6, s[0:1]
	v_cndmask_b32_e32 v6, v6, v8, vcc
	v_cndmask_b32_e32 v5, v5, v7, vcc
	global_load_ushort v5, v[5:6], off
	s_mov_b32 s0, 0x5040100
	s_waitcnt vmcnt(0)
	v_perm_b32 v4, v5, v4, s0
.LBB66_20:
	s_or_b64 exec, exec, s[2:3]
.LBB66_21:
	v_lshlrev_b32_e32 v10, 3, v0
	v_min_u32_e32 v6, s21, v10
	v_sub_u32_e64 v5, v6, s33 clamp
	v_min_u32_e32 v7, s23, v6
	v_cmp_lt_u32_e32 vcc, v5, v7
	ds_write_b16 v9, v1
	ds_write_b16_d16_hi v9, v1 offset:256
	ds_write_b16 v9, v2 offset:512
	ds_write_b16_d16_hi v9, v2 offset:768
	ds_write_b16 v9, v3 offset:1024
	;; [unrolled: 2-line block ×3, first 2 shown]
	ds_write_b16_d16_hi v9, v4 offset:1792
	s_waitcnt lgkmcnt(0)
	s_barrier
	s_and_saveexec_b64 s[0:1], vcc
	s_cbranch_execz .LBB66_25
; %bb.22:
	v_lshlrev_b32_e32 v8, 1, v6
	v_lshl_add_u32 v8, s23, 1, v8
	s_mov_b64 s[2:3], 0
.LBB66_23:                              ; =>This Inner Loop Header: Depth=1
	v_add_u32_e32 v11, v7, v5
	v_lshrrev_b32_e32 v12, 1, v11
	v_not_b32_e32 v13, v12
	v_and_b32_e32 v11, -2, v11
	v_lshl_add_u32 v13, v13, 1, v8
	ds_read_u16 v11, v11
	ds_read_u16 v13, v13
	v_add_u32_e32 v14, 1, v12
	s_waitcnt lgkmcnt(0)
	v_cmp_gt_i16_e32 vcc, v11, v13
	v_cndmask_b32_e32 v7, v7, v12, vcc
	v_cndmask_b32_e32 v5, v14, v5, vcc
	v_cmp_ge_u32_e32 vcc, v5, v7
	s_or_b64 s[2:3], vcc, s[2:3]
	s_andn2_b64 exec, exec, s[2:3]
	s_cbranch_execnz .LBB66_23
; %bb.24:
	s_or_b64 exec, exec, s[2:3]
.LBB66_25:
	s_or_b64 exec, exec, s[0:1]
	v_sub_u32_e32 v6, v6, v5
	v_add_u32_e32 v6, s23, v6
	v_cmp_ge_u32_e32 vcc, s23, v5
	v_cmp_ge_u32_e64 s[0:1], s21, v6
	s_or_b64 s[0:1], vcc, s[0:1]
	v_mov_b32_e32 v11, 0
	v_mov_b32_e32 v12, 0
	;; [unrolled: 1-line block ×8, first 2 shown]
	s_and_saveexec_b64 s[30:31], s[0:1]
	s_cbranch_execz .LBB66_31
; %bb.26:
	v_cmp_gt_u32_e32 vcc, s23, v5
                                        ; implicit-def: $vgpr1
	s_and_saveexec_b64 s[0:1], vcc
; %bb.27:
	v_lshlrev_b32_e32 v1, 1, v5
	ds_read_u16 v1, v1
; %bb.28:
	s_or_b64 exec, exec, s[0:1]
	v_cmp_le_u32_e64 s[0:1], s21, v6
	v_cmp_gt_u32_e64 s[2:3], s21, v6
                                        ; implicit-def: $vgpr2
	s_and_saveexec_b64 s[4:5], s[2:3]
; %bb.29:
	v_lshlrev_b32_e32 v2, 1, v6
	ds_read_u16 v2, v2
; %bb.30:
	s_or_b64 exec, exec, s[4:5]
	s_waitcnt lgkmcnt(0)
	v_cmp_le_i16_e64 s[2:3], v1, v2
	s_and_b64 s[2:3], vcc, s[2:3]
	s_or_b64 vcc, s[0:1], s[2:3]
	v_mov_b32_e32 v3, s21
	v_mov_b32_e32 v4, s23
	v_cndmask_b32_e32 v18, v6, v5, vcc
	v_cndmask_b32_e32 v7, v3, v4, vcc
	v_add_u32_e32 v8, 1, v18
	v_add_u32_e32 v7, -1, v7
	v_min_u32_e32 v7, v8, v7
	v_lshlrev_b32_e32 v7, 1, v7
	ds_read_u16 v7, v7
	v_cndmask_b32_e32 v5, v5, v8, vcc
	v_cndmask_b32_e32 v6, v8, v6, vcc
	v_cmp_gt_u32_e64 s[2:3], s23, v5
	v_cmp_le_u32_e64 s[0:1], s21, v6
	s_waitcnt lgkmcnt(0)
	v_cndmask_b32_e32 v11, v7, v2, vcc
	v_cndmask_b32_e32 v7, v1, v7, vcc
	v_cmp_le_i16_e64 s[4:5], v7, v11
	s_and_b64 s[2:3], s[2:3], s[4:5]
	s_or_b64 s[0:1], s[0:1], s[2:3]
	v_cndmask_b32_e64 v17, v6, v5, s[0:1]
	v_cndmask_b32_e64 v8, v3, v4, s[0:1]
	v_add_u32_e32 v12, 1, v17
	v_add_u32_e32 v8, -1, v8
	v_min_u32_e32 v8, v12, v8
	v_lshlrev_b32_e32 v8, 1, v8
	ds_read_u16 v8, v8
	v_cndmask_b32_e64 v5, v5, v12, s[0:1]
	v_cndmask_b32_e64 v6, v12, v6, s[0:1]
	v_cmp_gt_u32_e64 s[4:5], s23, v5
	v_cmp_le_u32_e64 s[2:3], s21, v6
	s_waitcnt lgkmcnt(0)
	v_cndmask_b32_e64 v19, v8, v11, s[0:1]
	v_cndmask_b32_e64 v8, v7, v8, s[0:1]
	v_cmp_le_i16_e64 s[6:7], v8, v19
	s_and_b64 s[4:5], s[4:5], s[6:7]
	s_or_b64 s[2:3], s[2:3], s[4:5]
	v_cndmask_b32_e64 v16, v6, v5, s[2:3]
	v_cndmask_b32_e64 v12, v3, v4, s[2:3]
	v_add_u32_e32 v13, 1, v16
	v_add_u32_e32 v12, -1, v12
	v_min_u32_e32 v12, v13, v12
	v_lshlrev_b32_e32 v12, 1, v12
	ds_read_u16 v12, v12
	v_cndmask_b32_e64 v5, v5, v13, s[2:3]
	v_cndmask_b32_e64 v6, v13, v6, s[2:3]
	v_cmp_gt_u32_e64 s[6:7], s23, v5
	v_cmp_le_u32_e64 s[4:5], s21, v6
	s_waitcnt lgkmcnt(0)
	v_cndmask_b32_e64 v20, v12, v19, s[2:3]
	v_cndmask_b32_e64 v21, v8, v12, s[2:3]
	;; [unrolled: 17-line block ×4, first 2 shown]
	v_cmp_le_i16_e64 s[12:13], v25, v24
	s_and_b64 s[10:11], s[10:11], s[12:13]
	s_or_b64 s[8:9], s[8:9], s[10:11]
	v_cndmask_b32_e64 v13, v6, v5, s[8:9]
	v_cndmask_b32_e64 v12, v3, v4, s[8:9]
	v_add_u32_e32 v26, 1, v13
	v_add_u32_e32 v12, -1, v12
	v_min_u32_e32 v12, v26, v12
	v_lshlrev_b32_e32 v12, 1, v12
	ds_read_u16 v12, v12
	v_cndmask_b32_e32 v1, v2, v1, vcc
	v_cndmask_b32_e64 v7, v11, v7, s[0:1]
	v_cndmask_b32_e64 v2, v19, v8, s[2:3]
	;; [unrolled: 1-line block ×3, first 2 shown]
	s_waitcnt lgkmcnt(0)
	v_cndmask_b32_e64 v8, v12, v24, s[8:9]
	v_cndmask_b32_e64 v11, v25, v12, s[8:9]
	;; [unrolled: 1-line block ×3, first 2 shown]
	v_cmp_gt_u32_e64 s[0:1], s23, v5
	v_cmp_le_i16_e64 s[2:3], v11, v8
	v_cmp_le_u32_e32 vcc, s21, v6
	s_and_b64 s[0:1], s[0:1], s[2:3]
	s_or_b64 vcc, vcc, s[0:1]
	v_cndmask_b32_e32 v12, v6, v5, vcc
	v_cndmask_b32_e32 v3, v3, v4, vcc
	v_add_u32_e32 v4, 1, v12
	v_add_u32_e32 v3, -1, v3
	v_min_u32_e32 v3, v4, v3
	v_lshlrev_b32_e32 v3, 1, v3
	ds_read_u16 v3, v3
	v_cndmask_b32_e64 v19, v20, v21, s[4:5]
	v_cndmask_b32_e64 v20, v22, v23, s[6:7]
	v_cndmask_b32_e32 v22, v8, v11, vcc
	v_cndmask_b32_e32 v6, v4, v6, vcc
	s_waitcnt lgkmcnt(0)
	v_cndmask_b32_e32 v8, v3, v8, vcc
	v_cndmask_b32_e32 v3, v11, v3, vcc
	;; [unrolled: 1-line block ×3, first 2 shown]
	v_cmp_gt_u32_e64 s[0:1], s23, v4
	v_cmp_le_i16_e64 s[2:3], v3, v8
	v_cmp_le_u32_e32 vcc, s21, v6
	s_and_b64 s[0:1], s[0:1], s[2:3]
	s_or_b64 vcc, vcc, s[0:1]
	v_cndmask_b32_e64 v21, v24, v25, s[8:9]
	v_cndmask_b32_e32 v3, v8, v3, vcc
	s_mov_b32 s0, 0x5040100
	v_cndmask_b32_e32 v11, v6, v4, vcc
	v_perm_b32 v4, v3, v22, s0
	v_perm_b32 v3, v21, v20, s0
	;; [unrolled: 1-line block ×4, first 2 shown]
.LBB66_31:
	s_or_b64 exec, exec, s[30:31]
	s_lshl_b64 s[0:1], s[26:27], 3
	s_add_u32 s8, s16, s0
	s_addc_u32 s9, s17, s1
	s_lshl_b64 s[0:1], s[28:29], 3
	s_add_u32 s6, s16, s0
	v_cndmask_b32_e64 v5, 0, 1, s[24:25]
	s_addc_u32 s7, s17, s1
	v_cmp_gt_u32_e64 s[4:5], s23, v0
	v_cmp_ne_u32_e64 s[0:1], 1, v5
	s_andn2_b64 vcc, exec, s[24:25]
	v_cmp_le_u32_e64 s[2:3], s23, v0
	s_barrier
	s_cbranch_vccnz .LBB66_33
; %bb.32:
	v_mov_b32_e32 v5, s9
	v_add_co_u32_e32 v7, vcc, s8, v10
	v_subrev_u32_e32 v6, s23, v0
	v_addc_co_u32_e32 v5, vcc, 0, v5, vcc
	v_lshlrev_b32_e32 v6, 3, v6
	v_mov_b32_e32 v8, s7
	v_add_co_u32_e32 v19, vcc, s6, v6
	v_addc_co_u32_e32 v6, vcc, 0, v8, vcc
	v_cndmask_b32_e64 v6, v6, v5, s[4:5]
	v_cndmask_b32_e64 v5, v19, v7, s[4:5]
	v_or_b32_e32 v7, 0x80, v0
	v_subrev_u32_e32 v8, s23, v7
	v_min_u32_e32 v8, v7, v8
	v_cmp_gt_u32_e32 vcc, s23, v7
	v_mov_b32_e32 v31, s6
	v_mov_b32_e32 v32, s8
	;; [unrolled: 1-line block ×4, first 2 shown]
	v_cndmask_b32_e32 v7, v31, v32, vcc
	v_lshlrev_b32_e32 v8, 3, v8
	v_cndmask_b32_e32 v19, v29, v30, vcc
	v_add_co_u32_e32 v7, vcc, v7, v8
	v_addc_co_u32_e32 v8, vcc, 0, v19, vcc
	v_or_b32_e32 v19, 0x100, v0
	v_subrev_u32_e32 v20, s23, v19
	v_min_u32_e32 v20, v19, v20
	v_cmp_gt_u32_e32 vcc, s23, v19
	v_cndmask_b32_e32 v19, v31, v32, vcc
	v_lshlrev_b32_e32 v20, 3, v20
	v_cndmask_b32_e32 v21, v29, v30, vcc
	v_add_co_u32_e32 v19, vcc, v19, v20
	v_addc_co_u32_e32 v20, vcc, 0, v21, vcc
	v_or_b32_e32 v21, 0x180, v0
	v_subrev_u32_e32 v22, s23, v21
	v_min_u32_e32 v22, v21, v22
	v_cmp_gt_u32_e32 vcc, s23, v21
	;; [unrolled: 9-line block ×5, first 2 shown]
	global_load_dwordx2 v[5:6], v[5:6], off
	v_cndmask_b32_e32 v27, v31, v32, vcc
	global_load_dwordx2 v[7:8], v[7:8], off
	v_lshlrev_b32_e32 v28, 3, v28
	global_load_dwordx2 v[19:20], v[19:20], off
	v_cndmask_b32_e32 v33, v29, v30, vcc
	global_load_dwordx2 v[21:22], v[21:22], off
	v_add_co_u32_e32 v27, vcc, v27, v28
	global_load_dwordx2 v[23:24], v[23:24], off
	v_addc_co_u32_e32 v28, vcc, 0, v33, vcc
	global_load_dwordx2 v[25:26], v[25:26], off
	s_nop 0
	global_load_dwordx2 v[27:28], v[27:28], off
	s_mov_b64 s[4:5], -1
	s_waitcnt vmcnt(5)
	ds_write2st64_b64 v10, v[5:6], v[7:8] offset1:2
	s_waitcnt vmcnt(3)
	ds_write2st64_b64 v10, v[19:20], v[21:22] offset0:4 offset1:6
	s_waitcnt vmcnt(1)
	ds_write2st64_b64 v10, v[23:24], v[25:26] offset0:8 offset1:10
	s_waitcnt vmcnt(0)
	ds_write_b64 v10, v[27:28] offset:6144
	v_or_b32_e32 v19, 0x380, v0
	v_subrev_u32_e32 v5, s23, v19
	v_cmp_gt_u32_e32 vcc, s23, v19
	v_min_u32_e32 v7, v19, v5
	v_cndmask_b32_e32 v6, v29, v30, vcc
	v_cndmask_b32_e32 v5, v31, v32, vcc
	s_cbranch_execz .LBB66_34
	s_branch .LBB66_67
.LBB66_33:
	s_mov_b64 s[4:5], 0
                                        ; implicit-def: $vgpr19
                                        ; implicit-def: $vgpr5_vgpr6
                                        ; implicit-def: $vgpr7
.LBB66_34:
	s_and_saveexec_b64 s[4:5], s[2:3]
	s_xor_b64 s[2:3], exec, s[4:5]
	s_cbranch_execz .LBB66_38
; %bb.35:
	v_subrev_u32_e32 v5, s23, v0
	v_cmp_gt_u32_e32 vcc, s33, v5
	s_and_saveexec_b64 s[4:5], vcc
	s_cbranch_execz .LBB66_37
; %bb.36:
	v_lshlrev_b32_e32 v5, 3, v5
	global_load_dwordx2 v[5:6], v5, s[6:7]
	s_waitcnt vmcnt(0)
	ds_write_b64 v10, v[5:6]
.LBB66_37:
	s_or_b64 exec, exec, s[4:5]
.LBB66_38:
	s_or_saveexec_b64 s[2:3], s[2:3]
	v_mad_u32_u24 v7, v0, 6, v9
	s_xor_b64 exec, exec, s[2:3]
	s_cbranch_execz .LBB66_40
; %bb.39:
	global_load_dwordx2 v[5:6], v10, s[8:9]
	s_waitcnt vmcnt(0)
	ds_write_b64 v7, v[5:6]
.LBB66_40:
	s_or_b64 exec, exec, s[2:3]
	v_or_b32_e32 v8, 0x80, v0
	v_mov_b32_e32 v5, s26
	v_cmp_le_u32_e32 vcc, s23, v8
	s_mov_b64 s[2:3], -1
	v_mov_b32_e32 v6, s27
	s_and_saveexec_b64 s[4:5], vcc
; %bb.41:
	v_subrev_u32_e32 v8, s23, v8
	v_cmp_gt_u32_e32 vcc, s33, v8
	v_mov_b32_e32 v5, s28
	v_mov_b32_e32 v6, s29
	s_orn2_b64 s[2:3], vcc, exec
; %bb.42:
	s_or_b64 exec, exec, s[4:5]
	s_and_saveexec_b64 s[4:5], s[2:3]
	s_cbranch_execz .LBB66_44
; %bb.43:
	v_lshlrev_b64 v[5:6], 3, v[5:6]
	v_mov_b32_e32 v19, s17
	v_add_co_u32_e32 v5, vcc, s16, v5
	v_addc_co_u32_e32 v6, vcc, v19, v6, vcc
	v_lshlrev_b32_e32 v8, 3, v8
	v_add_co_u32_e32 v5, vcc, v5, v8
	v_addc_co_u32_e32 v6, vcc, 0, v6, vcc
	global_load_dwordx2 v[5:6], v[5:6], off
	s_waitcnt vmcnt(0)
	ds_write_b64 v7, v[5:6] offset:1024
.LBB66_44:
	s_or_b64 exec, exec, s[4:5]
	v_or_b32_e32 v8, 0x100, v0
	v_mov_b32_e32 v5, s26
	v_cmp_le_u32_e32 vcc, s23, v8
	s_mov_b64 s[2:3], -1
	v_mov_b32_e32 v6, s27
	s_and_saveexec_b64 s[4:5], vcc
; %bb.45:
	v_subrev_u32_e32 v8, s23, v8
	v_cmp_gt_u32_e32 vcc, s33, v8
	v_mov_b32_e32 v5, s28
	v_mov_b32_e32 v6, s29
	s_orn2_b64 s[2:3], vcc, exec
; %bb.46:
	s_or_b64 exec, exec, s[4:5]
	s_and_saveexec_b64 s[4:5], s[2:3]
	s_cbranch_execz .LBB66_48
; %bb.47:
	v_lshlrev_b64 v[5:6], 3, v[5:6]
	v_mov_b32_e32 v19, s17
	v_add_co_u32_e32 v5, vcc, s16, v5
	v_addc_co_u32_e32 v6, vcc, v19, v6, vcc
	v_lshlrev_b32_e32 v8, 3, v8
	v_add_co_u32_e32 v5, vcc, v5, v8
	v_addc_co_u32_e32 v6, vcc, 0, v6, vcc
	global_load_dwordx2 v[5:6], v[5:6], off
	s_waitcnt vmcnt(0)
	ds_write_b64 v7, v[5:6] offset:2048
.LBB66_48:
	;; [unrolled: 29-line block ×6, first 2 shown]
	s_or_b64 exec, exec, s[4:5]
	v_or_b32_e32 v19, 0x380, v0
	v_mov_b32_e32 v5, s8
	v_cmp_le_u32_e32 vcc, s23, v19
	s_mov_b64 s[4:5], -1
	v_mov_b32_e32 v6, s9
	v_mov_b32_e32 v7, v19
	s_and_saveexec_b64 s[2:3], vcc
; %bb.65:
	v_subrev_u32_e32 v7, s23, v19
	v_cmp_gt_u32_e32 vcc, s33, v7
	v_mov_b32_e32 v5, s6
	v_mov_b32_e32 v6, s7
	s_orn2_b64 s[4:5], vcc, exec
; %bb.66:
	s_or_b64 exec, exec, s[2:3]
.LBB66_67:
	s_and_saveexec_b64 s[2:3], s[4:5]
	s_cbranch_execz .LBB66_69
; %bb.68:
	v_mov_b32_e32 v8, 0
	v_lshlrev_b64 v[7:8], 3, v[7:8]
	v_add_co_u32_e32 v5, vcc, v5, v7
	v_addc_co_u32_e32 v6, vcc, v6, v8, vcc
	global_load_dwordx2 v[5:6], v[5:6], off
	v_lshlrev_b32_e32 v7, 3, v19
	s_waitcnt vmcnt(0)
	ds_write_b64 v7, v[5:6]
.LBB66_69:
	s_or_b64 exec, exec, s[2:3]
	s_and_b64 vcc, exec, s[0:1]
	v_add_u32_e32 v5, s22, v10
	s_waitcnt lgkmcnt(0)
	s_barrier
	s_cbranch_vccnz .LBB66_71
; %bb.70:
	v_lshlrev_b32_e32 v19, 3, v18
	v_lshlrev_b32_e32 v21, 3, v17
	;; [unrolled: 1-line block ×7, first 2 shown]
	v_mov_b32_e32 v6, 0
	ds_read_b64 v[19:20], v19
	ds_read_b64 v[21:22], v21
	;; [unrolled: 1-line block ×7, first 2 shown]
	v_lshlrev_b64 v[7:8], 3, v[5:6]
	v_mov_b32_e32 v33, s19
	v_add_co_u32_e32 v7, vcc, s18, v7
	v_addc_co_u32_e32 v8, vcc, v33, v8, vcc
	s_mov_b64 s[0:1], -1
	s_waitcnt lgkmcnt(5)
	global_store_dwordx4 v[7:8], v[19:22], off
	s_waitcnt lgkmcnt(3)
	global_store_dwordx4 v[7:8], v[23:26], off offset:16
	s_waitcnt lgkmcnt(1)
	global_store_dwordx4 v[7:8], v[27:30], off offset:32
	s_waitcnt lgkmcnt(0)
	global_store_dwordx2 v[7:8], v[31:32], off offset:48
	s_cbranch_execz .LBB66_72
	s_branch .LBB66_89
.LBB66_71:
	s_mov_b64 s[0:1], 0
.LBB66_72:
	v_cmp_gt_u32_e32 vcc, s21, v10
	s_and_saveexec_b64 s[2:3], vcc
	s_cbranch_execz .LBB66_74
; %bb.73:
	v_lshlrev_b32_e32 v8, 3, v18
	v_mov_b32_e32 v6, 0
	ds_read_b64 v[18:19], v8
	v_lshlrev_b64 v[6:7], 3, v[5:6]
	v_mov_b32_e32 v20, s19
	v_add_co_u32_e32 v6, vcc, s18, v6
	v_addc_co_u32_e32 v7, vcc, v20, v7, vcc
	s_waitcnt lgkmcnt(0)
	global_store_dwordx2 v[6:7], v[18:19], off
.LBB66_74:
	s_or_b64 exec, exec, s[2:3]
	v_or_b32_e32 v6, 1, v10
	v_cmp_gt_u32_e32 vcc, s21, v6
	s_and_saveexec_b64 s[2:3], vcc
	s_cbranch_execz .LBB66_76
; %bb.75:
	v_lshlrev_b32_e32 v8, 3, v17
	v_mov_b32_e32 v6, 0
	ds_read_b64 v[17:18], v8
	v_lshlrev_b64 v[6:7], 3, v[5:6]
	v_mov_b32_e32 v19, s19
	v_add_co_u32_e32 v6, vcc, s18, v6
	v_addc_co_u32_e32 v7, vcc, v19, v7, vcc
	s_waitcnt lgkmcnt(0)
	global_store_dwordx2 v[6:7], v[17:18], off offset:8
.LBB66_76:
	s_or_b64 exec, exec, s[2:3]
	v_or_b32_e32 v6, 2, v10
	v_cmp_gt_u32_e32 vcc, s21, v6
	s_and_saveexec_b64 s[2:3], vcc
	s_cbranch_execz .LBB66_78
; %bb.77:
	v_lshlrev_b32_e32 v8, 3, v16
	v_mov_b32_e32 v6, 0
	ds_read_b64 v[16:17], v8
	v_lshlrev_b64 v[6:7], 3, v[5:6]
	v_mov_b32_e32 v18, s19
	v_add_co_u32_e32 v6, vcc, s18, v6
	v_addc_co_u32_e32 v7, vcc, v18, v7, vcc
	s_waitcnt lgkmcnt(0)
	global_store_dwordx2 v[6:7], v[16:17], off offset:16
.LBB66_78:
	;; [unrolled: 16-line block ×6, first 2 shown]
	s_or_b64 exec, exec, s[2:3]
	v_or_b32_e32 v6, 7, v10
	v_cmp_gt_u32_e32 vcc, s21, v6
	s_and_saveexec_b64 s[2:3], vcc
; %bb.87:
	v_mov_b32_e32 v6, 0
	s_or_b64 s[0:1], s[0:1], exec
; %bb.88:
	s_or_b64 exec, exec, s[2:3]
.LBB66_89:
	s_and_saveexec_b64 s[2:3], s[0:1]
	s_cbranch_execz .LBB66_91
; %bb.90:
	v_lshlrev_b32_e32 v7, 3, v11
	ds_read_b64 v[7:8], v7
	v_lshlrev_b64 v[5:6], 3, v[5:6]
	v_mov_b32_e32 v11, s19
	v_add_co_u32_e32 v5, vcc, s18, v5
	v_addc_co_u32_e32 v6, vcc, v11, v6, vcc
	s_waitcnt lgkmcnt(0)
	global_store_dwordx2 v[5:6], v[7:8], off offset:56
.LBB66_91:
	s_or_b64 exec, exec, s[2:3]
	v_lshrrev_b32_e32 v5, 1, v0
	v_and_b32_e32 v5, 60, v5
	v_lshl_add_u32 v5, v10, 1, v5
	s_waitcnt vmcnt(0)
	s_barrier
	s_barrier
	ds_write2_b32 v5, v1, v2 offset1:1
	ds_write2_b32 v5, v3, v4 offset0:2 offset1:3
	v_lshrrev_b32_e32 v1, 4, v0
	v_and_b32_e32 v1, 4, v1
	v_or_b32_e32 v11, 0x80, v0
	v_add_u32_e32 v12, v1, v9
	v_lshrrev_b32_e32 v1, 4, v11
	v_and_b32_e32 v1, 12, v1
	v_or_b32_e32 v10, 0x100, v0
	v_add_u32_e32 v13, v1, v9
	;; [unrolled: 4-line block ×5, first 2 shown]
	v_lshrrev_b32_e32 v1, 4, v5
	v_and_b32_e32 v1, 44, v1
	v_or_b32_e32 v4, 0x300, v0
	s_mov_b32 s23, 0
	v_add_u32_e32 v17, v1, v9
	v_lshrrev_b32_e32 v1, 4, v4
	s_lshl_b64 s[0:1], s[22:23], 1
	v_and_b32_e32 v1, 52, v1
	v_or_b32_e32 v3, 0x380, v0
	s_add_u32 s0, s14, s0
	v_add_u32_e32 v18, v1, v9
	v_lshrrev_b32_e32 v1, 4, v3
	s_addc_u32 s1, s15, s1
	v_and_b32_e32 v1, 60, v1
	v_add_u32_e32 v19, v1, v9
	v_mov_b32_e32 v2, s1
	v_add_co_u32_e32 v1, vcc, s0, v9
	v_addc_co_u32_e32 v2, vcc, 0, v2, vcc
	s_and_b64 vcc, exec, s[24:25]
	s_waitcnt lgkmcnt(0)
	s_cbranch_vccz .LBB66_93
; %bb.92:
	s_barrier
	ds_read_u16 v9, v12
	ds_read_u16 v20, v13 offset:256
	ds_read_u16 v21, v14 offset:512
	;; [unrolled: 1-line block ×7, first 2 shown]
	s_waitcnt lgkmcnt(7)
	global_store_short v[1:2], v9, off
	s_waitcnt lgkmcnt(6)
	global_store_short v[1:2], v20, off offset:256
	s_waitcnt lgkmcnt(5)
	global_store_short v[1:2], v21, off offset:512
	s_waitcnt lgkmcnt(4)
	global_store_short v[1:2], v22, off offset:768
	s_waitcnt lgkmcnt(3)
	global_store_short v[1:2], v23, off offset:1024
	s_waitcnt lgkmcnt(2)
	global_store_short v[1:2], v24, off offset:1280
	s_waitcnt lgkmcnt(1)
	global_store_short v[1:2], v25, off offset:1536
	s_mov_b64 s[0:1], -1
	s_cbranch_execz .LBB66_94
	s_branch .LBB66_103
.LBB66_93:
	s_mov_b64 s[0:1], 0
                                        ; implicit-def: $vgpr7
.LBB66_94:
	s_waitcnt vmcnt(0) lgkmcnt(0)
	s_barrier
	ds_read_u16 v21, v13 offset:256
	ds_read_u16 v20, v14 offset:512
	;; [unrolled: 1-line block ×7, first 2 shown]
	s_sub_i32 s2, s20, s22
	v_cmp_gt_u32_e32 vcc, s2, v0
	s_and_saveexec_b64 s[0:1], vcc
	s_cbranch_execnz .LBB66_106
; %bb.95:
	s_or_b64 exec, exec, s[0:1]
	v_cmp_gt_u32_e32 vcc, s2, v11
	s_and_saveexec_b64 s[0:1], vcc
	s_cbranch_execnz .LBB66_107
.LBB66_96:
	s_or_b64 exec, exec, s[0:1]
	v_cmp_gt_u32_e32 vcc, s2, v10
	s_and_saveexec_b64 s[0:1], vcc
	s_cbranch_execnz .LBB66_108
.LBB66_97:
	s_or_b64 exec, exec, s[0:1]
	v_cmp_gt_u32_e32 vcc, s2, v8
	s_and_saveexec_b64 s[0:1], vcc
	s_cbranch_execnz .LBB66_109
.LBB66_98:
	s_or_b64 exec, exec, s[0:1]
	v_cmp_gt_u32_e32 vcc, s2, v6
	s_and_saveexec_b64 s[0:1], vcc
	s_cbranch_execnz .LBB66_110
.LBB66_99:
	s_or_b64 exec, exec, s[0:1]
	v_cmp_gt_u32_e32 vcc, s2, v5
	s_and_saveexec_b64 s[0:1], vcc
	s_cbranch_execnz .LBB66_111
.LBB66_100:
	s_or_b64 exec, exec, s[0:1]
	v_cmp_gt_u32_e32 vcc, s2, v4
	s_and_saveexec_b64 s[0:1], vcc
	s_cbranch_execz .LBB66_102
.LBB66_101:
	s_waitcnt lgkmcnt(1)
	global_store_short v[1:2], v9, off offset:1536
.LBB66_102:
	s_or_b64 exec, exec, s[0:1]
	v_cmp_gt_u32_e64 s[0:1], s2, v3
.LBB66_103:
	s_and_saveexec_b64 s[2:3], s[0:1]
	s_cbranch_execz .LBB66_105
; %bb.104:
	s_waitcnt lgkmcnt(0)
	global_store_short v[1:2], v7, off offset:1792
.LBB66_105:
	s_endpgm
.LBB66_106:
	ds_read_u16 v0, v12
	s_waitcnt lgkmcnt(0)
	global_store_short v[1:2], v0, off
	s_or_b64 exec, exec, s[0:1]
	v_cmp_gt_u32_e32 vcc, s2, v11
	s_and_saveexec_b64 s[0:1], vcc
	s_cbranch_execz .LBB66_96
.LBB66_107:
	s_waitcnt lgkmcnt(6)
	global_store_short v[1:2], v21, off offset:256
	s_or_b64 exec, exec, s[0:1]
	v_cmp_gt_u32_e32 vcc, s2, v10
	s_and_saveexec_b64 s[0:1], vcc
	s_cbranch_execz .LBB66_97
.LBB66_108:
	s_waitcnt lgkmcnt(5)
	global_store_short v[1:2], v20, off offset:512
	s_or_b64 exec, exec, s[0:1]
	v_cmp_gt_u32_e32 vcc, s2, v8
	s_and_saveexec_b64 s[0:1], vcc
	s_cbranch_execz .LBB66_98
.LBB66_109:
	s_waitcnt lgkmcnt(4)
	global_store_short v[1:2], v15, off offset:768
	s_or_b64 exec, exec, s[0:1]
	v_cmp_gt_u32_e32 vcc, s2, v6
	s_and_saveexec_b64 s[0:1], vcc
	s_cbranch_execz .LBB66_99
.LBB66_110:
	s_waitcnt lgkmcnt(3)
	global_store_short v[1:2], v14, off offset:1024
	s_or_b64 exec, exec, s[0:1]
	v_cmp_gt_u32_e32 vcc, s2, v5
	s_and_saveexec_b64 s[0:1], vcc
	s_cbranch_execz .LBB66_100
.LBB66_111:
	s_waitcnt lgkmcnt(2)
	global_store_short v[1:2], v13, off offset:1280
	s_or_b64 exec, exec, s[0:1]
	v_cmp_gt_u32_e32 vcc, s2, v4
	s_and_saveexec_b64 s[0:1], vcc
	s_cbranch_execnz .LBB66_101
	s_branch .LBB66_102
	.section	.rodata,"a",@progbits
	.p2align	6, 0x0
	.amdhsa_kernel _ZN7rocprim17ROCPRIM_304000_NS6detail35device_block_merge_mergepath_kernelINS1_37wrapped_merge_sort_block_merge_configINS0_14default_configEsN2at4cuda3cub6detail10OpaqueTypeILi8EEEEEPsSC_PSA_SD_jNS1_19radix_merge_compareILb0ELb0EsNS0_19identity_decomposerEEEEEvT0_T1_T2_T3_T4_SL_jT5_PKSL_NS1_7vsmem_tE
		.amdhsa_group_segment_fixed_size 8208
		.amdhsa_private_segment_fixed_size 0
		.amdhsa_kernarg_size 320
		.amdhsa_user_sgpr_count 6
		.amdhsa_user_sgpr_private_segment_buffer 1
		.amdhsa_user_sgpr_dispatch_ptr 0
		.amdhsa_user_sgpr_queue_ptr 0
		.amdhsa_user_sgpr_kernarg_segment_ptr 1
		.amdhsa_user_sgpr_dispatch_id 0
		.amdhsa_user_sgpr_flat_scratch_init 0
		.amdhsa_user_sgpr_private_segment_size 0
		.amdhsa_uses_dynamic_stack 0
		.amdhsa_system_sgpr_private_segment_wavefront_offset 0
		.amdhsa_system_sgpr_workgroup_id_x 1
		.amdhsa_system_sgpr_workgroup_id_y 1
		.amdhsa_system_sgpr_workgroup_id_z 1
		.amdhsa_system_sgpr_workgroup_info 0
		.amdhsa_system_vgpr_workitem_id 0
		.amdhsa_next_free_vgpr 49
		.amdhsa_next_free_sgpr 98
		.amdhsa_reserve_vcc 1
		.amdhsa_reserve_flat_scratch 0
		.amdhsa_float_round_mode_32 0
		.amdhsa_float_round_mode_16_64 0
		.amdhsa_float_denorm_mode_32 3
		.amdhsa_float_denorm_mode_16_64 3
		.amdhsa_dx10_clamp 1
		.amdhsa_ieee_mode 1
		.amdhsa_fp16_overflow 0
		.amdhsa_exception_fp_ieee_invalid_op 0
		.amdhsa_exception_fp_denorm_src 0
		.amdhsa_exception_fp_ieee_div_zero 0
		.amdhsa_exception_fp_ieee_overflow 0
		.amdhsa_exception_fp_ieee_underflow 0
		.amdhsa_exception_fp_ieee_inexact 0
		.amdhsa_exception_int_div_zero 0
	.end_amdhsa_kernel
	.section	.text._ZN7rocprim17ROCPRIM_304000_NS6detail35device_block_merge_mergepath_kernelINS1_37wrapped_merge_sort_block_merge_configINS0_14default_configEsN2at4cuda3cub6detail10OpaqueTypeILi8EEEEEPsSC_PSA_SD_jNS1_19radix_merge_compareILb0ELb0EsNS0_19identity_decomposerEEEEEvT0_T1_T2_T3_T4_SL_jT5_PKSL_NS1_7vsmem_tE,"axG",@progbits,_ZN7rocprim17ROCPRIM_304000_NS6detail35device_block_merge_mergepath_kernelINS1_37wrapped_merge_sort_block_merge_configINS0_14default_configEsN2at4cuda3cub6detail10OpaqueTypeILi8EEEEEPsSC_PSA_SD_jNS1_19radix_merge_compareILb0ELb0EsNS0_19identity_decomposerEEEEEvT0_T1_T2_T3_T4_SL_jT5_PKSL_NS1_7vsmem_tE,comdat
.Lfunc_end66:
	.size	_ZN7rocprim17ROCPRIM_304000_NS6detail35device_block_merge_mergepath_kernelINS1_37wrapped_merge_sort_block_merge_configINS0_14default_configEsN2at4cuda3cub6detail10OpaqueTypeILi8EEEEEPsSC_PSA_SD_jNS1_19radix_merge_compareILb0ELb0EsNS0_19identity_decomposerEEEEEvT0_T1_T2_T3_T4_SL_jT5_PKSL_NS1_7vsmem_tE, .Lfunc_end66-_ZN7rocprim17ROCPRIM_304000_NS6detail35device_block_merge_mergepath_kernelINS1_37wrapped_merge_sort_block_merge_configINS0_14default_configEsN2at4cuda3cub6detail10OpaqueTypeILi8EEEEEPsSC_PSA_SD_jNS1_19radix_merge_compareILb0ELb0EsNS0_19identity_decomposerEEEEEvT0_T1_T2_T3_T4_SL_jT5_PKSL_NS1_7vsmem_tE
                                        ; -- End function
	.set _ZN7rocprim17ROCPRIM_304000_NS6detail35device_block_merge_mergepath_kernelINS1_37wrapped_merge_sort_block_merge_configINS0_14default_configEsN2at4cuda3cub6detail10OpaqueTypeILi8EEEEEPsSC_PSA_SD_jNS1_19radix_merge_compareILb0ELb0EsNS0_19identity_decomposerEEEEEvT0_T1_T2_T3_T4_SL_jT5_PKSL_NS1_7vsmem_tE.num_vgpr, 34
	.set _ZN7rocprim17ROCPRIM_304000_NS6detail35device_block_merge_mergepath_kernelINS1_37wrapped_merge_sort_block_merge_configINS0_14default_configEsN2at4cuda3cub6detail10OpaqueTypeILi8EEEEEPsSC_PSA_SD_jNS1_19radix_merge_compareILb0ELb0EsNS0_19identity_decomposerEEEEEvT0_T1_T2_T3_T4_SL_jT5_PKSL_NS1_7vsmem_tE.num_agpr, 0
	.set _ZN7rocprim17ROCPRIM_304000_NS6detail35device_block_merge_mergepath_kernelINS1_37wrapped_merge_sort_block_merge_configINS0_14default_configEsN2at4cuda3cub6detail10OpaqueTypeILi8EEEEEPsSC_PSA_SD_jNS1_19radix_merge_compareILb0ELb0EsNS0_19identity_decomposerEEEEEvT0_T1_T2_T3_T4_SL_jT5_PKSL_NS1_7vsmem_tE.numbered_sgpr, 34
	.set _ZN7rocprim17ROCPRIM_304000_NS6detail35device_block_merge_mergepath_kernelINS1_37wrapped_merge_sort_block_merge_configINS0_14default_configEsN2at4cuda3cub6detail10OpaqueTypeILi8EEEEEPsSC_PSA_SD_jNS1_19radix_merge_compareILb0ELb0EsNS0_19identity_decomposerEEEEEvT0_T1_T2_T3_T4_SL_jT5_PKSL_NS1_7vsmem_tE.num_named_barrier, 0
	.set _ZN7rocprim17ROCPRIM_304000_NS6detail35device_block_merge_mergepath_kernelINS1_37wrapped_merge_sort_block_merge_configINS0_14default_configEsN2at4cuda3cub6detail10OpaqueTypeILi8EEEEEPsSC_PSA_SD_jNS1_19radix_merge_compareILb0ELb0EsNS0_19identity_decomposerEEEEEvT0_T1_T2_T3_T4_SL_jT5_PKSL_NS1_7vsmem_tE.private_seg_size, 0
	.set _ZN7rocprim17ROCPRIM_304000_NS6detail35device_block_merge_mergepath_kernelINS1_37wrapped_merge_sort_block_merge_configINS0_14default_configEsN2at4cuda3cub6detail10OpaqueTypeILi8EEEEEPsSC_PSA_SD_jNS1_19radix_merge_compareILb0ELb0EsNS0_19identity_decomposerEEEEEvT0_T1_T2_T3_T4_SL_jT5_PKSL_NS1_7vsmem_tE.uses_vcc, 1
	.set _ZN7rocprim17ROCPRIM_304000_NS6detail35device_block_merge_mergepath_kernelINS1_37wrapped_merge_sort_block_merge_configINS0_14default_configEsN2at4cuda3cub6detail10OpaqueTypeILi8EEEEEPsSC_PSA_SD_jNS1_19radix_merge_compareILb0ELb0EsNS0_19identity_decomposerEEEEEvT0_T1_T2_T3_T4_SL_jT5_PKSL_NS1_7vsmem_tE.uses_flat_scratch, 0
	.set _ZN7rocprim17ROCPRIM_304000_NS6detail35device_block_merge_mergepath_kernelINS1_37wrapped_merge_sort_block_merge_configINS0_14default_configEsN2at4cuda3cub6detail10OpaqueTypeILi8EEEEEPsSC_PSA_SD_jNS1_19radix_merge_compareILb0ELb0EsNS0_19identity_decomposerEEEEEvT0_T1_T2_T3_T4_SL_jT5_PKSL_NS1_7vsmem_tE.has_dyn_sized_stack, 0
	.set _ZN7rocprim17ROCPRIM_304000_NS6detail35device_block_merge_mergepath_kernelINS1_37wrapped_merge_sort_block_merge_configINS0_14default_configEsN2at4cuda3cub6detail10OpaqueTypeILi8EEEEEPsSC_PSA_SD_jNS1_19radix_merge_compareILb0ELb0EsNS0_19identity_decomposerEEEEEvT0_T1_T2_T3_T4_SL_jT5_PKSL_NS1_7vsmem_tE.has_recursion, 0
	.set _ZN7rocprim17ROCPRIM_304000_NS6detail35device_block_merge_mergepath_kernelINS1_37wrapped_merge_sort_block_merge_configINS0_14default_configEsN2at4cuda3cub6detail10OpaqueTypeILi8EEEEEPsSC_PSA_SD_jNS1_19radix_merge_compareILb0ELb0EsNS0_19identity_decomposerEEEEEvT0_T1_T2_T3_T4_SL_jT5_PKSL_NS1_7vsmem_tE.has_indirect_call, 0
	.section	.AMDGPU.csdata,"",@progbits
; Kernel info:
; codeLenInByte = 6092
; TotalNumSgprs: 38
; NumVgprs: 34
; ScratchSize: 0
; MemoryBound: 0
; FloatMode: 240
; IeeeMode: 1
; LDSByteSize: 8208 bytes/workgroup (compile time only)
; SGPRBlocks: 12
; VGPRBlocks: 12
; NumSGPRsForWavesPerEU: 102
; NumVGPRsForWavesPerEU: 49
; Occupancy: 4
; WaveLimiterHint : 1
; COMPUTE_PGM_RSRC2:SCRATCH_EN: 0
; COMPUTE_PGM_RSRC2:USER_SGPR: 6
; COMPUTE_PGM_RSRC2:TRAP_HANDLER: 0
; COMPUTE_PGM_RSRC2:TGID_X_EN: 1
; COMPUTE_PGM_RSRC2:TGID_Y_EN: 1
; COMPUTE_PGM_RSRC2:TGID_Z_EN: 1
; COMPUTE_PGM_RSRC2:TIDIG_COMP_CNT: 0
	.section	.text._ZN7rocprim17ROCPRIM_304000_NS6detail33device_block_merge_oddeven_kernelINS1_37wrapped_merge_sort_block_merge_configINS0_14default_configEsN2at4cuda3cub6detail10OpaqueTypeILi8EEEEEPsSC_PSA_SD_jNS1_19radix_merge_compareILb0ELb0EsNS0_19identity_decomposerEEEEEvT0_T1_T2_T3_T4_SL_T5_,"axG",@progbits,_ZN7rocprim17ROCPRIM_304000_NS6detail33device_block_merge_oddeven_kernelINS1_37wrapped_merge_sort_block_merge_configINS0_14default_configEsN2at4cuda3cub6detail10OpaqueTypeILi8EEEEEPsSC_PSA_SD_jNS1_19radix_merge_compareILb0ELb0EsNS0_19identity_decomposerEEEEEvT0_T1_T2_T3_T4_SL_T5_,comdat
	.protected	_ZN7rocprim17ROCPRIM_304000_NS6detail33device_block_merge_oddeven_kernelINS1_37wrapped_merge_sort_block_merge_configINS0_14default_configEsN2at4cuda3cub6detail10OpaqueTypeILi8EEEEEPsSC_PSA_SD_jNS1_19radix_merge_compareILb0ELb0EsNS0_19identity_decomposerEEEEEvT0_T1_T2_T3_T4_SL_T5_ ; -- Begin function _ZN7rocprim17ROCPRIM_304000_NS6detail33device_block_merge_oddeven_kernelINS1_37wrapped_merge_sort_block_merge_configINS0_14default_configEsN2at4cuda3cub6detail10OpaqueTypeILi8EEEEEPsSC_PSA_SD_jNS1_19radix_merge_compareILb0ELb0EsNS0_19identity_decomposerEEEEEvT0_T1_T2_T3_T4_SL_T5_
	.globl	_ZN7rocprim17ROCPRIM_304000_NS6detail33device_block_merge_oddeven_kernelINS1_37wrapped_merge_sort_block_merge_configINS0_14default_configEsN2at4cuda3cub6detail10OpaqueTypeILi8EEEEEPsSC_PSA_SD_jNS1_19radix_merge_compareILb0ELb0EsNS0_19identity_decomposerEEEEEvT0_T1_T2_T3_T4_SL_T5_
	.p2align	8
	.type	_ZN7rocprim17ROCPRIM_304000_NS6detail33device_block_merge_oddeven_kernelINS1_37wrapped_merge_sort_block_merge_configINS0_14default_configEsN2at4cuda3cub6detail10OpaqueTypeILi8EEEEEPsSC_PSA_SD_jNS1_19radix_merge_compareILb0ELb0EsNS0_19identity_decomposerEEEEEvT0_T1_T2_T3_T4_SL_T5_,@function
_ZN7rocprim17ROCPRIM_304000_NS6detail33device_block_merge_oddeven_kernelINS1_37wrapped_merge_sort_block_merge_configINS0_14default_configEsN2at4cuda3cub6detail10OpaqueTypeILi8EEEEEPsSC_PSA_SD_jNS1_19radix_merge_compareILb0ELb0EsNS0_19identity_decomposerEEEEEvT0_T1_T2_T3_T4_SL_T5_: ; @_ZN7rocprim17ROCPRIM_304000_NS6detail33device_block_merge_oddeven_kernelINS1_37wrapped_merge_sort_block_merge_configINS0_14default_configEsN2at4cuda3cub6detail10OpaqueTypeILi8EEEEEPsSC_PSA_SD_jNS1_19radix_merge_compareILb0ELb0EsNS0_19identity_decomposerEEEEEvT0_T1_T2_T3_T4_SL_T5_
; %bb.0:
	s_load_dwordx2 s[18:19], s[4:5], 0x20
	s_waitcnt lgkmcnt(0)
	s_lshr_b32 s0, s18, 8
	s_cmp_eq_u32 s6, s0
	s_cselect_b64 s[16:17], -1, 0
	s_cmp_lg_u32 s6, s0
	s_cselect_b64 s[0:1], -1, 0
	s_lshl_b32 s20, s6, 8
	s_sub_i32 s2, s18, s20
	v_cmp_gt_u32_e64 s[2:3], s2, v0
	s_or_b64 s[0:1], s[0:1], s[2:3]
	s_and_saveexec_b64 s[8:9], s[0:1]
	s_cbranch_execz .LBB67_24
; %bb.1:
	s_load_dwordx8 s[8:15], s[4:5], 0x0
	s_mov_b32 s21, 0
	s_lshl_b64 s[0:1], s[20:21], 1
	v_lshlrev_b32_e32 v4, 3, v0
	v_lshlrev_b32_e32 v3, 1, v0
	s_waitcnt lgkmcnt(0)
	s_add_u32 s0, s8, s0
	s_addc_u32 s1, s9, s1
	s_lshl_b64 s[4:5], s[20:21], 3
	s_add_u32 s4, s12, s4
	s_addc_u32 s5, s13, s5
	global_load_dwordx2 v[1:2], v4, s[4:5]
	global_load_ushort v5, v3, s[0:1]
	s_lshr_b32 s0, s19, 8
	s_sub_i32 s1, 0, s0
	s_and_b32 s1, s6, s1
	s_and_b32 s0, s1, s0
	s_lshl_b32 s13, s1, 8
	s_sub_i32 s6, 0, s19
	s_cmp_eq_u32 s0, 0
	s_cselect_b64 s[0:1], -1, 0
	s_and_b64 s[4:5], s[0:1], exec
	s_cselect_b32 s6, s19, s6
	s_add_i32 s6, s6, s13
	s_mov_b64 s[4:5], -1
	s_cmp_gt_u32 s18, s6
	v_add_u32_e32 v3, s20, v0
	s_cbranch_scc1 .LBB67_9
; %bb.2:
	s_and_b64 vcc, exec, s[16:17]
	s_cbranch_vccz .LBB67_6
; %bb.3:
	v_cmp_gt_u32_e32 vcc, s18, v3
	s_and_saveexec_b64 s[4:5], vcc
	s_cbranch_execz .LBB67_5
; %bb.4:
	v_mov_b32_e32 v4, 0
	v_lshlrev_b64 v[6:7], 3, v[3:4]
	v_mov_b32_e32 v0, s15
	v_add_co_u32_e32 v6, vcc, s14, v6
	v_lshlrev_b64 v[8:9], 1, v[3:4]
	v_addc_co_u32_e32 v7, vcc, v0, v7, vcc
	v_mov_b32_e32 v0, s11
	v_add_co_u32_e32 v8, vcc, s10, v8
	v_addc_co_u32_e32 v9, vcc, v0, v9, vcc
	s_waitcnt vmcnt(0)
	global_store_short v[8:9], v5, off
	global_store_dwordx2 v[6:7], v[1:2], off
.LBB67_5:
	s_or_b64 exec, exec, s[4:5]
	s_mov_b64 s[4:5], 0
.LBB67_6:
	s_andn2_b64 vcc, exec, s[4:5]
	s_cbranch_vccnz .LBB67_8
; %bb.7:
	v_mov_b32_e32 v4, 0
	v_lshlrev_b64 v[6:7], 1, v[3:4]
	v_mov_b32_e32 v0, s11
	v_add_co_u32_e32 v6, vcc, s10, v6
	v_lshlrev_b64 v[8:9], 3, v[3:4]
	v_addc_co_u32_e32 v7, vcc, v0, v7, vcc
	v_mov_b32_e32 v0, s15
	v_add_co_u32_e32 v8, vcc, s14, v8
	v_addc_co_u32_e32 v9, vcc, v0, v9, vcc
	s_waitcnt vmcnt(0)
	global_store_short v[6:7], v5, off
	global_store_dwordx2 v[8:9], v[1:2], off
.LBB67_8:
	s_mov_b64 s[4:5], 0
.LBB67_9:
	s_andn2_b64 vcc, exec, s[4:5]
	s_cbranch_vccnz .LBB67_24
; %bb.10:
	s_min_u32 s7, s6, s18
	s_add_i32 s4, s7, s19
	s_min_u32 s12, s4, s18
	s_min_u32 s4, s13, s7
	s_add_i32 s13, s13, s7
	v_subrev_u32_e32 v0, s13, v3
	v_add_u32_e32 v0, s4, v0
	s_andn2_b64 vcc, exec, s[16:17]
	s_mov_b64 s[4:5], -1
	s_cbranch_vccnz .LBB67_18
; %bb.11:
	s_and_saveexec_b64 s[4:5], s[2:3]
	s_cbranch_execz .LBB67_17
; %bb.12:
	s_cmp_ge_u32 s6, s12
	v_mov_b32_e32 v3, s7
	s_cbranch_scc1 .LBB67_16
; %bb.13:
	s_mov_b64 s[2:3], 0
	v_mov_b32_e32 v4, s12
	v_mov_b32_e32 v3, s7
.LBB67_14:                              ; =>This Inner Loop Header: Depth=1
	v_add_u32_e32 v6, v3, v4
	v_and_b32_e32 v7, -2, v6
	global_load_ushort v7, v7, s[8:9]
	v_lshrrev_b32_e32 v6, 1, v6
	v_add_u32_e32 v8, 1, v6
	s_waitcnt vmcnt(0)
	v_cmp_gt_i16_e32 vcc, v5, v7
	v_cndmask_b32_e64 v9, 0, 1, vcc
	v_cmp_le_i16_e32 vcc, v7, v5
	v_cndmask_b32_e64 v7, 0, 1, vcc
	v_cndmask_b32_e64 v7, v7, v9, s[0:1]
	v_and_b32_e32 v7, 1, v7
	v_cmp_eq_u32_e32 vcc, 1, v7
	v_cndmask_b32_e32 v4, v6, v4, vcc
	v_cndmask_b32_e32 v3, v3, v8, vcc
	v_cmp_ge_u32_e32 vcc, v3, v4
	s_or_b64 s[2:3], vcc, s[2:3]
	s_andn2_b64 exec, exec, s[2:3]
	s_cbranch_execnz .LBB67_14
; %bb.15:
	s_or_b64 exec, exec, s[2:3]
.LBB67_16:
	v_add_u32_e32 v3, v3, v0
	v_mov_b32_e32 v4, 0
	v_lshlrev_b64 v[6:7], 1, v[3:4]
	v_mov_b32_e32 v8, s11
	v_add_co_u32_e32 v6, vcc, s10, v6
	v_lshlrev_b64 v[3:4], 3, v[3:4]
	v_addc_co_u32_e32 v7, vcc, v8, v7, vcc
	s_waitcnt vmcnt(0)
	global_store_short v[6:7], v5, off
	v_mov_b32_e32 v6, s15
	v_add_co_u32_e32 v3, vcc, s14, v3
	v_addc_co_u32_e32 v4, vcc, v6, v4, vcc
	global_store_dwordx2 v[3:4], v[1:2], off
.LBB67_17:
	s_or_b64 exec, exec, s[4:5]
	s_mov_b64 s[4:5], 0
.LBB67_18:
	s_andn2_b64 vcc, exec, s[4:5]
	s_cbranch_vccnz .LBB67_24
; %bb.19:
	s_cmp_ge_u32 s6, s12
	v_mov_b32_e32 v3, s7
	s_cbranch_scc1 .LBB67_23
; %bb.20:
	s_mov_b64 s[2:3], 0
	v_mov_b32_e32 v4, s12
	v_mov_b32_e32 v3, s7
.LBB67_21:                              ; =>This Inner Loop Header: Depth=1
	v_add_u32_e32 v6, v3, v4
	v_and_b32_e32 v7, -2, v6
	global_load_ushort v7, v7, s[8:9]
	v_lshrrev_b32_e32 v6, 1, v6
	v_add_u32_e32 v8, 1, v6
	s_waitcnt vmcnt(0)
	v_cmp_gt_i16_e32 vcc, v5, v7
	v_cndmask_b32_e64 v9, 0, 1, vcc
	v_cmp_le_i16_e32 vcc, v7, v5
	v_cndmask_b32_e64 v7, 0, 1, vcc
	v_cndmask_b32_e64 v7, v7, v9, s[0:1]
	v_and_b32_e32 v7, 1, v7
	v_cmp_eq_u32_e32 vcc, 1, v7
	v_cndmask_b32_e32 v4, v6, v4, vcc
	v_cndmask_b32_e32 v3, v3, v8, vcc
	v_cmp_ge_u32_e32 vcc, v3, v4
	s_or_b64 s[2:3], vcc, s[2:3]
	s_andn2_b64 exec, exec, s[2:3]
	s_cbranch_execnz .LBB67_21
; %bb.22:
	s_or_b64 exec, exec, s[2:3]
.LBB67_23:
	v_add_u32_e32 v3, v3, v0
	v_mov_b32_e32 v4, 0
	v_lshlrev_b64 v[6:7], 1, v[3:4]
	v_mov_b32_e32 v0, s11
	v_add_co_u32_e32 v6, vcc, s10, v6
	v_lshlrev_b64 v[3:4], 3, v[3:4]
	v_addc_co_u32_e32 v7, vcc, v0, v7, vcc
	v_mov_b32_e32 v0, s15
	v_add_co_u32_e32 v3, vcc, s14, v3
	v_addc_co_u32_e32 v4, vcc, v0, v4, vcc
	s_waitcnt vmcnt(0)
	global_store_short v[6:7], v5, off
	global_store_dwordx2 v[3:4], v[1:2], off
.LBB67_24:
	s_endpgm
	.section	.rodata,"a",@progbits
	.p2align	6, 0x0
	.amdhsa_kernel _ZN7rocprim17ROCPRIM_304000_NS6detail33device_block_merge_oddeven_kernelINS1_37wrapped_merge_sort_block_merge_configINS0_14default_configEsN2at4cuda3cub6detail10OpaqueTypeILi8EEEEEPsSC_PSA_SD_jNS1_19radix_merge_compareILb0ELb0EsNS0_19identity_decomposerEEEEEvT0_T1_T2_T3_T4_SL_T5_
		.amdhsa_group_segment_fixed_size 0
		.amdhsa_private_segment_fixed_size 0
		.amdhsa_kernarg_size 44
		.amdhsa_user_sgpr_count 6
		.amdhsa_user_sgpr_private_segment_buffer 1
		.amdhsa_user_sgpr_dispatch_ptr 0
		.amdhsa_user_sgpr_queue_ptr 0
		.amdhsa_user_sgpr_kernarg_segment_ptr 1
		.amdhsa_user_sgpr_dispatch_id 0
		.amdhsa_user_sgpr_flat_scratch_init 0
		.amdhsa_user_sgpr_private_segment_size 0
		.amdhsa_uses_dynamic_stack 0
		.amdhsa_system_sgpr_private_segment_wavefront_offset 0
		.amdhsa_system_sgpr_workgroup_id_x 1
		.amdhsa_system_sgpr_workgroup_id_y 0
		.amdhsa_system_sgpr_workgroup_id_z 0
		.amdhsa_system_sgpr_workgroup_info 0
		.amdhsa_system_vgpr_workitem_id 0
		.amdhsa_next_free_vgpr 10
		.amdhsa_next_free_sgpr 22
		.amdhsa_reserve_vcc 1
		.amdhsa_reserve_flat_scratch 0
		.amdhsa_float_round_mode_32 0
		.amdhsa_float_round_mode_16_64 0
		.amdhsa_float_denorm_mode_32 3
		.amdhsa_float_denorm_mode_16_64 3
		.amdhsa_dx10_clamp 1
		.amdhsa_ieee_mode 1
		.amdhsa_fp16_overflow 0
		.amdhsa_exception_fp_ieee_invalid_op 0
		.amdhsa_exception_fp_denorm_src 0
		.amdhsa_exception_fp_ieee_div_zero 0
		.amdhsa_exception_fp_ieee_overflow 0
		.amdhsa_exception_fp_ieee_underflow 0
		.amdhsa_exception_fp_ieee_inexact 0
		.amdhsa_exception_int_div_zero 0
	.end_amdhsa_kernel
	.section	.text._ZN7rocprim17ROCPRIM_304000_NS6detail33device_block_merge_oddeven_kernelINS1_37wrapped_merge_sort_block_merge_configINS0_14default_configEsN2at4cuda3cub6detail10OpaqueTypeILi8EEEEEPsSC_PSA_SD_jNS1_19radix_merge_compareILb0ELb0EsNS0_19identity_decomposerEEEEEvT0_T1_T2_T3_T4_SL_T5_,"axG",@progbits,_ZN7rocprim17ROCPRIM_304000_NS6detail33device_block_merge_oddeven_kernelINS1_37wrapped_merge_sort_block_merge_configINS0_14default_configEsN2at4cuda3cub6detail10OpaqueTypeILi8EEEEEPsSC_PSA_SD_jNS1_19radix_merge_compareILb0ELb0EsNS0_19identity_decomposerEEEEEvT0_T1_T2_T3_T4_SL_T5_,comdat
.Lfunc_end67:
	.size	_ZN7rocprim17ROCPRIM_304000_NS6detail33device_block_merge_oddeven_kernelINS1_37wrapped_merge_sort_block_merge_configINS0_14default_configEsN2at4cuda3cub6detail10OpaqueTypeILi8EEEEEPsSC_PSA_SD_jNS1_19radix_merge_compareILb0ELb0EsNS0_19identity_decomposerEEEEEvT0_T1_T2_T3_T4_SL_T5_, .Lfunc_end67-_ZN7rocprim17ROCPRIM_304000_NS6detail33device_block_merge_oddeven_kernelINS1_37wrapped_merge_sort_block_merge_configINS0_14default_configEsN2at4cuda3cub6detail10OpaqueTypeILi8EEEEEPsSC_PSA_SD_jNS1_19radix_merge_compareILb0ELb0EsNS0_19identity_decomposerEEEEEvT0_T1_T2_T3_T4_SL_T5_
                                        ; -- End function
	.set _ZN7rocprim17ROCPRIM_304000_NS6detail33device_block_merge_oddeven_kernelINS1_37wrapped_merge_sort_block_merge_configINS0_14default_configEsN2at4cuda3cub6detail10OpaqueTypeILi8EEEEEPsSC_PSA_SD_jNS1_19radix_merge_compareILb0ELb0EsNS0_19identity_decomposerEEEEEvT0_T1_T2_T3_T4_SL_T5_.num_vgpr, 10
	.set _ZN7rocprim17ROCPRIM_304000_NS6detail33device_block_merge_oddeven_kernelINS1_37wrapped_merge_sort_block_merge_configINS0_14default_configEsN2at4cuda3cub6detail10OpaqueTypeILi8EEEEEPsSC_PSA_SD_jNS1_19radix_merge_compareILb0ELb0EsNS0_19identity_decomposerEEEEEvT0_T1_T2_T3_T4_SL_T5_.num_agpr, 0
	.set _ZN7rocprim17ROCPRIM_304000_NS6detail33device_block_merge_oddeven_kernelINS1_37wrapped_merge_sort_block_merge_configINS0_14default_configEsN2at4cuda3cub6detail10OpaqueTypeILi8EEEEEPsSC_PSA_SD_jNS1_19radix_merge_compareILb0ELb0EsNS0_19identity_decomposerEEEEEvT0_T1_T2_T3_T4_SL_T5_.numbered_sgpr, 22
	.set _ZN7rocprim17ROCPRIM_304000_NS6detail33device_block_merge_oddeven_kernelINS1_37wrapped_merge_sort_block_merge_configINS0_14default_configEsN2at4cuda3cub6detail10OpaqueTypeILi8EEEEEPsSC_PSA_SD_jNS1_19radix_merge_compareILb0ELb0EsNS0_19identity_decomposerEEEEEvT0_T1_T2_T3_T4_SL_T5_.num_named_barrier, 0
	.set _ZN7rocprim17ROCPRIM_304000_NS6detail33device_block_merge_oddeven_kernelINS1_37wrapped_merge_sort_block_merge_configINS0_14default_configEsN2at4cuda3cub6detail10OpaqueTypeILi8EEEEEPsSC_PSA_SD_jNS1_19radix_merge_compareILb0ELb0EsNS0_19identity_decomposerEEEEEvT0_T1_T2_T3_T4_SL_T5_.private_seg_size, 0
	.set _ZN7rocprim17ROCPRIM_304000_NS6detail33device_block_merge_oddeven_kernelINS1_37wrapped_merge_sort_block_merge_configINS0_14default_configEsN2at4cuda3cub6detail10OpaqueTypeILi8EEEEEPsSC_PSA_SD_jNS1_19radix_merge_compareILb0ELb0EsNS0_19identity_decomposerEEEEEvT0_T1_T2_T3_T4_SL_T5_.uses_vcc, 1
	.set _ZN7rocprim17ROCPRIM_304000_NS6detail33device_block_merge_oddeven_kernelINS1_37wrapped_merge_sort_block_merge_configINS0_14default_configEsN2at4cuda3cub6detail10OpaqueTypeILi8EEEEEPsSC_PSA_SD_jNS1_19radix_merge_compareILb0ELb0EsNS0_19identity_decomposerEEEEEvT0_T1_T2_T3_T4_SL_T5_.uses_flat_scratch, 0
	.set _ZN7rocprim17ROCPRIM_304000_NS6detail33device_block_merge_oddeven_kernelINS1_37wrapped_merge_sort_block_merge_configINS0_14default_configEsN2at4cuda3cub6detail10OpaqueTypeILi8EEEEEPsSC_PSA_SD_jNS1_19radix_merge_compareILb0ELb0EsNS0_19identity_decomposerEEEEEvT0_T1_T2_T3_T4_SL_T5_.has_dyn_sized_stack, 0
	.set _ZN7rocprim17ROCPRIM_304000_NS6detail33device_block_merge_oddeven_kernelINS1_37wrapped_merge_sort_block_merge_configINS0_14default_configEsN2at4cuda3cub6detail10OpaqueTypeILi8EEEEEPsSC_PSA_SD_jNS1_19radix_merge_compareILb0ELb0EsNS0_19identity_decomposerEEEEEvT0_T1_T2_T3_T4_SL_T5_.has_recursion, 0
	.set _ZN7rocprim17ROCPRIM_304000_NS6detail33device_block_merge_oddeven_kernelINS1_37wrapped_merge_sort_block_merge_configINS0_14default_configEsN2at4cuda3cub6detail10OpaqueTypeILi8EEEEEPsSC_PSA_SD_jNS1_19radix_merge_compareILb0ELb0EsNS0_19identity_decomposerEEEEEvT0_T1_T2_T3_T4_SL_T5_.has_indirect_call, 0
	.section	.AMDGPU.csdata,"",@progbits
; Kernel info:
; codeLenInByte = 804
; TotalNumSgprs: 26
; NumVgprs: 10
; ScratchSize: 0
; MemoryBound: 0
; FloatMode: 240
; IeeeMode: 1
; LDSByteSize: 0 bytes/workgroup (compile time only)
; SGPRBlocks: 3
; VGPRBlocks: 2
; NumSGPRsForWavesPerEU: 26
; NumVGPRsForWavesPerEU: 10
; Occupancy: 10
; WaveLimiterHint : 0
; COMPUTE_PGM_RSRC2:SCRATCH_EN: 0
; COMPUTE_PGM_RSRC2:USER_SGPR: 6
; COMPUTE_PGM_RSRC2:TRAP_HANDLER: 0
; COMPUTE_PGM_RSRC2:TGID_X_EN: 1
; COMPUTE_PGM_RSRC2:TGID_Y_EN: 0
; COMPUTE_PGM_RSRC2:TGID_Z_EN: 0
; COMPUTE_PGM_RSRC2:TIDIG_COMP_CNT: 0
	.section	.text._ZN7rocprim17ROCPRIM_304000_NS6detail45device_block_merge_mergepath_partition_kernelINS1_37wrapped_merge_sort_block_merge_configINS0_14default_configEsN2at4cuda3cub6detail10OpaqueTypeILi8EEEEEPsjNS1_19radix_merge_compareILb0ELb1EsNS0_19identity_decomposerEEEEEvT0_T1_jPSH_T2_SH_,"axG",@progbits,_ZN7rocprim17ROCPRIM_304000_NS6detail45device_block_merge_mergepath_partition_kernelINS1_37wrapped_merge_sort_block_merge_configINS0_14default_configEsN2at4cuda3cub6detail10OpaqueTypeILi8EEEEEPsjNS1_19radix_merge_compareILb0ELb1EsNS0_19identity_decomposerEEEEEvT0_T1_jPSH_T2_SH_,comdat
	.protected	_ZN7rocprim17ROCPRIM_304000_NS6detail45device_block_merge_mergepath_partition_kernelINS1_37wrapped_merge_sort_block_merge_configINS0_14default_configEsN2at4cuda3cub6detail10OpaqueTypeILi8EEEEEPsjNS1_19radix_merge_compareILb0ELb1EsNS0_19identity_decomposerEEEEEvT0_T1_jPSH_T2_SH_ ; -- Begin function _ZN7rocprim17ROCPRIM_304000_NS6detail45device_block_merge_mergepath_partition_kernelINS1_37wrapped_merge_sort_block_merge_configINS0_14default_configEsN2at4cuda3cub6detail10OpaqueTypeILi8EEEEEPsjNS1_19radix_merge_compareILb0ELb1EsNS0_19identity_decomposerEEEEEvT0_T1_jPSH_T2_SH_
	.globl	_ZN7rocprim17ROCPRIM_304000_NS6detail45device_block_merge_mergepath_partition_kernelINS1_37wrapped_merge_sort_block_merge_configINS0_14default_configEsN2at4cuda3cub6detail10OpaqueTypeILi8EEEEEPsjNS1_19radix_merge_compareILb0ELb1EsNS0_19identity_decomposerEEEEEvT0_T1_jPSH_T2_SH_
	.p2align	8
	.type	_ZN7rocprim17ROCPRIM_304000_NS6detail45device_block_merge_mergepath_partition_kernelINS1_37wrapped_merge_sort_block_merge_configINS0_14default_configEsN2at4cuda3cub6detail10OpaqueTypeILi8EEEEEPsjNS1_19radix_merge_compareILb0ELb1EsNS0_19identity_decomposerEEEEEvT0_T1_jPSH_T2_SH_,@function
_ZN7rocprim17ROCPRIM_304000_NS6detail45device_block_merge_mergepath_partition_kernelINS1_37wrapped_merge_sort_block_merge_configINS0_14default_configEsN2at4cuda3cub6detail10OpaqueTypeILi8EEEEEPsjNS1_19radix_merge_compareILb0ELb1EsNS0_19identity_decomposerEEEEEvT0_T1_jPSH_T2_SH_: ; @_ZN7rocprim17ROCPRIM_304000_NS6detail45device_block_merge_mergepath_partition_kernelINS1_37wrapped_merge_sort_block_merge_configINS0_14default_configEsN2at4cuda3cub6detail10OpaqueTypeILi8EEEEEPsjNS1_19radix_merge_compareILb0ELb1EsNS0_19identity_decomposerEEEEEvT0_T1_jPSH_T2_SH_
; %bb.0:
	s_load_dwordx2 s[2:3], s[4:5], 0x8
	v_lshl_or_b32 v0, s6, 7, v0
	s_waitcnt lgkmcnt(0)
	v_cmp_gt_u32_e32 vcc, s3, v0
	s_and_saveexec_b64 s[0:1], vcc
	s_cbranch_execz .LBB68_6
; %bb.1:
	s_load_dwordx2 s[0:1], s[4:5], 0x18
	s_waitcnt lgkmcnt(0)
	s_lshr_b32 s3, s1, 9
	s_and_b32 s3, s3, 0x7ffffe
	s_add_i32 s6, s3, -1
	s_sub_i32 s3, 0, s3
	v_and_b32_e32 v1, s3, v0
	v_lshlrev_b32_e32 v3, 10, v1
	v_min_u32_e32 v1, s2, v3
	v_add_u32_e32 v3, s1, v3
	v_min_u32_e32 v3, s2, v3
	v_add_u32_e32 v4, s1, v3
	v_and_b32_e32 v2, s6, v0
	v_min_u32_e32 v4, s2, v4
	v_lshlrev_b32_e32 v2, 10, v2
	v_sub_u32_e32 v5, v4, v1
	v_min_u32_e32 v6, v5, v2
	v_sub_u32_e32 v2, v3, v1
	v_sub_u32_e32 v4, v4, v3
	v_sub_u32_e64 v5, v6, v4 clamp
	v_min_u32_e32 v7, v6, v2
	v_cmp_lt_u32_e32 vcc, v5, v7
	s_and_saveexec_b64 s[2:3], vcc
	s_cbranch_execz .LBB68_5
; %bb.2:
	s_load_dwordx2 s[6:7], s[4:5], 0x0
	v_mov_b32_e32 v4, 0
	v_mov_b32_e32 v2, v4
	v_lshlrev_b64 v[8:9], 1, v[1:2]
	s_waitcnt lgkmcnt(0)
	v_mov_b32_e32 v11, s7
	v_add_co_u32_e32 v2, vcc, s6, v8
	v_addc_co_u32_e32 v8, vcc, v11, v9, vcc
	v_lshlrev_b64 v[9:10], 1, v[3:4]
	v_add_co_u32_e32 v9, vcc, s6, v9
	v_addc_co_u32_e32 v10, vcc, v11, v10, vcc
	s_mov_b64 s[6:7], 0
.LBB68_3:                               ; =>This Inner Loop Header: Depth=1
	v_add_u32_e32 v3, v7, v5
	v_and_b32_e32 v11, -2, v3
	v_lshrrev_b32_e32 v13, 1, v3
	v_add_co_u32_e32 v11, vcc, v2, v11
	v_xad_u32 v3, v13, -1, v6
	v_addc_co_u32_e32 v12, vcc, 0, v8, vcc
	global_load_ushort v14, v[11:12], off
	v_lshlrev_b64 v[11:12], 1, v[3:4]
	v_add_co_u32_e32 v11, vcc, v9, v11
	v_addc_co_u32_e32 v12, vcc, v10, v12, vcc
	global_load_ushort v3, v[11:12], off
	v_add_u32_e32 v11, 1, v13
	s_waitcnt vmcnt(1)
	v_and_b32_e32 v12, s0, v14
	s_waitcnt vmcnt(0)
	v_and_b32_e32 v3, s0, v3
	v_cmp_gt_i16_e32 vcc, v12, v3
	v_cndmask_b32_e32 v7, v7, v13, vcc
	v_cndmask_b32_e32 v5, v11, v5, vcc
	v_cmp_ge_u32_e32 vcc, v5, v7
	s_or_b64 s[6:7], vcc, s[6:7]
	s_andn2_b64 exec, exec, s[6:7]
	s_cbranch_execnz .LBB68_3
; %bb.4:
	s_or_b64 exec, exec, s[6:7]
.LBB68_5:
	s_or_b64 exec, exec, s[2:3]
	s_load_dwordx2 s[0:1], s[4:5], 0x10
	v_add_u32_e32 v2, v5, v1
	v_mov_b32_e32 v1, 0
	v_lshlrev_b64 v[0:1], 2, v[0:1]
	s_waitcnt lgkmcnt(0)
	v_mov_b32_e32 v3, s1
	v_add_co_u32_e32 v0, vcc, s0, v0
	v_addc_co_u32_e32 v1, vcc, v3, v1, vcc
	global_store_dword v[0:1], v2, off
.LBB68_6:
	s_endpgm
	.section	.rodata,"a",@progbits
	.p2align	6, 0x0
	.amdhsa_kernel _ZN7rocprim17ROCPRIM_304000_NS6detail45device_block_merge_mergepath_partition_kernelINS1_37wrapped_merge_sort_block_merge_configINS0_14default_configEsN2at4cuda3cub6detail10OpaqueTypeILi8EEEEEPsjNS1_19radix_merge_compareILb0ELb1EsNS0_19identity_decomposerEEEEEvT0_T1_jPSH_T2_SH_
		.amdhsa_group_segment_fixed_size 0
		.amdhsa_private_segment_fixed_size 0
		.amdhsa_kernarg_size 32
		.amdhsa_user_sgpr_count 6
		.amdhsa_user_sgpr_private_segment_buffer 1
		.amdhsa_user_sgpr_dispatch_ptr 0
		.amdhsa_user_sgpr_queue_ptr 0
		.amdhsa_user_sgpr_kernarg_segment_ptr 1
		.amdhsa_user_sgpr_dispatch_id 0
		.amdhsa_user_sgpr_flat_scratch_init 0
		.amdhsa_user_sgpr_private_segment_size 0
		.amdhsa_uses_dynamic_stack 0
		.amdhsa_system_sgpr_private_segment_wavefront_offset 0
		.amdhsa_system_sgpr_workgroup_id_x 1
		.amdhsa_system_sgpr_workgroup_id_y 0
		.amdhsa_system_sgpr_workgroup_id_z 0
		.amdhsa_system_sgpr_workgroup_info 0
		.amdhsa_system_vgpr_workitem_id 0
		.amdhsa_next_free_vgpr 15
		.amdhsa_next_free_sgpr 8
		.amdhsa_reserve_vcc 1
		.amdhsa_reserve_flat_scratch 0
		.amdhsa_float_round_mode_32 0
		.amdhsa_float_round_mode_16_64 0
		.amdhsa_float_denorm_mode_32 3
		.amdhsa_float_denorm_mode_16_64 3
		.amdhsa_dx10_clamp 1
		.amdhsa_ieee_mode 1
		.amdhsa_fp16_overflow 0
		.amdhsa_exception_fp_ieee_invalid_op 0
		.amdhsa_exception_fp_denorm_src 0
		.amdhsa_exception_fp_ieee_div_zero 0
		.amdhsa_exception_fp_ieee_overflow 0
		.amdhsa_exception_fp_ieee_underflow 0
		.amdhsa_exception_fp_ieee_inexact 0
		.amdhsa_exception_int_div_zero 0
	.end_amdhsa_kernel
	.section	.text._ZN7rocprim17ROCPRIM_304000_NS6detail45device_block_merge_mergepath_partition_kernelINS1_37wrapped_merge_sort_block_merge_configINS0_14default_configEsN2at4cuda3cub6detail10OpaqueTypeILi8EEEEEPsjNS1_19radix_merge_compareILb0ELb1EsNS0_19identity_decomposerEEEEEvT0_T1_jPSH_T2_SH_,"axG",@progbits,_ZN7rocprim17ROCPRIM_304000_NS6detail45device_block_merge_mergepath_partition_kernelINS1_37wrapped_merge_sort_block_merge_configINS0_14default_configEsN2at4cuda3cub6detail10OpaqueTypeILi8EEEEEPsjNS1_19radix_merge_compareILb0ELb1EsNS0_19identity_decomposerEEEEEvT0_T1_jPSH_T2_SH_,comdat
.Lfunc_end68:
	.size	_ZN7rocprim17ROCPRIM_304000_NS6detail45device_block_merge_mergepath_partition_kernelINS1_37wrapped_merge_sort_block_merge_configINS0_14default_configEsN2at4cuda3cub6detail10OpaqueTypeILi8EEEEEPsjNS1_19radix_merge_compareILb0ELb1EsNS0_19identity_decomposerEEEEEvT0_T1_jPSH_T2_SH_, .Lfunc_end68-_ZN7rocprim17ROCPRIM_304000_NS6detail45device_block_merge_mergepath_partition_kernelINS1_37wrapped_merge_sort_block_merge_configINS0_14default_configEsN2at4cuda3cub6detail10OpaqueTypeILi8EEEEEPsjNS1_19radix_merge_compareILb0ELb1EsNS0_19identity_decomposerEEEEEvT0_T1_jPSH_T2_SH_
                                        ; -- End function
	.set _ZN7rocprim17ROCPRIM_304000_NS6detail45device_block_merge_mergepath_partition_kernelINS1_37wrapped_merge_sort_block_merge_configINS0_14default_configEsN2at4cuda3cub6detail10OpaqueTypeILi8EEEEEPsjNS1_19radix_merge_compareILb0ELb1EsNS0_19identity_decomposerEEEEEvT0_T1_jPSH_T2_SH_.num_vgpr, 15
	.set _ZN7rocprim17ROCPRIM_304000_NS6detail45device_block_merge_mergepath_partition_kernelINS1_37wrapped_merge_sort_block_merge_configINS0_14default_configEsN2at4cuda3cub6detail10OpaqueTypeILi8EEEEEPsjNS1_19radix_merge_compareILb0ELb1EsNS0_19identity_decomposerEEEEEvT0_T1_jPSH_T2_SH_.num_agpr, 0
	.set _ZN7rocprim17ROCPRIM_304000_NS6detail45device_block_merge_mergepath_partition_kernelINS1_37wrapped_merge_sort_block_merge_configINS0_14default_configEsN2at4cuda3cub6detail10OpaqueTypeILi8EEEEEPsjNS1_19radix_merge_compareILb0ELb1EsNS0_19identity_decomposerEEEEEvT0_T1_jPSH_T2_SH_.numbered_sgpr, 8
	.set _ZN7rocprim17ROCPRIM_304000_NS6detail45device_block_merge_mergepath_partition_kernelINS1_37wrapped_merge_sort_block_merge_configINS0_14default_configEsN2at4cuda3cub6detail10OpaqueTypeILi8EEEEEPsjNS1_19radix_merge_compareILb0ELb1EsNS0_19identity_decomposerEEEEEvT0_T1_jPSH_T2_SH_.num_named_barrier, 0
	.set _ZN7rocprim17ROCPRIM_304000_NS6detail45device_block_merge_mergepath_partition_kernelINS1_37wrapped_merge_sort_block_merge_configINS0_14default_configEsN2at4cuda3cub6detail10OpaqueTypeILi8EEEEEPsjNS1_19radix_merge_compareILb0ELb1EsNS0_19identity_decomposerEEEEEvT0_T1_jPSH_T2_SH_.private_seg_size, 0
	.set _ZN7rocprim17ROCPRIM_304000_NS6detail45device_block_merge_mergepath_partition_kernelINS1_37wrapped_merge_sort_block_merge_configINS0_14default_configEsN2at4cuda3cub6detail10OpaqueTypeILi8EEEEEPsjNS1_19radix_merge_compareILb0ELb1EsNS0_19identity_decomposerEEEEEvT0_T1_jPSH_T2_SH_.uses_vcc, 1
	.set _ZN7rocprim17ROCPRIM_304000_NS6detail45device_block_merge_mergepath_partition_kernelINS1_37wrapped_merge_sort_block_merge_configINS0_14default_configEsN2at4cuda3cub6detail10OpaqueTypeILi8EEEEEPsjNS1_19radix_merge_compareILb0ELb1EsNS0_19identity_decomposerEEEEEvT0_T1_jPSH_T2_SH_.uses_flat_scratch, 0
	.set _ZN7rocprim17ROCPRIM_304000_NS6detail45device_block_merge_mergepath_partition_kernelINS1_37wrapped_merge_sort_block_merge_configINS0_14default_configEsN2at4cuda3cub6detail10OpaqueTypeILi8EEEEEPsjNS1_19radix_merge_compareILb0ELb1EsNS0_19identity_decomposerEEEEEvT0_T1_jPSH_T2_SH_.has_dyn_sized_stack, 0
	.set _ZN7rocprim17ROCPRIM_304000_NS6detail45device_block_merge_mergepath_partition_kernelINS1_37wrapped_merge_sort_block_merge_configINS0_14default_configEsN2at4cuda3cub6detail10OpaqueTypeILi8EEEEEPsjNS1_19radix_merge_compareILb0ELb1EsNS0_19identity_decomposerEEEEEvT0_T1_jPSH_T2_SH_.has_recursion, 0
	.set _ZN7rocprim17ROCPRIM_304000_NS6detail45device_block_merge_mergepath_partition_kernelINS1_37wrapped_merge_sort_block_merge_configINS0_14default_configEsN2at4cuda3cub6detail10OpaqueTypeILi8EEEEEPsjNS1_19radix_merge_compareILb0ELb1EsNS0_19identity_decomposerEEEEEvT0_T1_jPSH_T2_SH_.has_indirect_call, 0
	.section	.AMDGPU.csdata,"",@progbits
; Kernel info:
; codeLenInByte = 368
; TotalNumSgprs: 12
; NumVgprs: 15
; ScratchSize: 0
; MemoryBound: 0
; FloatMode: 240
; IeeeMode: 1
; LDSByteSize: 0 bytes/workgroup (compile time only)
; SGPRBlocks: 1
; VGPRBlocks: 3
; NumSGPRsForWavesPerEU: 12
; NumVGPRsForWavesPerEU: 15
; Occupancy: 10
; WaveLimiterHint : 0
; COMPUTE_PGM_RSRC2:SCRATCH_EN: 0
; COMPUTE_PGM_RSRC2:USER_SGPR: 6
; COMPUTE_PGM_RSRC2:TRAP_HANDLER: 0
; COMPUTE_PGM_RSRC2:TGID_X_EN: 1
; COMPUTE_PGM_RSRC2:TGID_Y_EN: 0
; COMPUTE_PGM_RSRC2:TGID_Z_EN: 0
; COMPUTE_PGM_RSRC2:TIDIG_COMP_CNT: 0
	.section	.text._ZN7rocprim17ROCPRIM_304000_NS6detail35device_block_merge_mergepath_kernelINS1_37wrapped_merge_sort_block_merge_configINS0_14default_configEsN2at4cuda3cub6detail10OpaqueTypeILi8EEEEEPsSC_PSA_SD_jNS1_19radix_merge_compareILb0ELb1EsNS0_19identity_decomposerEEEEEvT0_T1_T2_T3_T4_SL_jT5_PKSL_NS1_7vsmem_tE,"axG",@progbits,_ZN7rocprim17ROCPRIM_304000_NS6detail35device_block_merge_mergepath_kernelINS1_37wrapped_merge_sort_block_merge_configINS0_14default_configEsN2at4cuda3cub6detail10OpaqueTypeILi8EEEEEPsSC_PSA_SD_jNS1_19radix_merge_compareILb0ELb1EsNS0_19identity_decomposerEEEEEvT0_T1_T2_T3_T4_SL_jT5_PKSL_NS1_7vsmem_tE,comdat
	.protected	_ZN7rocprim17ROCPRIM_304000_NS6detail35device_block_merge_mergepath_kernelINS1_37wrapped_merge_sort_block_merge_configINS0_14default_configEsN2at4cuda3cub6detail10OpaqueTypeILi8EEEEEPsSC_PSA_SD_jNS1_19radix_merge_compareILb0ELb1EsNS0_19identity_decomposerEEEEEvT0_T1_T2_T3_T4_SL_jT5_PKSL_NS1_7vsmem_tE ; -- Begin function _ZN7rocprim17ROCPRIM_304000_NS6detail35device_block_merge_mergepath_kernelINS1_37wrapped_merge_sort_block_merge_configINS0_14default_configEsN2at4cuda3cub6detail10OpaqueTypeILi8EEEEEPsSC_PSA_SD_jNS1_19radix_merge_compareILb0ELb1EsNS0_19identity_decomposerEEEEEvT0_T1_T2_T3_T4_SL_jT5_PKSL_NS1_7vsmem_tE
	.globl	_ZN7rocprim17ROCPRIM_304000_NS6detail35device_block_merge_mergepath_kernelINS1_37wrapped_merge_sort_block_merge_configINS0_14default_configEsN2at4cuda3cub6detail10OpaqueTypeILi8EEEEEPsSC_PSA_SD_jNS1_19radix_merge_compareILb0ELb1EsNS0_19identity_decomposerEEEEEvT0_T1_T2_T3_T4_SL_jT5_PKSL_NS1_7vsmem_tE
	.p2align	8
	.type	_ZN7rocprim17ROCPRIM_304000_NS6detail35device_block_merge_mergepath_kernelINS1_37wrapped_merge_sort_block_merge_configINS0_14default_configEsN2at4cuda3cub6detail10OpaqueTypeILi8EEEEEPsSC_PSA_SD_jNS1_19radix_merge_compareILb0ELb1EsNS0_19identity_decomposerEEEEEvT0_T1_T2_T3_T4_SL_jT5_PKSL_NS1_7vsmem_tE,@function
_ZN7rocprim17ROCPRIM_304000_NS6detail35device_block_merge_mergepath_kernelINS1_37wrapped_merge_sort_block_merge_configINS0_14default_configEsN2at4cuda3cub6detail10OpaqueTypeILi8EEEEEPsSC_PSA_SD_jNS1_19radix_merge_compareILb0ELb1EsNS0_19identity_decomposerEEEEEvT0_T1_T2_T3_T4_SL_jT5_PKSL_NS1_7vsmem_tE: ; @_ZN7rocprim17ROCPRIM_304000_NS6detail35device_block_merge_mergepath_kernelINS1_37wrapped_merge_sort_block_merge_configINS0_14default_configEsN2at4cuda3cub6detail10OpaqueTypeILi8EEEEEPsSC_PSA_SD_jNS1_19radix_merge_compareILb0ELb1EsNS0_19identity_decomposerEEEEEvT0_T1_T2_T3_T4_SL_jT5_PKSL_NS1_7vsmem_tE
; %bb.0:
	s_load_dwordx2 s[10:11], s[4:5], 0x40
	s_load_dwordx4 s[20:23], s[4:5], 0x20
	s_add_u32 s2, s4, 64
	s_addc_u32 s3, s5, 0
	s_waitcnt lgkmcnt(0)
	s_mul_i32 s0, s11, s8
	s_add_i32 s0, s0, s7
	s_mul_i32 s0, s0, s10
	s_add_i32 s0, s0, s6
	s_cmp_ge_u32 s0, s22
	s_cbranch_scc1 .LBB69_105
; %bb.1:
	s_load_dwordx8 s[12:19], s[4:5], 0x0
	s_load_dwordx2 s[8:9], s[4:5], 0x30
	s_lshr_b32 s11, s20, 10
	s_cmp_lg_u32 s0, s11
	s_mov_b32 s1, 0
	s_cselect_b64 s[24:25], -1, 0
	s_lshl_b64 s[4:5], s[0:1], 2
	s_waitcnt lgkmcnt(0)
	s_add_u32 s4, s8, s4
	s_addc_u32 s5, s9, s5
	s_load_dwordx2 s[26:27], s[4:5], 0x0
	s_lshr_b32 s4, s21, 9
	s_and_b32 s4, s4, 0x7ffffe
	s_sub_i32 s4, 0, s4
	s_and_b32 s5, s0, s4
	s_lshl_b32 s7, s5, 10
	s_lshl_b32 s22, s0, 10
	;; [unrolled: 1-line block ×3, first 2 shown]
	s_sub_i32 s8, s22, s7
	s_add_i32 s5, s5, s21
	s_add_i32 s8, s5, s8
	s_waitcnt lgkmcnt(0)
	s_sub_i32 s9, s8, s26
	s_sub_i32 s8, s8, s27
	;; [unrolled: 1-line block ×3, first 2 shown]
	s_min_u32 s28, s20, s9
	s_addk_i32 s8, 0x400
	s_or_b32 s4, s0, s4
	s_min_u32 s7, s20, s5
	s_add_i32 s5, s5, s21
	s_cmp_eq_u32 s4, -1
	s_cselect_b32 s4, s5, s8
	s_cselect_b32 s5, s7, s27
	s_min_u32 s4, s4, s20
	s_mov_b32 s27, s1
	s_sub_i32 s33, s5, s26
	s_sub_i32 s34, s4, s28
	s_lshl_b64 s[8:9], s[26:27], 1
	s_add_u32 s5, s12, s8
	s_mov_b32 s29, s1
	s_addc_u32 s7, s13, s9
	s_lshl_b64 s[8:9], s[28:29], 1
	s_add_u32 s4, s12, s8
	v_mov_b32_e32 v6, 0
	global_load_dword v1, v6, s[2:3] offset:14
	s_addc_u32 s8, s13, s9
	s_cmp_lt_u32 s6, s10
	s_cselect_b32 s1, 12, 18
	s_add_u32 s2, s2, s1
	s_addc_u32 s3, s3, 0
	global_load_ushort v2, v6, s[2:3]
	s_cmp_eq_u32 s0, s11
	v_cmp_gt_u32_e32 vcc, s33, v0
	v_lshlrev_b32_e32 v9, 1, v0
	s_waitcnt vmcnt(1)
	v_lshrrev_b32_e32 v3, 16, v1
	v_and_b32_e32 v1, 0xffff, v1
	v_mul_lo_u32 v1, v1, v3
	s_waitcnt vmcnt(0)
	v_mul_lo_u32 v7, v1, v2
	v_add_u32_e32 v5, v7, v0
	s_cbranch_scc1 .LBB69_3
; %bb.2:
	v_mov_b32_e32 v1, s7
	v_add_co_u32_e64 v3, s[0:1], s5, v9
	v_subrev_u32_e32 v2, s33, v0
	v_addc_co_u32_e64 v1, s[0:1], 0, v1, s[0:1]
	v_lshlrev_b32_e32 v2, 1, v2
	v_mov_b32_e32 v4, s8
	v_add_co_u32_e64 v8, s[0:1], s4, v2
	v_addc_co_u32_e64 v2, s[0:1], 0, v4, s[0:1]
	v_cndmask_b32_e32 v2, v2, v1, vcc
	v_cndmask_b32_e32 v1, v8, v3, vcc
	global_load_ushort v4, v[1:2], off
	v_lshlrev_b64 v[1:2], 1, v[5:6]
	v_mov_b32_e32 v3, s7
	v_add_co_u32_e32 v8, vcc, s5, v1
	v_addc_co_u32_e32 v3, vcc, v3, v2, vcc
	v_subrev_co_u32_e32 v1, vcc, s33, v5
	v_mov_b32_e32 v2, v6
	v_lshlrev_b64 v[1:2], 1, v[1:2]
	v_mov_b32_e32 v10, s8
	v_add_co_u32_e64 v1, s[0:1], s4, v1
	v_addc_co_u32_e64 v2, s[0:1], v10, v2, s[0:1]
	v_cndmask_b32_e32 v2, v2, v3, vcc
	v_cndmask_b32_e32 v1, v1, v8, vcc
	global_load_ushort v8, v[1:2], off
	v_add_u32_e32 v1, v5, v7
	v_mov_b32_e32 v2, v6
	v_lshlrev_b64 v[2:3], 1, v[1:2]
	v_mov_b32_e32 v10, s7
	v_add_co_u32_e32 v11, vcc, s5, v2
	v_addc_co_u32_e32 v10, vcc, v10, v3, vcc
	v_subrev_co_u32_e32 v2, vcc, s33, v1
	v_mov_b32_e32 v3, v6
	v_lshlrev_b64 v[2:3], 1, v[2:3]
	v_mov_b32_e32 v12, s8
	v_add_co_u32_e64 v2, s[0:1], s4, v2
	v_addc_co_u32_e64 v3, s[0:1], v12, v3, s[0:1]
	v_cndmask_b32_e32 v3, v3, v10, vcc
	v_cndmask_b32_e32 v2, v2, v11, vcc
	global_load_ushort v10, v[2:3], off
	v_add_u32_e32 v1, v1, v7
	v_mov_b32_e32 v2, v6
	;; [unrolled: 15-line block ×6, first 2 shown]
	v_lshlrev_b64 v[2:3], 1, v[1:2]
	v_mov_b32_e32 v15, s7
	v_add_co_u32_e32 v16, vcc, s5, v2
	v_addc_co_u32_e32 v3, vcc, v15, v3, vcc
	v_subrev_co_u32_e32 v1, vcc, s33, v1
	v_mov_b32_e32 v2, v6
	v_lshlrev_b64 v[1:2], 1, v[1:2]
	v_mov_b32_e32 v6, s8
	v_add_co_u32_e64 v1, s[0:1], s4, v1
	v_addc_co_u32_e64 v2, s[0:1], v6, v2, s[0:1]
	v_cndmask_b32_e32 v2, v2, v3, vcc
	v_cndmask_b32_e32 v1, v1, v16, vcc
	global_load_ushort v6, v[1:2], off
	s_mov_b32 s0, 0x5040100
	s_waitcnt vmcnt(6)
	v_perm_b32 v1, v8, v4, s0
	s_waitcnt vmcnt(4)
	v_perm_b32 v2, v11, v10, s0
	s_add_i32 s21, s34, s33
	s_waitcnt vmcnt(2)
	v_perm_b32 v3, v13, v12, s0
	s_waitcnt vmcnt(0)
	v_perm_b32 v4, v6, v14, s0
	s_cbranch_execz .LBB69_4
	s_branch .LBB69_21
.LBB69_3:
                                        ; implicit-def: $vgpr1_vgpr2_vgpr3_vgpr4
                                        ; implicit-def: $sgpr21
.LBB69_4:
	s_add_i32 s21, s34, s33
	v_mov_b32_e32 v1, 0
	v_cmp_gt_u32_e32 vcc, s21, v0
	v_mov_b32_e32 v2, v1
	v_mov_b32_e32 v3, v1
	;; [unrolled: 1-line block ×3, first 2 shown]
	s_and_saveexec_b64 s[0:1], vcc
	s_cbranch_execz .LBB69_6
; %bb.5:
	v_mov_b32_e32 v2, s7
	v_add_co_u32_e32 v4, vcc, s5, v9
	v_subrev_u32_e32 v3, s33, v0
	v_addc_co_u32_e32 v2, vcc, 0, v2, vcc
	v_lshlrev_b32_e32 v3, 1, v3
	v_mov_b32_e32 v6, s8
	v_add_co_u32_e32 v8, vcc, s4, v3
	v_addc_co_u32_e32 v3, vcc, 0, v6, vcc
	v_cmp_gt_u32_e32 vcc, s33, v0
	v_cndmask_b32_e32 v3, v3, v2, vcc
	v_cndmask_b32_e32 v2, v8, v4, vcc
	global_load_ushort v2, v[2:3], off
	v_mov_b32_e32 v11, v1
	v_mov_b32_e32 v12, v1
	;; [unrolled: 1-line block ×3, first 2 shown]
	s_waitcnt vmcnt(0)
	v_and_b32_e32 v10, 0xffff, v2
	v_mov_b32_e32 v1, v10
	v_mov_b32_e32 v2, v11
	;; [unrolled: 1-line block ×4, first 2 shown]
.LBB69_6:
	s_or_b64 exec, exec, s[0:1]
	v_cmp_gt_u32_e32 vcc, s21, v5
	s_and_saveexec_b64 s[2:3], vcc
	s_cbranch_execz .LBB69_8
; %bb.7:
	v_mov_b32_e32 v6, 0
	v_lshlrev_b64 v[10:11], 1, v[5:6]
	v_mov_b32_e32 v8, s7
	v_add_co_u32_e32 v12, vcc, s5, v10
	v_addc_co_u32_e32 v8, vcc, v8, v11, vcc
	v_subrev_co_u32_e32 v10, vcc, s33, v5
	v_mov_b32_e32 v11, v6
	v_lshlrev_b64 v[10:11], 1, v[10:11]
	v_mov_b32_e32 v6, s8
	v_add_co_u32_e64 v10, s[0:1], s4, v10
	v_addc_co_u32_e64 v6, s[0:1], v6, v11, s[0:1]
	v_cndmask_b32_e32 v11, v6, v8, vcc
	v_cndmask_b32_e32 v10, v10, v12, vcc
	global_load_ushort v6, v[10:11], off
	s_mov_b32 s0, 0x5040100
	s_waitcnt vmcnt(0)
	v_perm_b32 v1, v6, v1, s0
.LBB69_8:
	s_or_b64 exec, exec, s[2:3]
	v_add_u32_e32 v5, v5, v7
	v_cmp_gt_u32_e32 vcc, s21, v5
	s_and_saveexec_b64 s[2:3], vcc
	s_cbranch_execz .LBB69_10
; %bb.9:
	v_mov_b32_e32 v6, 0
	v_lshlrev_b64 v[10:11], 1, v[5:6]
	v_mov_b32_e32 v8, s7
	v_add_co_u32_e32 v12, vcc, s5, v10
	v_addc_co_u32_e32 v8, vcc, v8, v11, vcc
	v_subrev_co_u32_e32 v10, vcc, s33, v5
	v_mov_b32_e32 v11, v6
	v_lshlrev_b64 v[10:11], 1, v[10:11]
	v_mov_b32_e32 v6, s8
	v_add_co_u32_e64 v10, s[0:1], s4, v10
	v_addc_co_u32_e64 v6, s[0:1], v6, v11, s[0:1]
	v_cndmask_b32_e32 v11, v6, v8, vcc
	v_cndmask_b32_e32 v10, v10, v12, vcc
	global_load_ushort v6, v[10:11], off
	s_mov_b32 s0, 0xffff
	s_waitcnt vmcnt(0)
	v_bfi_b32 v2, s0, v6, v2
.LBB69_10:
	s_or_b64 exec, exec, s[2:3]
	v_add_u32_e32 v5, v5, v7
	v_cmp_gt_u32_e32 vcc, s21, v5
	s_and_saveexec_b64 s[2:3], vcc
	s_cbranch_execz .LBB69_12
; %bb.11:
	v_mov_b32_e32 v6, 0
	v_lshlrev_b64 v[10:11], 1, v[5:6]
	v_mov_b32_e32 v8, s7
	v_add_co_u32_e32 v12, vcc, s5, v10
	v_addc_co_u32_e32 v8, vcc, v8, v11, vcc
	v_subrev_co_u32_e32 v10, vcc, s33, v5
	v_mov_b32_e32 v11, v6
	v_lshlrev_b64 v[10:11], 1, v[10:11]
	v_mov_b32_e32 v6, s8
	v_add_co_u32_e64 v10, s[0:1], s4, v10
	v_addc_co_u32_e64 v6, s[0:1], v6, v11, s[0:1]
	v_cndmask_b32_e32 v11, v6, v8, vcc
	v_cndmask_b32_e32 v10, v10, v12, vcc
	global_load_ushort v6, v[10:11], off
	s_mov_b32 s0, 0x5040100
	s_waitcnt vmcnt(0)
	v_perm_b32 v2, v6, v2, s0
.LBB69_12:
	s_or_b64 exec, exec, s[2:3]
	v_add_u32_e32 v5, v5, v7
	v_cmp_gt_u32_e32 vcc, s21, v5
	s_and_saveexec_b64 s[2:3], vcc
	s_cbranch_execz .LBB69_14
; %bb.13:
	v_mov_b32_e32 v6, 0
	v_lshlrev_b64 v[10:11], 1, v[5:6]
	v_mov_b32_e32 v8, s7
	v_add_co_u32_e32 v12, vcc, s5, v10
	v_addc_co_u32_e32 v8, vcc, v8, v11, vcc
	v_subrev_co_u32_e32 v10, vcc, s33, v5
	v_mov_b32_e32 v11, v6
	v_lshlrev_b64 v[10:11], 1, v[10:11]
	v_mov_b32_e32 v6, s8
	v_add_co_u32_e64 v10, s[0:1], s4, v10
	v_addc_co_u32_e64 v6, s[0:1], v6, v11, s[0:1]
	v_cndmask_b32_e32 v11, v6, v8, vcc
	v_cndmask_b32_e32 v10, v10, v12, vcc
	global_load_ushort v6, v[10:11], off
	s_mov_b32 s0, 0xffff
	s_waitcnt vmcnt(0)
	v_bfi_b32 v3, s0, v6, v3
.LBB69_14:
	s_or_b64 exec, exec, s[2:3]
	v_add_u32_e32 v5, v5, v7
	;; [unrolled: 48-line block ×3, first 2 shown]
	v_cmp_gt_u32_e32 vcc, s21, v5
	s_and_saveexec_b64 s[2:3], vcc
	s_cbranch_execz .LBB69_20
; %bb.19:
	v_mov_b32_e32 v6, 0
	v_lshlrev_b64 v[7:8], 1, v[5:6]
	v_mov_b32_e32 v10, s7
	v_add_co_u32_e32 v7, vcc, s5, v7
	v_addc_co_u32_e32 v8, vcc, v10, v8, vcc
	v_subrev_co_u32_e32 v5, vcc, s33, v5
	v_lshlrev_b64 v[5:6], 1, v[5:6]
	v_mov_b32_e32 v10, s8
	v_add_co_u32_e64 v5, s[0:1], s4, v5
	v_addc_co_u32_e64 v6, s[0:1], v10, v6, s[0:1]
	v_cndmask_b32_e32 v6, v6, v8, vcc
	v_cndmask_b32_e32 v5, v5, v7, vcc
	global_load_ushort v5, v[5:6], off
	s_mov_b32 s0, 0x5040100
	s_waitcnt vmcnt(0)
	v_perm_b32 v4, v5, v4, s0
.LBB69_20:
	s_or_b64 exec, exec, s[2:3]
.LBB69_21:
	v_lshlrev_b32_e32 v10, 3, v0
	v_min_u32_e32 v6, s21, v10
	v_sub_u32_e64 v5, v6, s34 clamp
	v_min_u32_e32 v7, s33, v6
	v_cmp_lt_u32_e32 vcc, v5, v7
	ds_write_b16 v9, v1
	ds_write_b16_d16_hi v9, v1 offset:256
	ds_write_b16 v9, v2 offset:512
	ds_write_b16_d16_hi v9, v2 offset:768
	ds_write_b16 v9, v3 offset:1024
	;; [unrolled: 2-line block ×3, first 2 shown]
	ds_write_b16_d16_hi v9, v4 offset:1792
	s_waitcnt lgkmcnt(0)
	s_barrier
	s_and_saveexec_b64 s[0:1], vcc
	s_cbranch_execz .LBB69_25
; %bb.22:
	v_lshlrev_b32_e32 v8, 1, v6
	v_lshl_add_u32 v8, s33, 1, v8
	s_mov_b64 s[2:3], 0
.LBB69_23:                              ; =>This Inner Loop Header: Depth=1
	v_add_u32_e32 v11, v7, v5
	v_lshrrev_b32_e32 v12, 1, v11
	v_not_b32_e32 v13, v12
	v_and_b32_e32 v11, -2, v11
	v_lshl_add_u32 v13, v13, 1, v8
	ds_read_u16 v11, v11
	ds_read_u16 v13, v13
	v_add_u32_e32 v14, 1, v12
	s_waitcnt lgkmcnt(1)
	v_and_b32_e32 v11, s23, v11
	s_waitcnt lgkmcnt(0)
	v_and_b32_e32 v13, s23, v13
	v_cmp_gt_i16_e32 vcc, v11, v13
	v_cndmask_b32_e32 v7, v7, v12, vcc
	v_cndmask_b32_e32 v5, v14, v5, vcc
	v_cmp_ge_u32_e32 vcc, v5, v7
	s_or_b64 s[2:3], vcc, s[2:3]
	s_andn2_b64 exec, exec, s[2:3]
	s_cbranch_execnz .LBB69_23
; %bb.24:
	s_or_b64 exec, exec, s[2:3]
.LBB69_25:
	s_or_b64 exec, exec, s[0:1]
	v_sub_u32_e32 v6, v6, v5
	v_add_u32_e32 v6, s33, v6
	v_cmp_ge_u32_e32 vcc, s33, v5
	v_cmp_ge_u32_e64 s[0:1], s21, v6
	s_or_b64 s[0:1], vcc, s[0:1]
	v_mov_b32_e32 v11, 0
	v_mov_b32_e32 v12, 0
	;; [unrolled: 1-line block ×8, first 2 shown]
	s_and_saveexec_b64 s[30:31], s[0:1]
	s_cbranch_execz .LBB69_31
; %bb.26:
	v_cmp_gt_u32_e32 vcc, s33, v5
                                        ; implicit-def: $vgpr1
	s_and_saveexec_b64 s[0:1], vcc
; %bb.27:
	v_lshlrev_b32_e32 v1, 1, v5
	ds_read_u16 v1, v1
; %bb.28:
	s_or_b64 exec, exec, s[0:1]
	v_cmp_le_u32_e64 s[0:1], s21, v6
	v_cmp_gt_u32_e64 s[2:3], s21, v6
                                        ; implicit-def: $vgpr2
	s_and_saveexec_b64 s[4:5], s[2:3]
; %bb.29:
	v_lshlrev_b32_e32 v2, 1, v6
	ds_read_u16 v2, v2
; %bb.30:
	s_or_b64 exec, exec, s[4:5]
	s_waitcnt lgkmcnt(0)
	v_and_b32_e32 v3, s23, v2
	v_and_b32_e32 v4, s23, v1
	v_cmp_le_i16_e64 s[2:3], v4, v3
	s_and_b64 s[2:3], vcc, s[2:3]
	s_or_b64 vcc, s[0:1], s[2:3]
	v_mov_b32_e32 v3, s21
	v_mov_b32_e32 v4, s33
	v_cndmask_b32_e32 v18, v6, v5, vcc
	v_cndmask_b32_e32 v7, v3, v4, vcc
	v_add_u32_e32 v8, 1, v18
	v_add_u32_e32 v7, -1, v7
	v_min_u32_e32 v7, v8, v7
	v_lshlrev_b32_e32 v7, 1, v7
	ds_read_u16 v7, v7
	v_cndmask_b32_e32 v6, v8, v6, vcc
	v_cndmask_b32_e32 v5, v5, v8, vcc
	v_cmp_gt_u32_e64 s[2:3], s33, v5
	v_cmp_le_u32_e64 s[0:1], s21, v6
	s_waitcnt lgkmcnt(0)
	v_cndmask_b32_e32 v11, v7, v2, vcc
	v_cndmask_b32_e32 v7, v1, v7, vcc
	v_and_b32_e32 v8, s23, v11
	v_and_b32_e32 v12, s23, v7
	v_cmp_le_i16_e64 s[4:5], v12, v8
	s_and_b64 s[2:3], s[2:3], s[4:5]
	s_or_b64 s[0:1], s[0:1], s[2:3]
	v_cndmask_b32_e64 v17, v6, v5, s[0:1]
	v_cndmask_b32_e64 v8, v3, v4, s[0:1]
	v_add_u32_e32 v12, 1, v17
	v_add_u32_e32 v8, -1, v8
	v_min_u32_e32 v8, v12, v8
	v_lshlrev_b32_e32 v8, 1, v8
	ds_read_u16 v8, v8
	v_cndmask_b32_e64 v6, v12, v6, s[0:1]
	v_cndmask_b32_e64 v5, v5, v12, s[0:1]
	v_cmp_gt_u32_e64 s[4:5], s33, v5
	v_cmp_le_u32_e64 s[2:3], s21, v6
	s_waitcnt lgkmcnt(0)
	v_cndmask_b32_e64 v19, v8, v11, s[0:1]
	v_cndmask_b32_e64 v8, v7, v8, s[0:1]
	v_and_b32_e32 v12, s23, v19
	v_and_b32_e32 v13, s23, v8
	v_cmp_le_i16_e64 s[6:7], v13, v12
	s_and_b64 s[4:5], s[4:5], s[6:7]
	s_or_b64 s[2:3], s[2:3], s[4:5]
	v_cndmask_b32_e64 v16, v6, v5, s[2:3]
	v_cndmask_b32_e64 v12, v3, v4, s[2:3]
	v_add_u32_e32 v13, 1, v16
	v_add_u32_e32 v12, -1, v12
	v_min_u32_e32 v12, v13, v12
	v_lshlrev_b32_e32 v12, 1, v12
	ds_read_u16 v12, v12
	v_cndmask_b32_e64 v6, v13, v6, s[2:3]
	v_cndmask_b32_e64 v5, v5, v13, s[2:3]
	v_cmp_gt_u32_e64 s[6:7], s33, v5
	v_cmp_le_u32_e64 s[4:5], s21, v6
	s_waitcnt lgkmcnt(0)
	v_cndmask_b32_e64 v20, v12, v19, s[2:3]
	v_cndmask_b32_e64 v21, v8, v12, s[2:3]
	;; [unrolled: 19-line block ×4, first 2 shown]
	v_and_b32_e32 v12, s23, v24
	v_and_b32_e32 v13, s23, v25
	v_cmp_le_i16_e64 s[12:13], v13, v12
	s_and_b64 s[10:11], s[10:11], s[12:13]
	s_or_b64 s[8:9], s[8:9], s[10:11]
	v_cndmask_b32_e64 v13, v6, v5, s[8:9]
	v_cndmask_b32_e64 v12, v3, v4, s[8:9]
	v_add_u32_e32 v26, 1, v13
	v_add_u32_e32 v12, -1, v12
	v_min_u32_e32 v12, v26, v12
	v_lshlrev_b32_e32 v12, 1, v12
	ds_read_u16 v12, v12
	v_cndmask_b32_e32 v1, v2, v1, vcc
	v_cndmask_b32_e64 v7, v11, v7, s[0:1]
	v_cndmask_b32_e64 v2, v19, v8, s[2:3]
	;; [unrolled: 1-line block ×3, first 2 shown]
	s_waitcnt lgkmcnt(0)
	v_cndmask_b32_e64 v8, v12, v24, s[8:9]
	v_cndmask_b32_e64 v11, v25, v12, s[8:9]
	v_and_b32_e32 v12, s23, v8
	v_and_b32_e32 v19, s23, v11
	v_cndmask_b32_e64 v6, v26, v6, s[8:9]
	v_cmp_gt_u32_e64 s[0:1], s33, v5
	v_cmp_le_i16_e64 s[2:3], v19, v12
	v_cmp_le_u32_e32 vcc, s21, v6
	s_and_b64 s[0:1], s[0:1], s[2:3]
	s_or_b64 vcc, vcc, s[0:1]
	v_cndmask_b32_e32 v12, v6, v5, vcc
	v_cndmask_b32_e32 v3, v3, v4, vcc
	v_add_u32_e32 v4, 1, v12
	v_add_u32_e32 v3, -1, v3
	v_min_u32_e32 v3, v4, v3
	v_lshlrev_b32_e32 v3, 1, v3
	ds_read_u16 v3, v3
	v_cndmask_b32_e64 v19, v20, v21, s[4:5]
	v_cndmask_b32_e64 v20, v22, v23, s[6:7]
	v_cndmask_b32_e32 v22, v8, v11, vcc
	v_cndmask_b32_e32 v6, v4, v6, vcc
	s_waitcnt lgkmcnt(0)
	v_cndmask_b32_e32 v8, v3, v8, vcc
	v_cndmask_b32_e32 v3, v11, v3, vcc
	;; [unrolled: 1-line block ×3, first 2 shown]
	v_and_b32_e32 v5, s23, v8
	v_and_b32_e32 v11, s23, v3
	v_cmp_gt_u32_e64 s[0:1], s33, v4
	v_cmp_le_i16_e64 s[2:3], v11, v5
	v_cmp_le_u32_e32 vcc, s21, v6
	s_and_b64 s[0:1], s[0:1], s[2:3]
	s_or_b64 vcc, vcc, s[0:1]
	v_cndmask_b32_e64 v21, v24, v25, s[8:9]
	v_cndmask_b32_e32 v3, v8, v3, vcc
	s_mov_b32 s0, 0x5040100
	v_cndmask_b32_e32 v11, v6, v4, vcc
	v_perm_b32 v4, v3, v22, s0
	v_perm_b32 v3, v21, v20, s0
	;; [unrolled: 1-line block ×4, first 2 shown]
.LBB69_31:
	s_or_b64 exec, exec, s[30:31]
	s_lshl_b64 s[0:1], s[26:27], 3
	s_add_u32 s8, s16, s0
	s_addc_u32 s9, s17, s1
	s_lshl_b64 s[0:1], s[28:29], 3
	s_add_u32 s6, s16, s0
	v_cndmask_b32_e64 v5, 0, 1, s[24:25]
	s_addc_u32 s7, s17, s1
	v_cmp_gt_u32_e64 s[4:5], s33, v0
	v_cmp_ne_u32_e64 s[0:1], 1, v5
	s_andn2_b64 vcc, exec, s[24:25]
	v_cmp_le_u32_e64 s[2:3], s33, v0
	s_barrier
	s_cbranch_vccnz .LBB69_33
; %bb.32:
	v_mov_b32_e32 v5, s9
	v_add_co_u32_e32 v7, vcc, s8, v10
	v_subrev_u32_e32 v6, s33, v0
	v_addc_co_u32_e32 v5, vcc, 0, v5, vcc
	v_lshlrev_b32_e32 v6, 3, v6
	v_mov_b32_e32 v8, s7
	v_add_co_u32_e32 v19, vcc, s6, v6
	v_addc_co_u32_e32 v6, vcc, 0, v8, vcc
	v_cndmask_b32_e64 v6, v6, v5, s[4:5]
	v_cndmask_b32_e64 v5, v19, v7, s[4:5]
	v_or_b32_e32 v7, 0x80, v0
	v_subrev_u32_e32 v8, s33, v7
	v_min_u32_e32 v8, v7, v8
	v_cmp_gt_u32_e32 vcc, s33, v7
	v_mov_b32_e32 v31, s6
	v_mov_b32_e32 v32, s8
	;; [unrolled: 1-line block ×4, first 2 shown]
	v_cndmask_b32_e32 v7, v31, v32, vcc
	v_lshlrev_b32_e32 v8, 3, v8
	v_cndmask_b32_e32 v19, v29, v30, vcc
	v_add_co_u32_e32 v7, vcc, v7, v8
	v_addc_co_u32_e32 v8, vcc, 0, v19, vcc
	v_or_b32_e32 v19, 0x100, v0
	v_subrev_u32_e32 v20, s33, v19
	v_min_u32_e32 v20, v19, v20
	v_cmp_gt_u32_e32 vcc, s33, v19
	v_cndmask_b32_e32 v19, v31, v32, vcc
	v_lshlrev_b32_e32 v20, 3, v20
	v_cndmask_b32_e32 v21, v29, v30, vcc
	v_add_co_u32_e32 v19, vcc, v19, v20
	v_addc_co_u32_e32 v20, vcc, 0, v21, vcc
	v_or_b32_e32 v21, 0x180, v0
	v_subrev_u32_e32 v22, s33, v21
	v_min_u32_e32 v22, v21, v22
	v_cmp_gt_u32_e32 vcc, s33, v21
	;; [unrolled: 9-line block ×5, first 2 shown]
	global_load_dwordx2 v[5:6], v[5:6], off
	v_cndmask_b32_e32 v27, v31, v32, vcc
	global_load_dwordx2 v[7:8], v[7:8], off
	v_lshlrev_b32_e32 v28, 3, v28
	global_load_dwordx2 v[19:20], v[19:20], off
	v_cndmask_b32_e32 v33, v29, v30, vcc
	global_load_dwordx2 v[21:22], v[21:22], off
	v_add_co_u32_e32 v27, vcc, v27, v28
	global_load_dwordx2 v[23:24], v[23:24], off
	v_addc_co_u32_e32 v28, vcc, 0, v33, vcc
	global_load_dwordx2 v[25:26], v[25:26], off
	s_nop 0
	global_load_dwordx2 v[27:28], v[27:28], off
	s_mov_b64 s[4:5], -1
	s_waitcnt vmcnt(5)
	ds_write2st64_b64 v10, v[5:6], v[7:8] offset1:2
	s_waitcnt vmcnt(3)
	ds_write2st64_b64 v10, v[19:20], v[21:22] offset0:4 offset1:6
	s_waitcnt vmcnt(1)
	ds_write2st64_b64 v10, v[23:24], v[25:26] offset0:8 offset1:10
	s_waitcnt vmcnt(0)
	ds_write_b64 v10, v[27:28] offset:6144
	v_or_b32_e32 v19, 0x380, v0
	v_subrev_u32_e32 v5, s33, v19
	v_cmp_gt_u32_e32 vcc, s33, v19
	v_min_u32_e32 v7, v19, v5
	v_cndmask_b32_e32 v6, v29, v30, vcc
	v_cndmask_b32_e32 v5, v31, v32, vcc
	s_cbranch_execz .LBB69_34
	s_branch .LBB69_67
.LBB69_33:
	s_mov_b64 s[4:5], 0
                                        ; implicit-def: $vgpr19
                                        ; implicit-def: $vgpr5_vgpr6
                                        ; implicit-def: $vgpr7
.LBB69_34:
	s_and_saveexec_b64 s[4:5], s[2:3]
	s_xor_b64 s[2:3], exec, s[4:5]
	s_cbranch_execz .LBB69_38
; %bb.35:
	v_subrev_u32_e32 v5, s33, v0
	v_cmp_gt_u32_e32 vcc, s34, v5
	s_and_saveexec_b64 s[4:5], vcc
	s_cbranch_execz .LBB69_37
; %bb.36:
	v_lshlrev_b32_e32 v5, 3, v5
	global_load_dwordx2 v[5:6], v5, s[6:7]
	s_waitcnt vmcnt(0)
	ds_write_b64 v10, v[5:6]
.LBB69_37:
	s_or_b64 exec, exec, s[4:5]
.LBB69_38:
	s_or_saveexec_b64 s[2:3], s[2:3]
	v_mad_u32_u24 v7, v0, 6, v9
	s_xor_b64 exec, exec, s[2:3]
	s_cbranch_execz .LBB69_40
; %bb.39:
	global_load_dwordx2 v[5:6], v10, s[8:9]
	s_waitcnt vmcnt(0)
	ds_write_b64 v7, v[5:6]
.LBB69_40:
	s_or_b64 exec, exec, s[2:3]
	v_or_b32_e32 v8, 0x80, v0
	v_mov_b32_e32 v5, s26
	v_cmp_le_u32_e32 vcc, s33, v8
	s_mov_b64 s[2:3], -1
	v_mov_b32_e32 v6, s27
	s_and_saveexec_b64 s[4:5], vcc
; %bb.41:
	v_subrev_u32_e32 v8, s33, v8
	v_cmp_gt_u32_e32 vcc, s34, v8
	v_mov_b32_e32 v5, s28
	v_mov_b32_e32 v6, s29
	s_orn2_b64 s[2:3], vcc, exec
; %bb.42:
	s_or_b64 exec, exec, s[4:5]
	s_and_saveexec_b64 s[4:5], s[2:3]
	s_cbranch_execz .LBB69_44
; %bb.43:
	v_lshlrev_b64 v[5:6], 3, v[5:6]
	v_mov_b32_e32 v19, s17
	v_add_co_u32_e32 v5, vcc, s16, v5
	v_addc_co_u32_e32 v6, vcc, v19, v6, vcc
	v_lshlrev_b32_e32 v8, 3, v8
	v_add_co_u32_e32 v5, vcc, v5, v8
	v_addc_co_u32_e32 v6, vcc, 0, v6, vcc
	global_load_dwordx2 v[5:6], v[5:6], off
	s_waitcnt vmcnt(0)
	ds_write_b64 v7, v[5:6] offset:1024
.LBB69_44:
	s_or_b64 exec, exec, s[4:5]
	v_or_b32_e32 v8, 0x100, v0
	v_mov_b32_e32 v5, s26
	v_cmp_le_u32_e32 vcc, s33, v8
	s_mov_b64 s[2:3], -1
	v_mov_b32_e32 v6, s27
	s_and_saveexec_b64 s[4:5], vcc
; %bb.45:
	v_subrev_u32_e32 v8, s33, v8
	v_cmp_gt_u32_e32 vcc, s34, v8
	v_mov_b32_e32 v5, s28
	v_mov_b32_e32 v6, s29
	s_orn2_b64 s[2:3], vcc, exec
; %bb.46:
	s_or_b64 exec, exec, s[4:5]
	s_and_saveexec_b64 s[4:5], s[2:3]
	s_cbranch_execz .LBB69_48
; %bb.47:
	v_lshlrev_b64 v[5:6], 3, v[5:6]
	v_mov_b32_e32 v19, s17
	v_add_co_u32_e32 v5, vcc, s16, v5
	v_addc_co_u32_e32 v6, vcc, v19, v6, vcc
	v_lshlrev_b32_e32 v8, 3, v8
	v_add_co_u32_e32 v5, vcc, v5, v8
	v_addc_co_u32_e32 v6, vcc, 0, v6, vcc
	global_load_dwordx2 v[5:6], v[5:6], off
	s_waitcnt vmcnt(0)
	ds_write_b64 v7, v[5:6] offset:2048
.LBB69_48:
	;; [unrolled: 29-line block ×6, first 2 shown]
	s_or_b64 exec, exec, s[4:5]
	v_or_b32_e32 v19, 0x380, v0
	v_mov_b32_e32 v5, s8
	v_cmp_le_u32_e32 vcc, s33, v19
	s_mov_b64 s[4:5], -1
	v_mov_b32_e32 v6, s9
	v_mov_b32_e32 v7, v19
	s_and_saveexec_b64 s[2:3], vcc
; %bb.65:
	v_subrev_u32_e32 v7, s33, v19
	v_cmp_gt_u32_e32 vcc, s34, v7
	v_mov_b32_e32 v5, s6
	v_mov_b32_e32 v6, s7
	s_orn2_b64 s[4:5], vcc, exec
; %bb.66:
	s_or_b64 exec, exec, s[2:3]
.LBB69_67:
	s_and_saveexec_b64 s[2:3], s[4:5]
	s_cbranch_execz .LBB69_69
; %bb.68:
	v_mov_b32_e32 v8, 0
	v_lshlrev_b64 v[7:8], 3, v[7:8]
	v_add_co_u32_e32 v5, vcc, v5, v7
	v_addc_co_u32_e32 v6, vcc, v6, v8, vcc
	global_load_dwordx2 v[5:6], v[5:6], off
	v_lshlrev_b32_e32 v7, 3, v19
	s_waitcnt vmcnt(0)
	ds_write_b64 v7, v[5:6]
.LBB69_69:
	s_or_b64 exec, exec, s[2:3]
	s_and_b64 vcc, exec, s[0:1]
	v_add_u32_e32 v5, s22, v10
	s_waitcnt lgkmcnt(0)
	s_barrier
	s_cbranch_vccnz .LBB69_71
; %bb.70:
	v_lshlrev_b32_e32 v19, 3, v18
	v_lshlrev_b32_e32 v21, 3, v17
	;; [unrolled: 1-line block ×7, first 2 shown]
	v_mov_b32_e32 v6, 0
	ds_read_b64 v[19:20], v19
	ds_read_b64 v[21:22], v21
	;; [unrolled: 1-line block ×7, first 2 shown]
	v_lshlrev_b64 v[7:8], 3, v[5:6]
	v_mov_b32_e32 v33, s19
	v_add_co_u32_e32 v7, vcc, s18, v7
	v_addc_co_u32_e32 v8, vcc, v33, v8, vcc
	s_mov_b64 s[0:1], -1
	s_waitcnt lgkmcnt(5)
	global_store_dwordx4 v[7:8], v[19:22], off
	s_waitcnt lgkmcnt(3)
	global_store_dwordx4 v[7:8], v[23:26], off offset:16
	s_waitcnt lgkmcnt(1)
	global_store_dwordx4 v[7:8], v[27:30], off offset:32
	s_waitcnt lgkmcnt(0)
	global_store_dwordx2 v[7:8], v[31:32], off offset:48
	s_cbranch_execz .LBB69_72
	s_branch .LBB69_89
.LBB69_71:
	s_mov_b64 s[0:1], 0
.LBB69_72:
	v_cmp_gt_u32_e32 vcc, s21, v10
	s_and_saveexec_b64 s[2:3], vcc
	s_cbranch_execz .LBB69_74
; %bb.73:
	v_lshlrev_b32_e32 v8, 3, v18
	v_mov_b32_e32 v6, 0
	ds_read_b64 v[18:19], v8
	v_lshlrev_b64 v[6:7], 3, v[5:6]
	v_mov_b32_e32 v20, s19
	v_add_co_u32_e32 v6, vcc, s18, v6
	v_addc_co_u32_e32 v7, vcc, v20, v7, vcc
	s_waitcnt lgkmcnt(0)
	global_store_dwordx2 v[6:7], v[18:19], off
.LBB69_74:
	s_or_b64 exec, exec, s[2:3]
	v_or_b32_e32 v6, 1, v10
	v_cmp_gt_u32_e32 vcc, s21, v6
	s_and_saveexec_b64 s[2:3], vcc
	s_cbranch_execz .LBB69_76
; %bb.75:
	v_lshlrev_b32_e32 v8, 3, v17
	v_mov_b32_e32 v6, 0
	ds_read_b64 v[17:18], v8
	v_lshlrev_b64 v[6:7], 3, v[5:6]
	v_mov_b32_e32 v19, s19
	v_add_co_u32_e32 v6, vcc, s18, v6
	v_addc_co_u32_e32 v7, vcc, v19, v7, vcc
	s_waitcnt lgkmcnt(0)
	global_store_dwordx2 v[6:7], v[17:18], off offset:8
.LBB69_76:
	s_or_b64 exec, exec, s[2:3]
	v_or_b32_e32 v6, 2, v10
	v_cmp_gt_u32_e32 vcc, s21, v6
	s_and_saveexec_b64 s[2:3], vcc
	s_cbranch_execz .LBB69_78
; %bb.77:
	v_lshlrev_b32_e32 v8, 3, v16
	v_mov_b32_e32 v6, 0
	ds_read_b64 v[16:17], v8
	v_lshlrev_b64 v[6:7], 3, v[5:6]
	v_mov_b32_e32 v18, s19
	v_add_co_u32_e32 v6, vcc, s18, v6
	v_addc_co_u32_e32 v7, vcc, v18, v7, vcc
	s_waitcnt lgkmcnt(0)
	global_store_dwordx2 v[6:7], v[16:17], off offset:16
.LBB69_78:
	;; [unrolled: 16-line block ×6, first 2 shown]
	s_or_b64 exec, exec, s[2:3]
	v_or_b32_e32 v6, 7, v10
	v_cmp_gt_u32_e32 vcc, s21, v6
	s_and_saveexec_b64 s[2:3], vcc
; %bb.87:
	v_mov_b32_e32 v6, 0
	s_or_b64 s[0:1], s[0:1], exec
; %bb.88:
	s_or_b64 exec, exec, s[2:3]
.LBB69_89:
	s_and_saveexec_b64 s[2:3], s[0:1]
	s_cbranch_execz .LBB69_91
; %bb.90:
	v_lshlrev_b32_e32 v7, 3, v11
	ds_read_b64 v[7:8], v7
	v_lshlrev_b64 v[5:6], 3, v[5:6]
	v_mov_b32_e32 v11, s19
	v_add_co_u32_e32 v5, vcc, s18, v5
	v_addc_co_u32_e32 v6, vcc, v11, v6, vcc
	s_waitcnt lgkmcnt(0)
	global_store_dwordx2 v[5:6], v[7:8], off offset:56
.LBB69_91:
	s_or_b64 exec, exec, s[2:3]
	v_lshrrev_b32_e32 v5, 1, v0
	v_and_b32_e32 v5, 60, v5
	v_lshl_add_u32 v5, v10, 1, v5
	s_waitcnt vmcnt(0)
	s_barrier
	s_barrier
	ds_write2_b32 v5, v1, v2 offset1:1
	ds_write2_b32 v5, v3, v4 offset0:2 offset1:3
	v_lshrrev_b32_e32 v1, 4, v0
	v_and_b32_e32 v1, 4, v1
	v_or_b32_e32 v11, 0x80, v0
	v_add_u32_e32 v12, v1, v9
	v_lshrrev_b32_e32 v1, 4, v11
	v_and_b32_e32 v1, 12, v1
	v_or_b32_e32 v10, 0x100, v0
	v_add_u32_e32 v13, v1, v9
	;; [unrolled: 4-line block ×5, first 2 shown]
	v_lshrrev_b32_e32 v1, 4, v5
	v_and_b32_e32 v1, 44, v1
	v_or_b32_e32 v4, 0x300, v0
	s_mov_b32 s23, 0
	v_add_u32_e32 v17, v1, v9
	v_lshrrev_b32_e32 v1, 4, v4
	s_lshl_b64 s[0:1], s[22:23], 1
	v_and_b32_e32 v1, 52, v1
	v_or_b32_e32 v3, 0x380, v0
	s_add_u32 s0, s14, s0
	v_add_u32_e32 v18, v1, v9
	v_lshrrev_b32_e32 v1, 4, v3
	s_addc_u32 s1, s15, s1
	v_and_b32_e32 v1, 60, v1
	v_add_u32_e32 v19, v1, v9
	v_mov_b32_e32 v2, s1
	v_add_co_u32_e32 v1, vcc, s0, v9
	v_addc_co_u32_e32 v2, vcc, 0, v2, vcc
	s_and_b64 vcc, exec, s[24:25]
	s_waitcnt lgkmcnt(0)
	s_cbranch_vccz .LBB69_93
; %bb.92:
	s_barrier
	ds_read_u16 v9, v12
	ds_read_u16 v20, v13 offset:256
	ds_read_u16 v21, v14 offset:512
	;; [unrolled: 1-line block ×7, first 2 shown]
	s_waitcnt lgkmcnt(7)
	global_store_short v[1:2], v9, off
	s_waitcnt lgkmcnt(6)
	global_store_short v[1:2], v20, off offset:256
	s_waitcnt lgkmcnt(5)
	global_store_short v[1:2], v21, off offset:512
	;; [unrolled: 2-line block ×6, first 2 shown]
	s_mov_b64 s[0:1], -1
	s_cbranch_execz .LBB69_94
	s_branch .LBB69_103
.LBB69_93:
	s_mov_b64 s[0:1], 0
                                        ; implicit-def: $vgpr7
.LBB69_94:
	s_waitcnt vmcnt(0) lgkmcnt(0)
	s_barrier
	ds_read_u16 v21, v13 offset:256
	ds_read_u16 v20, v14 offset:512
	ds_read_u16 v15, v15 offset:768
	ds_read_u16 v14, v16 offset:1024
	ds_read_u16 v13, v17 offset:1280
	ds_read_u16 v9, v18 offset:1536
	ds_read_u16 v7, v19 offset:1792
	s_sub_i32 s2, s20, s22
	v_cmp_gt_u32_e32 vcc, s2, v0
	s_and_saveexec_b64 s[0:1], vcc
	s_cbranch_execnz .LBB69_106
; %bb.95:
	s_or_b64 exec, exec, s[0:1]
	v_cmp_gt_u32_e32 vcc, s2, v11
	s_and_saveexec_b64 s[0:1], vcc
	s_cbranch_execnz .LBB69_107
.LBB69_96:
	s_or_b64 exec, exec, s[0:1]
	v_cmp_gt_u32_e32 vcc, s2, v10
	s_and_saveexec_b64 s[0:1], vcc
	s_cbranch_execnz .LBB69_108
.LBB69_97:
	s_or_b64 exec, exec, s[0:1]
	v_cmp_gt_u32_e32 vcc, s2, v8
	s_and_saveexec_b64 s[0:1], vcc
	s_cbranch_execnz .LBB69_109
.LBB69_98:
	s_or_b64 exec, exec, s[0:1]
	v_cmp_gt_u32_e32 vcc, s2, v6
	s_and_saveexec_b64 s[0:1], vcc
	s_cbranch_execnz .LBB69_110
.LBB69_99:
	s_or_b64 exec, exec, s[0:1]
	v_cmp_gt_u32_e32 vcc, s2, v5
	s_and_saveexec_b64 s[0:1], vcc
	s_cbranch_execnz .LBB69_111
.LBB69_100:
	s_or_b64 exec, exec, s[0:1]
	v_cmp_gt_u32_e32 vcc, s2, v4
	s_and_saveexec_b64 s[0:1], vcc
	s_cbranch_execz .LBB69_102
.LBB69_101:
	s_waitcnt lgkmcnt(1)
	global_store_short v[1:2], v9, off offset:1536
.LBB69_102:
	s_or_b64 exec, exec, s[0:1]
	v_cmp_gt_u32_e64 s[0:1], s2, v3
.LBB69_103:
	s_and_saveexec_b64 s[2:3], s[0:1]
	s_cbranch_execz .LBB69_105
; %bb.104:
	s_waitcnt lgkmcnt(0)
	global_store_short v[1:2], v7, off offset:1792
.LBB69_105:
	s_endpgm
.LBB69_106:
	ds_read_u16 v0, v12
	s_waitcnt lgkmcnt(0)
	global_store_short v[1:2], v0, off
	s_or_b64 exec, exec, s[0:1]
	v_cmp_gt_u32_e32 vcc, s2, v11
	s_and_saveexec_b64 s[0:1], vcc
	s_cbranch_execz .LBB69_96
.LBB69_107:
	s_waitcnt lgkmcnt(6)
	global_store_short v[1:2], v21, off offset:256
	s_or_b64 exec, exec, s[0:1]
	v_cmp_gt_u32_e32 vcc, s2, v10
	s_and_saveexec_b64 s[0:1], vcc
	s_cbranch_execz .LBB69_97
.LBB69_108:
	s_waitcnt lgkmcnt(5)
	global_store_short v[1:2], v20, off offset:512
	s_or_b64 exec, exec, s[0:1]
	v_cmp_gt_u32_e32 vcc, s2, v8
	s_and_saveexec_b64 s[0:1], vcc
	s_cbranch_execz .LBB69_98
.LBB69_109:
	s_waitcnt lgkmcnt(4)
	global_store_short v[1:2], v15, off offset:768
	s_or_b64 exec, exec, s[0:1]
	v_cmp_gt_u32_e32 vcc, s2, v6
	s_and_saveexec_b64 s[0:1], vcc
	s_cbranch_execz .LBB69_99
.LBB69_110:
	s_waitcnt lgkmcnt(3)
	global_store_short v[1:2], v14, off offset:1024
	s_or_b64 exec, exec, s[0:1]
	v_cmp_gt_u32_e32 vcc, s2, v5
	s_and_saveexec_b64 s[0:1], vcc
	s_cbranch_execz .LBB69_100
.LBB69_111:
	s_waitcnt lgkmcnt(2)
	global_store_short v[1:2], v13, off offset:1280
	s_or_b64 exec, exec, s[0:1]
	v_cmp_gt_u32_e32 vcc, s2, v4
	s_and_saveexec_b64 s[0:1], vcc
	s_cbranch_execnz .LBB69_101
	s_branch .LBB69_102
	.section	.rodata,"a",@progbits
	.p2align	6, 0x0
	.amdhsa_kernel _ZN7rocprim17ROCPRIM_304000_NS6detail35device_block_merge_mergepath_kernelINS1_37wrapped_merge_sort_block_merge_configINS0_14default_configEsN2at4cuda3cub6detail10OpaqueTypeILi8EEEEEPsSC_PSA_SD_jNS1_19radix_merge_compareILb0ELb1EsNS0_19identity_decomposerEEEEEvT0_T1_T2_T3_T4_SL_jT5_PKSL_NS1_7vsmem_tE
		.amdhsa_group_segment_fixed_size 8208
		.amdhsa_private_segment_fixed_size 0
		.amdhsa_kernarg_size 320
		.amdhsa_user_sgpr_count 6
		.amdhsa_user_sgpr_private_segment_buffer 1
		.amdhsa_user_sgpr_dispatch_ptr 0
		.amdhsa_user_sgpr_queue_ptr 0
		.amdhsa_user_sgpr_kernarg_segment_ptr 1
		.amdhsa_user_sgpr_dispatch_id 0
		.amdhsa_user_sgpr_flat_scratch_init 0
		.amdhsa_user_sgpr_private_segment_size 0
		.amdhsa_uses_dynamic_stack 0
		.amdhsa_system_sgpr_private_segment_wavefront_offset 0
		.amdhsa_system_sgpr_workgroup_id_x 1
		.amdhsa_system_sgpr_workgroup_id_y 1
		.amdhsa_system_sgpr_workgroup_id_z 1
		.amdhsa_system_sgpr_workgroup_info 0
		.amdhsa_system_vgpr_workitem_id 0
		.amdhsa_next_free_vgpr 49
		.amdhsa_next_free_sgpr 98
		.amdhsa_reserve_vcc 1
		.amdhsa_reserve_flat_scratch 0
		.amdhsa_float_round_mode_32 0
		.amdhsa_float_round_mode_16_64 0
		.amdhsa_float_denorm_mode_32 3
		.amdhsa_float_denorm_mode_16_64 3
		.amdhsa_dx10_clamp 1
		.amdhsa_ieee_mode 1
		.amdhsa_fp16_overflow 0
		.amdhsa_exception_fp_ieee_invalid_op 0
		.amdhsa_exception_fp_denorm_src 0
		.amdhsa_exception_fp_ieee_div_zero 0
		.amdhsa_exception_fp_ieee_overflow 0
		.amdhsa_exception_fp_ieee_underflow 0
		.amdhsa_exception_fp_ieee_inexact 0
		.amdhsa_exception_int_div_zero 0
	.end_amdhsa_kernel
	.section	.text._ZN7rocprim17ROCPRIM_304000_NS6detail35device_block_merge_mergepath_kernelINS1_37wrapped_merge_sort_block_merge_configINS0_14default_configEsN2at4cuda3cub6detail10OpaqueTypeILi8EEEEEPsSC_PSA_SD_jNS1_19radix_merge_compareILb0ELb1EsNS0_19identity_decomposerEEEEEvT0_T1_T2_T3_T4_SL_jT5_PKSL_NS1_7vsmem_tE,"axG",@progbits,_ZN7rocprim17ROCPRIM_304000_NS6detail35device_block_merge_mergepath_kernelINS1_37wrapped_merge_sort_block_merge_configINS0_14default_configEsN2at4cuda3cub6detail10OpaqueTypeILi8EEEEEPsSC_PSA_SD_jNS1_19radix_merge_compareILb0ELb1EsNS0_19identity_decomposerEEEEEvT0_T1_T2_T3_T4_SL_jT5_PKSL_NS1_7vsmem_tE,comdat
.Lfunc_end69:
	.size	_ZN7rocprim17ROCPRIM_304000_NS6detail35device_block_merge_mergepath_kernelINS1_37wrapped_merge_sort_block_merge_configINS0_14default_configEsN2at4cuda3cub6detail10OpaqueTypeILi8EEEEEPsSC_PSA_SD_jNS1_19radix_merge_compareILb0ELb1EsNS0_19identity_decomposerEEEEEvT0_T1_T2_T3_T4_SL_jT5_PKSL_NS1_7vsmem_tE, .Lfunc_end69-_ZN7rocprim17ROCPRIM_304000_NS6detail35device_block_merge_mergepath_kernelINS1_37wrapped_merge_sort_block_merge_configINS0_14default_configEsN2at4cuda3cub6detail10OpaqueTypeILi8EEEEEPsSC_PSA_SD_jNS1_19radix_merge_compareILb0ELb1EsNS0_19identity_decomposerEEEEEvT0_T1_T2_T3_T4_SL_jT5_PKSL_NS1_7vsmem_tE
                                        ; -- End function
	.set _ZN7rocprim17ROCPRIM_304000_NS6detail35device_block_merge_mergepath_kernelINS1_37wrapped_merge_sort_block_merge_configINS0_14default_configEsN2at4cuda3cub6detail10OpaqueTypeILi8EEEEEPsSC_PSA_SD_jNS1_19radix_merge_compareILb0ELb1EsNS0_19identity_decomposerEEEEEvT0_T1_T2_T3_T4_SL_jT5_PKSL_NS1_7vsmem_tE.num_vgpr, 34
	.set _ZN7rocprim17ROCPRIM_304000_NS6detail35device_block_merge_mergepath_kernelINS1_37wrapped_merge_sort_block_merge_configINS0_14default_configEsN2at4cuda3cub6detail10OpaqueTypeILi8EEEEEPsSC_PSA_SD_jNS1_19radix_merge_compareILb0ELb1EsNS0_19identity_decomposerEEEEEvT0_T1_T2_T3_T4_SL_jT5_PKSL_NS1_7vsmem_tE.num_agpr, 0
	.set _ZN7rocprim17ROCPRIM_304000_NS6detail35device_block_merge_mergepath_kernelINS1_37wrapped_merge_sort_block_merge_configINS0_14default_configEsN2at4cuda3cub6detail10OpaqueTypeILi8EEEEEPsSC_PSA_SD_jNS1_19radix_merge_compareILb0ELb1EsNS0_19identity_decomposerEEEEEvT0_T1_T2_T3_T4_SL_jT5_PKSL_NS1_7vsmem_tE.numbered_sgpr, 35
	.set _ZN7rocprim17ROCPRIM_304000_NS6detail35device_block_merge_mergepath_kernelINS1_37wrapped_merge_sort_block_merge_configINS0_14default_configEsN2at4cuda3cub6detail10OpaqueTypeILi8EEEEEPsSC_PSA_SD_jNS1_19radix_merge_compareILb0ELb1EsNS0_19identity_decomposerEEEEEvT0_T1_T2_T3_T4_SL_jT5_PKSL_NS1_7vsmem_tE.num_named_barrier, 0
	.set _ZN7rocprim17ROCPRIM_304000_NS6detail35device_block_merge_mergepath_kernelINS1_37wrapped_merge_sort_block_merge_configINS0_14default_configEsN2at4cuda3cub6detail10OpaqueTypeILi8EEEEEPsSC_PSA_SD_jNS1_19radix_merge_compareILb0ELb1EsNS0_19identity_decomposerEEEEEvT0_T1_T2_T3_T4_SL_jT5_PKSL_NS1_7vsmem_tE.private_seg_size, 0
	.set _ZN7rocprim17ROCPRIM_304000_NS6detail35device_block_merge_mergepath_kernelINS1_37wrapped_merge_sort_block_merge_configINS0_14default_configEsN2at4cuda3cub6detail10OpaqueTypeILi8EEEEEPsSC_PSA_SD_jNS1_19radix_merge_compareILb0ELb1EsNS0_19identity_decomposerEEEEEvT0_T1_T2_T3_T4_SL_jT5_PKSL_NS1_7vsmem_tE.uses_vcc, 1
	.set _ZN7rocprim17ROCPRIM_304000_NS6detail35device_block_merge_mergepath_kernelINS1_37wrapped_merge_sort_block_merge_configINS0_14default_configEsN2at4cuda3cub6detail10OpaqueTypeILi8EEEEEPsSC_PSA_SD_jNS1_19radix_merge_compareILb0ELb1EsNS0_19identity_decomposerEEEEEvT0_T1_T2_T3_T4_SL_jT5_PKSL_NS1_7vsmem_tE.uses_flat_scratch, 0
	.set _ZN7rocprim17ROCPRIM_304000_NS6detail35device_block_merge_mergepath_kernelINS1_37wrapped_merge_sort_block_merge_configINS0_14default_configEsN2at4cuda3cub6detail10OpaqueTypeILi8EEEEEPsSC_PSA_SD_jNS1_19radix_merge_compareILb0ELb1EsNS0_19identity_decomposerEEEEEvT0_T1_T2_T3_T4_SL_jT5_PKSL_NS1_7vsmem_tE.has_dyn_sized_stack, 0
	.set _ZN7rocprim17ROCPRIM_304000_NS6detail35device_block_merge_mergepath_kernelINS1_37wrapped_merge_sort_block_merge_configINS0_14default_configEsN2at4cuda3cub6detail10OpaqueTypeILi8EEEEEPsSC_PSA_SD_jNS1_19radix_merge_compareILb0ELb1EsNS0_19identity_decomposerEEEEEvT0_T1_T2_T3_T4_SL_jT5_PKSL_NS1_7vsmem_tE.has_recursion, 0
	.set _ZN7rocprim17ROCPRIM_304000_NS6detail35device_block_merge_mergepath_kernelINS1_37wrapped_merge_sort_block_merge_configINS0_14default_configEsN2at4cuda3cub6detail10OpaqueTypeILi8EEEEEPsSC_PSA_SD_jNS1_19radix_merge_compareILb0ELb1EsNS0_19identity_decomposerEEEEEvT0_T1_T2_T3_T4_SL_jT5_PKSL_NS1_7vsmem_tE.has_indirect_call, 0
	.section	.AMDGPU.csdata,"",@progbits
; Kernel info:
; codeLenInByte = 6168
; TotalNumSgprs: 39
; NumVgprs: 34
; ScratchSize: 0
; MemoryBound: 0
; FloatMode: 240
; IeeeMode: 1
; LDSByteSize: 8208 bytes/workgroup (compile time only)
; SGPRBlocks: 12
; VGPRBlocks: 12
; NumSGPRsForWavesPerEU: 102
; NumVGPRsForWavesPerEU: 49
; Occupancy: 4
; WaveLimiterHint : 1
; COMPUTE_PGM_RSRC2:SCRATCH_EN: 0
; COMPUTE_PGM_RSRC2:USER_SGPR: 6
; COMPUTE_PGM_RSRC2:TRAP_HANDLER: 0
; COMPUTE_PGM_RSRC2:TGID_X_EN: 1
; COMPUTE_PGM_RSRC2:TGID_Y_EN: 1
; COMPUTE_PGM_RSRC2:TGID_Z_EN: 1
; COMPUTE_PGM_RSRC2:TIDIG_COMP_CNT: 0
	.section	.text._ZN7rocprim17ROCPRIM_304000_NS6detail33device_block_merge_oddeven_kernelINS1_37wrapped_merge_sort_block_merge_configINS0_14default_configEsN2at4cuda3cub6detail10OpaqueTypeILi8EEEEEPsSC_PSA_SD_jNS1_19radix_merge_compareILb0ELb1EsNS0_19identity_decomposerEEEEEvT0_T1_T2_T3_T4_SL_T5_,"axG",@progbits,_ZN7rocprim17ROCPRIM_304000_NS6detail33device_block_merge_oddeven_kernelINS1_37wrapped_merge_sort_block_merge_configINS0_14default_configEsN2at4cuda3cub6detail10OpaqueTypeILi8EEEEEPsSC_PSA_SD_jNS1_19radix_merge_compareILb0ELb1EsNS0_19identity_decomposerEEEEEvT0_T1_T2_T3_T4_SL_T5_,comdat
	.protected	_ZN7rocprim17ROCPRIM_304000_NS6detail33device_block_merge_oddeven_kernelINS1_37wrapped_merge_sort_block_merge_configINS0_14default_configEsN2at4cuda3cub6detail10OpaqueTypeILi8EEEEEPsSC_PSA_SD_jNS1_19radix_merge_compareILb0ELb1EsNS0_19identity_decomposerEEEEEvT0_T1_T2_T3_T4_SL_T5_ ; -- Begin function _ZN7rocprim17ROCPRIM_304000_NS6detail33device_block_merge_oddeven_kernelINS1_37wrapped_merge_sort_block_merge_configINS0_14default_configEsN2at4cuda3cub6detail10OpaqueTypeILi8EEEEEPsSC_PSA_SD_jNS1_19radix_merge_compareILb0ELb1EsNS0_19identity_decomposerEEEEEvT0_T1_T2_T3_T4_SL_T5_
	.globl	_ZN7rocprim17ROCPRIM_304000_NS6detail33device_block_merge_oddeven_kernelINS1_37wrapped_merge_sort_block_merge_configINS0_14default_configEsN2at4cuda3cub6detail10OpaqueTypeILi8EEEEEPsSC_PSA_SD_jNS1_19radix_merge_compareILb0ELb1EsNS0_19identity_decomposerEEEEEvT0_T1_T2_T3_T4_SL_T5_
	.p2align	8
	.type	_ZN7rocprim17ROCPRIM_304000_NS6detail33device_block_merge_oddeven_kernelINS1_37wrapped_merge_sort_block_merge_configINS0_14default_configEsN2at4cuda3cub6detail10OpaqueTypeILi8EEEEEPsSC_PSA_SD_jNS1_19radix_merge_compareILb0ELb1EsNS0_19identity_decomposerEEEEEvT0_T1_T2_T3_T4_SL_T5_,@function
_ZN7rocprim17ROCPRIM_304000_NS6detail33device_block_merge_oddeven_kernelINS1_37wrapped_merge_sort_block_merge_configINS0_14default_configEsN2at4cuda3cub6detail10OpaqueTypeILi8EEEEEPsSC_PSA_SD_jNS1_19radix_merge_compareILb0ELb1EsNS0_19identity_decomposerEEEEEvT0_T1_T2_T3_T4_SL_T5_: ; @_ZN7rocprim17ROCPRIM_304000_NS6detail33device_block_merge_oddeven_kernelINS1_37wrapped_merge_sort_block_merge_configINS0_14default_configEsN2at4cuda3cub6detail10OpaqueTypeILi8EEEEEPsSC_PSA_SD_jNS1_19radix_merge_compareILb0ELb1EsNS0_19identity_decomposerEEEEEvT0_T1_T2_T3_T4_SL_T5_
; %bb.0:
	s_load_dwordx4 s[16:19], s[4:5], 0x20
	s_waitcnt lgkmcnt(0)
	s_lshr_b32 s0, s16, 8
	s_cmp_eq_u32 s6, s0
	s_cselect_b64 s[20:21], -1, 0
	s_cmp_lg_u32 s6, s0
	s_cselect_b64 s[0:1], -1, 0
	s_lshl_b32 s22, s6, 8
	s_sub_i32 s2, s16, s22
	v_cmp_gt_u32_e64 s[2:3], s2, v0
	s_or_b64 s[0:1], s[0:1], s[2:3]
	s_and_saveexec_b64 s[8:9], s[0:1]
	s_cbranch_execz .LBB70_24
; %bb.1:
	s_load_dwordx8 s[8:15], s[4:5], 0x0
	s_mov_b32 s23, 0
	s_lshl_b64 s[0:1], s[22:23], 1
	v_lshlrev_b32_e32 v4, 3, v0
	v_lshlrev_b32_e32 v3, 1, v0
	s_waitcnt lgkmcnt(0)
	s_add_u32 s0, s8, s0
	s_addc_u32 s1, s9, s1
	s_lshl_b64 s[4:5], s[22:23], 3
	s_add_u32 s4, s12, s4
	s_addc_u32 s5, s13, s5
	global_load_dwordx2 v[1:2], v4, s[4:5]
	global_load_ushort v5, v3, s[0:1]
	s_lshr_b32 s0, s17, 8
	s_sub_i32 s1, 0, s0
	s_and_b32 s1, s6, s1
	s_and_b32 s0, s1, s0
	s_lshl_b32 s13, s1, 8
	s_sub_i32 s6, 0, s17
	s_cmp_eq_u32 s0, 0
	s_cselect_b64 s[0:1], -1, 0
	s_and_b64 s[4:5], s[0:1], exec
	s_cselect_b32 s6, s17, s6
	s_add_i32 s6, s6, s13
	s_mov_b64 s[4:5], -1
	s_cmp_gt_u32 s16, s6
	v_add_u32_e32 v3, s22, v0
	s_cbranch_scc1 .LBB70_9
; %bb.2:
	s_and_b64 vcc, exec, s[20:21]
	s_cbranch_vccz .LBB70_6
; %bb.3:
	v_cmp_gt_u32_e32 vcc, s16, v3
	s_and_saveexec_b64 s[4:5], vcc
	s_cbranch_execz .LBB70_5
; %bb.4:
	v_mov_b32_e32 v4, 0
	v_lshlrev_b64 v[6:7], 3, v[3:4]
	v_mov_b32_e32 v0, s15
	v_add_co_u32_e32 v6, vcc, s14, v6
	v_lshlrev_b64 v[8:9], 1, v[3:4]
	v_addc_co_u32_e32 v7, vcc, v0, v7, vcc
	v_mov_b32_e32 v0, s11
	v_add_co_u32_e32 v8, vcc, s10, v8
	v_addc_co_u32_e32 v9, vcc, v0, v9, vcc
	s_waitcnt vmcnt(0)
	global_store_short v[8:9], v5, off
	global_store_dwordx2 v[6:7], v[1:2], off
.LBB70_5:
	s_or_b64 exec, exec, s[4:5]
	s_mov_b64 s[4:5], 0
.LBB70_6:
	s_andn2_b64 vcc, exec, s[4:5]
	s_cbranch_vccnz .LBB70_8
; %bb.7:
	v_mov_b32_e32 v4, 0
	v_lshlrev_b64 v[6:7], 1, v[3:4]
	v_mov_b32_e32 v0, s11
	v_add_co_u32_e32 v6, vcc, s10, v6
	v_lshlrev_b64 v[8:9], 3, v[3:4]
	v_addc_co_u32_e32 v7, vcc, v0, v7, vcc
	v_mov_b32_e32 v0, s15
	v_add_co_u32_e32 v8, vcc, s14, v8
	v_addc_co_u32_e32 v9, vcc, v0, v9, vcc
	s_waitcnt vmcnt(0)
	global_store_short v[6:7], v5, off
	global_store_dwordx2 v[8:9], v[1:2], off
.LBB70_8:
	s_mov_b64 s[4:5], 0
.LBB70_9:
	s_andn2_b64 vcc, exec, s[4:5]
	s_cbranch_vccnz .LBB70_24
; %bb.10:
	s_min_u32 s7, s6, s16
	s_add_i32 s4, s7, s17
	s_min_u32 s12, s4, s16
	s_min_u32 s4, s13, s7
	s_add_i32 s13, s13, s7
	v_subrev_u32_e32 v0, s13, v3
	v_add_u32_e32 v0, s4, v0
	s_waitcnt vmcnt(0)
	v_and_b32_e32 v3, s18, v5
	s_mov_b64 s[4:5], -1
	s_and_b64 vcc, exec, s[20:21]
	s_cbranch_vccz .LBB70_18
; %bb.11:
	s_and_saveexec_b64 s[4:5], s[2:3]
	s_cbranch_execz .LBB70_17
; %bb.12:
	s_cmp_ge_u32 s6, s12
	v_mov_b32_e32 v4, s7
	s_cbranch_scc1 .LBB70_16
; %bb.13:
	s_mov_b64 s[2:3], 0
	v_mov_b32_e32 v6, s12
	v_mov_b32_e32 v4, s7
.LBB70_14:                              ; =>This Inner Loop Header: Depth=1
	v_add_u32_e32 v7, v4, v6
	v_and_b32_e32 v8, -2, v7
	global_load_ushort v8, v8, s[8:9]
	v_lshrrev_b32_e32 v7, 1, v7
	v_add_u32_e32 v9, 1, v7
	s_waitcnt vmcnt(0)
	v_and_b32_e32 v8, s18, v8
	v_cmp_gt_i16_e32 vcc, v3, v8
	v_cndmask_b32_e64 v10, 0, 1, vcc
	v_cmp_le_i16_e32 vcc, v8, v3
	v_cndmask_b32_e64 v8, 0, 1, vcc
	v_cndmask_b32_e64 v8, v8, v10, s[0:1]
	v_and_b32_e32 v8, 1, v8
	v_cmp_eq_u32_e32 vcc, 1, v8
	v_cndmask_b32_e32 v6, v7, v6, vcc
	v_cndmask_b32_e32 v4, v4, v9, vcc
	v_cmp_ge_u32_e32 vcc, v4, v6
	s_or_b64 s[2:3], vcc, s[2:3]
	s_andn2_b64 exec, exec, s[2:3]
	s_cbranch_execnz .LBB70_14
; %bb.15:
	s_or_b64 exec, exec, s[2:3]
.LBB70_16:
	v_add_u32_e32 v6, v4, v0
	v_mov_b32_e32 v7, 0
	v_lshlrev_b64 v[8:9], 1, v[6:7]
	v_mov_b32_e32 v4, s11
	v_add_co_u32_e32 v8, vcc, s10, v8
	v_lshlrev_b64 v[6:7], 3, v[6:7]
	v_addc_co_u32_e32 v9, vcc, v4, v9, vcc
	v_mov_b32_e32 v4, s15
	v_add_co_u32_e32 v6, vcc, s14, v6
	v_addc_co_u32_e32 v7, vcc, v4, v7, vcc
	global_store_short v[8:9], v5, off
	global_store_dwordx2 v[6:7], v[1:2], off
.LBB70_17:
	s_or_b64 exec, exec, s[4:5]
	s_mov_b64 s[4:5], 0
.LBB70_18:
	s_andn2_b64 vcc, exec, s[4:5]
	s_cbranch_vccnz .LBB70_24
; %bb.19:
	s_cmp_ge_u32 s6, s12
	v_mov_b32_e32 v4, s7
	s_cbranch_scc1 .LBB70_23
; %bb.20:
	s_mov_b64 s[2:3], 0
	v_mov_b32_e32 v6, s12
	v_mov_b32_e32 v4, s7
.LBB70_21:                              ; =>This Inner Loop Header: Depth=1
	v_add_u32_e32 v7, v4, v6
	v_and_b32_e32 v8, -2, v7
	global_load_ushort v8, v8, s[8:9]
	v_lshrrev_b32_e32 v7, 1, v7
	v_add_u32_e32 v9, 1, v7
	s_waitcnt vmcnt(0)
	v_and_b32_e32 v8, s18, v8
	v_cmp_gt_i16_e32 vcc, v3, v8
	v_cndmask_b32_e64 v10, 0, 1, vcc
	v_cmp_le_i16_e32 vcc, v8, v3
	v_cndmask_b32_e64 v8, 0, 1, vcc
	v_cndmask_b32_e64 v8, v8, v10, s[0:1]
	v_and_b32_e32 v8, 1, v8
	v_cmp_eq_u32_e32 vcc, 1, v8
	v_cndmask_b32_e32 v6, v7, v6, vcc
	v_cndmask_b32_e32 v4, v4, v9, vcc
	v_cmp_ge_u32_e32 vcc, v4, v6
	s_or_b64 s[2:3], vcc, s[2:3]
	s_andn2_b64 exec, exec, s[2:3]
	s_cbranch_execnz .LBB70_21
; %bb.22:
	s_or_b64 exec, exec, s[2:3]
.LBB70_23:
	v_add_u32_e32 v3, v4, v0
	v_mov_b32_e32 v4, 0
	v_lshlrev_b64 v[6:7], 1, v[3:4]
	v_mov_b32_e32 v0, s11
	v_add_co_u32_e32 v6, vcc, s10, v6
	v_lshlrev_b64 v[3:4], 3, v[3:4]
	v_addc_co_u32_e32 v7, vcc, v0, v7, vcc
	v_mov_b32_e32 v0, s15
	v_add_co_u32_e32 v3, vcc, s14, v3
	v_addc_co_u32_e32 v4, vcc, v0, v4, vcc
	global_store_short v[6:7], v5, off
	global_store_dwordx2 v[3:4], v[1:2], off
.LBB70_24:
	s_endpgm
	.section	.rodata,"a",@progbits
	.p2align	6, 0x0
	.amdhsa_kernel _ZN7rocprim17ROCPRIM_304000_NS6detail33device_block_merge_oddeven_kernelINS1_37wrapped_merge_sort_block_merge_configINS0_14default_configEsN2at4cuda3cub6detail10OpaqueTypeILi8EEEEEPsSC_PSA_SD_jNS1_19radix_merge_compareILb0ELb1EsNS0_19identity_decomposerEEEEEvT0_T1_T2_T3_T4_SL_T5_
		.amdhsa_group_segment_fixed_size 0
		.amdhsa_private_segment_fixed_size 0
		.amdhsa_kernarg_size 44
		.amdhsa_user_sgpr_count 6
		.amdhsa_user_sgpr_private_segment_buffer 1
		.amdhsa_user_sgpr_dispatch_ptr 0
		.amdhsa_user_sgpr_queue_ptr 0
		.amdhsa_user_sgpr_kernarg_segment_ptr 1
		.amdhsa_user_sgpr_dispatch_id 0
		.amdhsa_user_sgpr_flat_scratch_init 0
		.amdhsa_user_sgpr_private_segment_size 0
		.amdhsa_uses_dynamic_stack 0
		.amdhsa_system_sgpr_private_segment_wavefront_offset 0
		.amdhsa_system_sgpr_workgroup_id_x 1
		.amdhsa_system_sgpr_workgroup_id_y 0
		.amdhsa_system_sgpr_workgroup_id_z 0
		.amdhsa_system_sgpr_workgroup_info 0
		.amdhsa_system_vgpr_workitem_id 0
		.amdhsa_next_free_vgpr 11
		.amdhsa_next_free_sgpr 24
		.amdhsa_reserve_vcc 1
		.amdhsa_reserve_flat_scratch 0
		.amdhsa_float_round_mode_32 0
		.amdhsa_float_round_mode_16_64 0
		.amdhsa_float_denorm_mode_32 3
		.amdhsa_float_denorm_mode_16_64 3
		.amdhsa_dx10_clamp 1
		.amdhsa_ieee_mode 1
		.amdhsa_fp16_overflow 0
		.amdhsa_exception_fp_ieee_invalid_op 0
		.amdhsa_exception_fp_denorm_src 0
		.amdhsa_exception_fp_ieee_div_zero 0
		.amdhsa_exception_fp_ieee_overflow 0
		.amdhsa_exception_fp_ieee_underflow 0
		.amdhsa_exception_fp_ieee_inexact 0
		.amdhsa_exception_int_div_zero 0
	.end_amdhsa_kernel
	.section	.text._ZN7rocprim17ROCPRIM_304000_NS6detail33device_block_merge_oddeven_kernelINS1_37wrapped_merge_sort_block_merge_configINS0_14default_configEsN2at4cuda3cub6detail10OpaqueTypeILi8EEEEEPsSC_PSA_SD_jNS1_19radix_merge_compareILb0ELb1EsNS0_19identity_decomposerEEEEEvT0_T1_T2_T3_T4_SL_T5_,"axG",@progbits,_ZN7rocprim17ROCPRIM_304000_NS6detail33device_block_merge_oddeven_kernelINS1_37wrapped_merge_sort_block_merge_configINS0_14default_configEsN2at4cuda3cub6detail10OpaqueTypeILi8EEEEEPsSC_PSA_SD_jNS1_19radix_merge_compareILb0ELb1EsNS0_19identity_decomposerEEEEEvT0_T1_T2_T3_T4_SL_T5_,comdat
.Lfunc_end70:
	.size	_ZN7rocprim17ROCPRIM_304000_NS6detail33device_block_merge_oddeven_kernelINS1_37wrapped_merge_sort_block_merge_configINS0_14default_configEsN2at4cuda3cub6detail10OpaqueTypeILi8EEEEEPsSC_PSA_SD_jNS1_19radix_merge_compareILb0ELb1EsNS0_19identity_decomposerEEEEEvT0_T1_T2_T3_T4_SL_T5_, .Lfunc_end70-_ZN7rocprim17ROCPRIM_304000_NS6detail33device_block_merge_oddeven_kernelINS1_37wrapped_merge_sort_block_merge_configINS0_14default_configEsN2at4cuda3cub6detail10OpaqueTypeILi8EEEEEPsSC_PSA_SD_jNS1_19radix_merge_compareILb0ELb1EsNS0_19identity_decomposerEEEEEvT0_T1_T2_T3_T4_SL_T5_
                                        ; -- End function
	.set _ZN7rocprim17ROCPRIM_304000_NS6detail33device_block_merge_oddeven_kernelINS1_37wrapped_merge_sort_block_merge_configINS0_14default_configEsN2at4cuda3cub6detail10OpaqueTypeILi8EEEEEPsSC_PSA_SD_jNS1_19radix_merge_compareILb0ELb1EsNS0_19identity_decomposerEEEEEvT0_T1_T2_T3_T4_SL_T5_.num_vgpr, 11
	.set _ZN7rocprim17ROCPRIM_304000_NS6detail33device_block_merge_oddeven_kernelINS1_37wrapped_merge_sort_block_merge_configINS0_14default_configEsN2at4cuda3cub6detail10OpaqueTypeILi8EEEEEPsSC_PSA_SD_jNS1_19radix_merge_compareILb0ELb1EsNS0_19identity_decomposerEEEEEvT0_T1_T2_T3_T4_SL_T5_.num_agpr, 0
	.set _ZN7rocprim17ROCPRIM_304000_NS6detail33device_block_merge_oddeven_kernelINS1_37wrapped_merge_sort_block_merge_configINS0_14default_configEsN2at4cuda3cub6detail10OpaqueTypeILi8EEEEEPsSC_PSA_SD_jNS1_19radix_merge_compareILb0ELb1EsNS0_19identity_decomposerEEEEEvT0_T1_T2_T3_T4_SL_T5_.numbered_sgpr, 24
	.set _ZN7rocprim17ROCPRIM_304000_NS6detail33device_block_merge_oddeven_kernelINS1_37wrapped_merge_sort_block_merge_configINS0_14default_configEsN2at4cuda3cub6detail10OpaqueTypeILi8EEEEEPsSC_PSA_SD_jNS1_19radix_merge_compareILb0ELb1EsNS0_19identity_decomposerEEEEEvT0_T1_T2_T3_T4_SL_T5_.num_named_barrier, 0
	.set _ZN7rocprim17ROCPRIM_304000_NS6detail33device_block_merge_oddeven_kernelINS1_37wrapped_merge_sort_block_merge_configINS0_14default_configEsN2at4cuda3cub6detail10OpaqueTypeILi8EEEEEPsSC_PSA_SD_jNS1_19radix_merge_compareILb0ELb1EsNS0_19identity_decomposerEEEEEvT0_T1_T2_T3_T4_SL_T5_.private_seg_size, 0
	.set _ZN7rocprim17ROCPRIM_304000_NS6detail33device_block_merge_oddeven_kernelINS1_37wrapped_merge_sort_block_merge_configINS0_14default_configEsN2at4cuda3cub6detail10OpaqueTypeILi8EEEEEPsSC_PSA_SD_jNS1_19radix_merge_compareILb0ELb1EsNS0_19identity_decomposerEEEEEvT0_T1_T2_T3_T4_SL_T5_.uses_vcc, 1
	.set _ZN7rocprim17ROCPRIM_304000_NS6detail33device_block_merge_oddeven_kernelINS1_37wrapped_merge_sort_block_merge_configINS0_14default_configEsN2at4cuda3cub6detail10OpaqueTypeILi8EEEEEPsSC_PSA_SD_jNS1_19radix_merge_compareILb0ELb1EsNS0_19identity_decomposerEEEEEvT0_T1_T2_T3_T4_SL_T5_.uses_flat_scratch, 0
	.set _ZN7rocprim17ROCPRIM_304000_NS6detail33device_block_merge_oddeven_kernelINS1_37wrapped_merge_sort_block_merge_configINS0_14default_configEsN2at4cuda3cub6detail10OpaqueTypeILi8EEEEEPsSC_PSA_SD_jNS1_19radix_merge_compareILb0ELb1EsNS0_19identity_decomposerEEEEEvT0_T1_T2_T3_T4_SL_T5_.has_dyn_sized_stack, 0
	.set _ZN7rocprim17ROCPRIM_304000_NS6detail33device_block_merge_oddeven_kernelINS1_37wrapped_merge_sort_block_merge_configINS0_14default_configEsN2at4cuda3cub6detail10OpaqueTypeILi8EEEEEPsSC_PSA_SD_jNS1_19radix_merge_compareILb0ELb1EsNS0_19identity_decomposerEEEEEvT0_T1_T2_T3_T4_SL_T5_.has_recursion, 0
	.set _ZN7rocprim17ROCPRIM_304000_NS6detail33device_block_merge_oddeven_kernelINS1_37wrapped_merge_sort_block_merge_configINS0_14default_configEsN2at4cuda3cub6detail10OpaqueTypeILi8EEEEEPsSC_PSA_SD_jNS1_19radix_merge_compareILb0ELb1EsNS0_19identity_decomposerEEEEEvT0_T1_T2_T3_T4_SL_T5_.has_indirect_call, 0
	.section	.AMDGPU.csdata,"",@progbits
; Kernel info:
; codeLenInByte = 812
; TotalNumSgprs: 28
; NumVgprs: 11
; ScratchSize: 0
; MemoryBound: 0
; FloatMode: 240
; IeeeMode: 1
; LDSByteSize: 0 bytes/workgroup (compile time only)
; SGPRBlocks: 3
; VGPRBlocks: 2
; NumSGPRsForWavesPerEU: 28
; NumVGPRsForWavesPerEU: 11
; Occupancy: 10
; WaveLimiterHint : 0
; COMPUTE_PGM_RSRC2:SCRATCH_EN: 0
; COMPUTE_PGM_RSRC2:USER_SGPR: 6
; COMPUTE_PGM_RSRC2:TRAP_HANDLER: 0
; COMPUTE_PGM_RSRC2:TGID_X_EN: 1
; COMPUTE_PGM_RSRC2:TGID_Y_EN: 0
; COMPUTE_PGM_RSRC2:TGID_Z_EN: 0
; COMPUTE_PGM_RSRC2:TIDIG_COMP_CNT: 0
	.section	.text._ZN7rocprim17ROCPRIM_304000_NS6detail26onesweep_histograms_kernelINS1_34wrapped_radix_sort_onesweep_configINS0_14default_configEsN2at4cuda3cub6detail10OpaqueTypeILi8EEEEELb0EPKsmNS0_19identity_decomposerEEEvT1_PT2_SG_SG_T3_jj,"axG",@progbits,_ZN7rocprim17ROCPRIM_304000_NS6detail26onesweep_histograms_kernelINS1_34wrapped_radix_sort_onesweep_configINS0_14default_configEsN2at4cuda3cub6detail10OpaqueTypeILi8EEEEELb0EPKsmNS0_19identity_decomposerEEEvT1_PT2_SG_SG_T3_jj,comdat
	.protected	_ZN7rocprim17ROCPRIM_304000_NS6detail26onesweep_histograms_kernelINS1_34wrapped_radix_sort_onesweep_configINS0_14default_configEsN2at4cuda3cub6detail10OpaqueTypeILi8EEEEELb0EPKsmNS0_19identity_decomposerEEEvT1_PT2_SG_SG_T3_jj ; -- Begin function _ZN7rocprim17ROCPRIM_304000_NS6detail26onesweep_histograms_kernelINS1_34wrapped_radix_sort_onesweep_configINS0_14default_configEsN2at4cuda3cub6detail10OpaqueTypeILi8EEEEELb0EPKsmNS0_19identity_decomposerEEEvT1_PT2_SG_SG_T3_jj
	.globl	_ZN7rocprim17ROCPRIM_304000_NS6detail26onesweep_histograms_kernelINS1_34wrapped_radix_sort_onesweep_configINS0_14default_configEsN2at4cuda3cub6detail10OpaqueTypeILi8EEEEELb0EPKsmNS0_19identity_decomposerEEEvT1_PT2_SG_SG_T3_jj
	.p2align	8
	.type	_ZN7rocprim17ROCPRIM_304000_NS6detail26onesweep_histograms_kernelINS1_34wrapped_radix_sort_onesweep_configINS0_14default_configEsN2at4cuda3cub6detail10OpaqueTypeILi8EEEEELb0EPKsmNS0_19identity_decomposerEEEvT1_PT2_SG_SG_T3_jj,@function
_ZN7rocprim17ROCPRIM_304000_NS6detail26onesweep_histograms_kernelINS1_34wrapped_radix_sort_onesweep_configINS0_14default_configEsN2at4cuda3cub6detail10OpaqueTypeILi8EEEEELb0EPKsmNS0_19identity_decomposerEEEvT1_PT2_SG_SG_T3_jj: ; @_ZN7rocprim17ROCPRIM_304000_NS6detail26onesweep_histograms_kernelINS1_34wrapped_radix_sort_onesweep_configINS0_14default_configEsN2at4cuda3cub6detail10OpaqueTypeILi8EEEEELb0EPKsmNS0_19identity_decomposerEEEvT1_PT2_SG_SG_T3_jj
; %bb.0:
	s_load_dwordx8 s[24:31], s[4:5], 0x0
	s_load_dwordx2 s[34:35], s[4:5], 0x24
	v_mov_b32_e32 v1, 0
	v_mov_b32_e32 v2, s6
	;; [unrolled: 1-line block ×3, first 2 shown]
	s_waitcnt lgkmcnt(0)
	v_cmp_le_u64_e32 vcc, s[30:31], v[2:3]
	s_mul_hi_u32 s0, s6, 0x1800
	s_mulk_i32 s6, 0x1800
	s_add_u32 s24, s24, s6
	s_addc_u32 s25, s25, s0
	s_mov_b64 s[0:1], -1
	v_lshlrev_b32_e32 v11, 1, v0
	s_cbranch_vccz .LBB71_84
; %bb.1:
	s_mul_i32 s0, s30, 0xfffff400
	s_add_i32 s28, s0, s28
	v_mov_b32_e32 v2, s25
	v_add_co_u32_e32 v9, vcc, s24, v11
	v_addc_co_u32_e32 v10, vcc, 0, v2, vcc
	v_cmp_gt_u32_e64 s[22:23], s28, v0
	v_mov_b32_e32 v2, v1
	v_mov_b32_e32 v3, v1
	;; [unrolled: 1-line block ×5, first 2 shown]
	s_and_saveexec_b64 s[0:1], s[22:23]
	s_cbranch_execz .LBB71_3
; %bb.2:
	global_load_ushort v2, v[9:10], off
	v_mov_b32_e32 v3, v1
	v_mov_b32_e32 v4, v1
	;; [unrolled: 1-line block ×5, first 2 shown]
	s_waitcnt vmcnt(0)
	v_and_b32_e32 v2, 0xffff, v2
	v_mov_b32_e32 v1, v2
	v_mov_b32_e32 v2, v3
	;; [unrolled: 1-line block ×8, first 2 shown]
.LBB71_3:
	s_or_b64 exec, exec, s[0:1]
	v_or_b32_e32 v7, 0x100, v0
	v_cmp_gt_u32_e64 s[20:21], s28, v7
	s_and_saveexec_b64 s[0:1], s[20:21]
	s_cbranch_execz .LBB71_5
; %bb.4:
	global_load_ushort v7, v[9:10], off offset:512
	s_mov_b32 s2, 0x5040100
	s_waitcnt vmcnt(0)
	v_perm_b32 v1, v7, v1, s2
.LBB71_5:
	s_or_b64 exec, exec, s[0:1]
	v_or_b32_e32 v7, 0x200, v0
	v_cmp_gt_u32_e64 s[18:19], s28, v7
	s_and_saveexec_b64 s[0:1], s[18:19]
	s_cbranch_execz .LBB71_7
; %bb.6:
	global_load_ushort v7, v[9:10], off offset:1024
	s_mov_b32 s2, 0xffff
	s_waitcnt vmcnt(0)
	v_bfi_b32 v2, s2, v7, v2
.LBB71_7:
	s_or_b64 exec, exec, s[0:1]
	v_or_b32_e32 v7, 0x300, v0
	v_cmp_gt_u32_e64 s[16:17], s28, v7
	s_and_saveexec_b64 s[0:1], s[16:17]
	s_cbranch_execz .LBB71_9
; %bb.8:
	global_load_ushort v7, v[9:10], off offset:1536
	s_mov_b32 s2, 0x5040100
	s_waitcnt vmcnt(0)
	v_perm_b32 v2, v7, v2, s2
.LBB71_9:
	s_or_b64 exec, exec, s[0:1]
	v_or_b32_e32 v7, 0x400, v0
	v_cmp_gt_u32_e64 s[14:15], s28, v7
	s_and_saveexec_b64 s[0:1], s[14:15]
	s_cbranch_execz .LBB71_11
; %bb.10:
	global_load_ushort v8, v[9:10], off offset:2048
	s_mov_b32 s2, 0xffff
	s_waitcnt vmcnt(0)
	v_bfi_b32 v3, s2, v8, v3
.LBB71_11:
	;; [unrolled: 22-line block ×3, first 2 shown]
	s_or_b64 exec, exec, s[0:1]
	v_or_b32_e32 v8, 0x700, v0
	v_cmp_gt_u32_e64 s[8:9], s28, v8
	s_and_saveexec_b64 s[0:1], s[8:9]
	s_cbranch_execz .LBB71_17
; %bb.16:
	global_load_ushort v8, v[9:10], off offset:3584
	s_mov_b32 s2, 0x5040100
	s_waitcnt vmcnt(0)
	v_perm_b32 v4, v8, v4, s2
.LBB71_17:
	s_or_b64 exec, exec, s[0:1]
	v_or_b32_e32 v8, 0x800, v0
	v_cmp_gt_u32_e64 s[6:7], s28, v8
	s_and_saveexec_b64 s[0:1], s[6:7]
	s_cbranch_execz .LBB71_19
; %bb.18:
	v_add_co_u32_e32 v12, vcc, 0x1000, v9
	v_addc_co_u32_e32 v13, vcc, 0, v10, vcc
	global_load_ushort v8, v[12:13], off
	s_mov_b32 s2, 0xffff
	s_waitcnt vmcnt(0)
	v_bfi_b32 v5, s2, v8, v5
.LBB71_19:
	s_or_b64 exec, exec, s[0:1]
	v_or_b32_e32 v8, 0x900, v0
	v_cmp_gt_u32_e64 s[4:5], s28, v8
	s_and_saveexec_b64 s[0:1], s[4:5]
	s_cbranch_execz .LBB71_21
; %bb.20:
	v_add_co_u32_e32 v12, vcc, 0x1000, v9
	v_addc_co_u32_e32 v13, vcc, 0, v10, vcc
	global_load_ushort v8, v[12:13], off offset:512
	s_mov_b32 s2, 0x5040100
	s_waitcnt vmcnt(0)
	v_perm_b32 v5, v8, v5, s2
.LBB71_21:
	s_or_b64 exec, exec, s[0:1]
	v_or_b32_e32 v8, 0xa00, v0
	v_cmp_gt_u32_e64 s[2:3], s28, v8
	s_and_saveexec_b64 s[0:1], s[2:3]
	s_cbranch_execz .LBB71_23
; %bb.22:
	v_add_co_u32_e32 v12, vcc, 0x1000, v9
	v_addc_co_u32_e32 v13, vcc, 0, v10, vcc
	global_load_ushort v8, v[12:13], off offset:1024
	s_mov_b32 s29, 0xffff
	s_waitcnt vmcnt(0)
	v_bfi_b32 v6, s29, v8, v6
.LBB71_23:
	s_or_b64 exec, exec, s[0:1]
	v_or_b32_e32 v8, 0xb00, v0
	v_cmp_gt_u32_e64 s[0:1], s28, v8
	s_and_saveexec_b64 s[28:29], s[0:1]
	s_cbranch_execz .LBB71_25
; %bb.24:
	v_add_co_u32_e32 v8, vcc, 0x1000, v9
	v_addc_co_u32_e32 v9, vcc, 0, v10, vcc
	global_load_ushort v8, v[8:9], off offset:1536
	s_mov_b32 s30, 0x5040100
	s_waitcnt vmcnt(0)
	v_perm_b32 v6, v8, v6, s30
.LBB71_25:
	s_or_b64 exec, exec, s[28:29]
	s_movk_i32 s28, 0x700
	v_lshlrev_b32_e32 v8, 2, v0
	v_mov_b32_e32 v9, 0
	v_cmp_gt_u32_e32 vcc, s28, v7
	ds_write2st64_b32 v8, v9, v9 offset1:4
	ds_write2st64_b32 v8, v9, v9 offset0:8 offset1:12
	ds_write_b32 v8, v9 offset:4096
	s_and_saveexec_b64 s[28:29], vcc
	s_cbranch_execz .LBB71_29
; %bb.26:
	s_movk_i32 s30, 0x200
	v_cmp_gt_u32_e32 vcc, s30, v0
	ds_write_b32 v8, v9 offset:5120
	s_and_b64 exec, exec, vcc
	s_cbranch_execz .LBB71_29
; %bb.27:
	s_movk_i32 s30, 0x100
	v_mov_b32_e32 v7, 0
	v_cmp_gt_u32_e32 vcc, s30, v0
	ds_write_b32 v8, v7 offset:6144
	s_and_b64 exec, exec, vcc
; %bb.28:
	ds_write_b32 v8, v7 offset:7168
.LBB71_29:
	s_or_b64 exec, exec, s[28:29]
	s_cmp_gt_u32 s35, s34
	s_cselect_b64 s[28:29], -1, 0
	s_cmp_le_u32 s35, s34
	s_waitcnt lgkmcnt(0)
	s_barrier
	s_cbranch_scc1 .LBB71_78
; %bb.30:
	v_and_b32_e32 v7, 3, v0
	v_lshlrev_b32_e32 v7, 2, v7
	s_sub_i32 s33, s35, s34
	v_xor_b32_e32 v8, 0xffff8000, v1
	v_mov_b32_e32 v9, 1
	s_mov_b32 s36, s33
	v_mov_b32_e32 v10, v7
	s_mov_b32 s37, s34
	s_branch .LBB71_32
.LBB71_31:                              ;   in Loop: Header=BB71_32 Depth=1
	s_or_b64 exec, exec, s[30:31]
	s_add_i32 s37, s37, 8
	s_add_i32 s36, s36, -8
	s_cmp_ge_u32 s37, s35
	v_add_u32_e32 v10, 0x1000, v10
	s_cbranch_scc1 .LBB71_34
.LBB71_32:                              ; =>This Inner Loop Header: Depth=1
	s_and_saveexec_b64 s[30:31], s[22:23]
	s_cbranch_execz .LBB71_31
; %bb.33:                               ;   in Loop: Header=BB71_32 Depth=1
	s_min_u32 s38, s36, 8
	v_lshrrev_b32_sdwa v12, s37, v8 dst_sel:DWORD dst_unused:UNUSED_PAD src0_sel:DWORD src1_sel:WORD_0
	v_bfe_u32 v12, v12, 0, s38
	v_lshl_add_u32 v12, v12, 4, v10
	ds_add_u32 v12, v9
	s_branch .LBB71_31
.LBB71_34:
	s_movk_i32 s22, 0x8000
	v_xor_b32_sdwa v1, v1, s22 dst_sel:DWORD dst_unused:UNUSED_PAD src0_sel:WORD_1 src1_sel:DWORD
	v_mov_b32_e32 v8, 1
	s_mov_b32 s30, s33
	v_mov_b32_e32 v9, v7
	s_mov_b32 s31, s34
	s_branch .LBB71_36
.LBB71_35:                              ;   in Loop: Header=BB71_36 Depth=1
	s_or_b64 exec, exec, s[22:23]
	s_add_i32 s31, s31, 8
	s_add_i32 s30, s30, -8
	s_cmp_lt_u32 s31, s35
	v_add_u32_e32 v9, 0x1000, v9
	s_cbranch_scc0 .LBB71_38
.LBB71_36:                              ; =>This Inner Loop Header: Depth=1
	s_and_saveexec_b64 s[22:23], s[20:21]
	s_cbranch_execz .LBB71_35
; %bb.37:                               ;   in Loop: Header=BB71_36 Depth=1
	s_min_u32 s36, s30, 8
	v_lshrrev_b32_sdwa v10, s31, v1 dst_sel:DWORD dst_unused:UNUSED_PAD src0_sel:DWORD src1_sel:WORD_0
	v_bfe_u32 v10, v10, 0, s36
	v_lshl_add_u32 v10, v10, 4, v9
	ds_add_u32 v10, v8
	s_branch .LBB71_35
.LBB71_38:
	v_xor_b32_e32 v1, 0xffff8000, v2
	v_mov_b32_e32 v8, 1
	s_mov_b32 s22, s33
	v_mov_b32_e32 v9, v7
	s_mov_b32 s23, s34
	s_branch .LBB71_40
.LBB71_39:                              ;   in Loop: Header=BB71_40 Depth=1
	s_or_b64 exec, exec, s[20:21]
	s_add_i32 s23, s23, 8
	s_add_i32 s22, s22, -8
	s_cmp_lt_u32 s23, s35
	v_add_u32_e32 v9, 0x1000, v9
	s_cbranch_scc0 .LBB71_42
.LBB71_40:                              ; =>This Inner Loop Header: Depth=1
	s_and_saveexec_b64 s[20:21], s[18:19]
	s_cbranch_execz .LBB71_39
; %bb.41:                               ;   in Loop: Header=BB71_40 Depth=1
	s_min_u32 s30, s22, 8
	v_lshrrev_b32_sdwa v10, s23, v1 dst_sel:DWORD dst_unused:UNUSED_PAD src0_sel:DWORD src1_sel:WORD_0
	v_bfe_u32 v10, v10, 0, s30
	v_lshl_add_u32 v10, v10, 4, v9
	ds_add_u32 v10, v8
	s_branch .LBB71_39
.LBB71_42:
	s_movk_i32 s18, 0x8000
	v_xor_b32_sdwa v1, v2, s18 dst_sel:DWORD dst_unused:UNUSED_PAD src0_sel:WORD_1 src1_sel:DWORD
	v_mov_b32_e32 v2, 1
	s_mov_b32 s20, s33
	v_mov_b32_e32 v8, v7
	s_mov_b32 s21, s34
	s_branch .LBB71_44
.LBB71_43:                              ;   in Loop: Header=BB71_44 Depth=1
	s_or_b64 exec, exec, s[18:19]
	s_add_i32 s21, s21, 8
	s_add_i32 s20, s20, -8
	s_cmp_lt_u32 s21, s35
	v_add_u32_e32 v8, 0x1000, v8
	s_cbranch_scc0 .LBB71_46
.LBB71_44:                              ; =>This Inner Loop Header: Depth=1
	s_and_saveexec_b64 s[18:19], s[16:17]
	s_cbranch_execz .LBB71_43
; %bb.45:                               ;   in Loop: Header=BB71_44 Depth=1
	s_min_u32 s22, s20, 8
	v_lshrrev_b32_sdwa v9, s21, v1 dst_sel:DWORD dst_unused:UNUSED_PAD src0_sel:DWORD src1_sel:WORD_0
	v_bfe_u32 v9, v9, 0, s22
	v_lshl_add_u32 v9, v9, 4, v8
	ds_add_u32 v9, v2
	s_branch .LBB71_43
.LBB71_46:
	v_xor_b32_e32 v1, 0xffff8000, v3
	v_mov_b32_e32 v2, 1
	s_mov_b32 s18, s33
	v_mov_b32_e32 v8, v7
	s_mov_b32 s19, s34
	s_branch .LBB71_48
.LBB71_47:                              ;   in Loop: Header=BB71_48 Depth=1
	s_or_b64 exec, exec, s[16:17]
	s_add_i32 s19, s19, 8
	s_add_i32 s18, s18, -8
	s_cmp_lt_u32 s19, s35
	v_add_u32_e32 v8, 0x1000, v8
	s_cbranch_scc0 .LBB71_50
.LBB71_48:                              ; =>This Inner Loop Header: Depth=1
	s_and_saveexec_b64 s[16:17], s[14:15]
	s_cbranch_execz .LBB71_47
; %bb.49:                               ;   in Loop: Header=BB71_48 Depth=1
	s_min_u32 s20, s18, 8
	v_lshrrev_b32_sdwa v9, s19, v1 dst_sel:DWORD dst_unused:UNUSED_PAD src0_sel:DWORD src1_sel:WORD_0
	v_bfe_u32 v9, v9, 0, s20
	v_lshl_add_u32 v9, v9, 4, v8
	ds_add_u32 v9, v2
	s_branch .LBB71_47
.LBB71_50:
	;; [unrolled: 49-line block ×5, first 2 shown]
	s_movk_i32 s2, 0x8000
	v_xor_b32_sdwa v1, v6, s2 dst_sel:DWORD dst_unused:UNUSED_PAD src0_sel:WORD_1 src1_sel:DWORD
	v_mov_b32_e32 v2, 1
	s_mov_b32 s4, s34
	s_branch .LBB71_76
.LBB71_75:                              ;   in Loop: Header=BB71_76 Depth=1
	s_or_b64 exec, exec, s[2:3]
	s_add_i32 s4, s4, 8
	s_add_i32 s33, s33, -8
	s_cmp_lt_u32 s4, s35
	v_add_u32_e32 v7, 0x1000, v7
	s_cbranch_scc0 .LBB71_78
.LBB71_76:                              ; =>This Inner Loop Header: Depth=1
	s_and_saveexec_b64 s[2:3], s[0:1]
	s_cbranch_execz .LBB71_75
; %bb.77:                               ;   in Loop: Header=BB71_76 Depth=1
	s_min_u32 s5, s33, 8
	v_lshrrev_b32_sdwa v3, s4, v1 dst_sel:DWORD dst_unused:UNUSED_PAD src0_sel:DWORD src1_sel:WORD_0
	v_bfe_u32 v3, v3, 0, s5
	v_lshl_add_u32 v3, v3, 4, v7
	ds_add_u32 v3, v2
	s_branch .LBB71_75
.LBB71_78:
	s_and_b64 vcc, exec, s[28:29]
	s_waitcnt lgkmcnt(0)
	s_barrier
	s_cbranch_vccz .LBB71_83
; %bb.79:
	s_movk_i32 s0, 0x100
	v_cmp_gt_u32_e32 vcc, s0, v0
	v_lshlrev_b32_e32 v3, 4, v0
	v_mov_b32_e32 v2, 0
	v_mov_b32_e32 v1, v0
	s_mov_b32 s4, s34
	s_branch .LBB71_81
.LBB71_80:                              ;   in Loop: Header=BB71_81 Depth=1
	s_or_b64 exec, exec, s[2:3]
	s_add_i32 s4, s4, 8
	v_add_u32_e32 v1, 0x100, v1
	s_cmp_lt_u32 s4, s35
	v_add_u32_e32 v3, 0x1000, v3
	s_cbranch_scc0 .LBB71_83
.LBB71_81:                              ; =>This Inner Loop Header: Depth=1
	s_and_saveexec_b64 s[2:3], vcc
	s_cbranch_execz .LBB71_80
; %bb.82:                               ;   in Loop: Header=BB71_81 Depth=1
	ds_read2_b32 v[4:5], v3 offset1:1
	ds_read2_b32 v[6:7], v3 offset0:2 offset1:3
	v_lshlrev_b64 v[8:9], 3, v[1:2]
	v_mov_b32_e32 v10, s27
	s_waitcnt lgkmcnt(1)
	v_add_u32_e32 v4, v5, v4
	s_waitcnt lgkmcnt(0)
	v_add3_u32 v4, v4, v6, v7
	v_add_co_u32_e64 v6, s[0:1], s26, v8
	v_addc_co_u32_e64 v7, s[0:1], v10, v9, s[0:1]
	v_mov_b32_e32 v5, v2
	global_atomic_add_x2 v[6:7], v[4:5], off
	s_branch .LBB71_80
.LBB71_83:
	s_mov_b64 s[0:1], 0
.LBB71_84:
	s_and_b64 vcc, exec, s[0:1]
	s_cbranch_vccz .LBB71_128
; %bb.85:
	v_mov_b32_e32 v1, s25
	v_add_co_u32_e32 v2, vcc, s24, v11
	v_addc_co_u32_e32 v7, vcc, 0, v1, vcc
	v_add_co_u32_e32 v1, vcc, 0x1000, v2
	global_load_ushort v3, v11, s[24:25] offset:2048
	global_load_ushort v4, v11, s[24:25] offset:2560
	global_load_ushort v5, v11, s[24:25] offset:3072
	global_load_ushort v6, v11, s[24:25] offset:3584
	v_addc_co_u32_e32 v2, vcc, 0, v7, vcc
	global_load_ushort v12, v11, s[24:25]
	global_load_ushort v13, v11, s[24:25] offset:512
	global_load_ushort v14, v11, s[24:25] offset:1024
	;; [unrolled: 1-line block ×3, first 2 shown]
	global_load_ushort v7, v[1:2], off
	global_load_ushort v8, v[1:2], off offset:512
	global_load_ushort v9, v[1:2], off offset:1024
	;; [unrolled: 1-line block ×3, first 2 shown]
	s_cmp_lg_u32 s34, 0
	s_cselect_b64 s[0:1], -1, 0
	s_cmp_lg_u32 s35, 16
	s_cselect_b64 s[2:3], -1, 0
	s_or_b64 s[2:3], s[0:1], s[2:3]
	v_mov_b32_e32 v1, 0
	s_mov_b64 s[0:1], -1
	s_and_b64 vcc, exec, s[2:3]
	v_lshlrev_b32_e32 v11, 2, v0
	s_cbranch_vccz .LBB71_121
; %bb.86:
	v_or_b32_e32 v2, 0x400, v0
	s_movk_i32 s0, 0x700
	v_cmp_gt_u32_e32 vcc, s0, v2
	ds_write2st64_b32 v11, v1, v1 offset1:4
	ds_write2st64_b32 v11, v1, v1 offset0:8 offset1:12
	ds_write_b32 v11, v1 offset:4096
	s_and_saveexec_b64 s[0:1], vcc
	s_cbranch_execz .LBB71_90
; %bb.87:
	s_movk_i32 s2, 0x200
	v_mov_b32_e32 v1, 0
	v_cmp_gt_u32_e32 vcc, s2, v0
	ds_write_b32 v11, v1 offset:5120
	s_and_b64 exec, exec, vcc
	s_cbranch_execz .LBB71_90
; %bb.88:
	s_movk_i32 s2, 0x100
	v_cmp_gt_u32_e32 vcc, s2, v0
	ds_write_b32 v11, v1 offset:6144
	s_and_b64 exec, exec, vcc
; %bb.89:
	v_mov_b32_e32 v1, 0
	ds_write_b32 v11, v1 offset:7168
.LBB71_90:
	s_or_b64 exec, exec, s[0:1]
	s_cmp_gt_u32 s35, s34
	s_cselect_b64 s[0:1], -1, 0
	s_cmp_le_u32 s35, s34
	s_waitcnt vmcnt(0) lgkmcnt(0)
	s_barrier
	s_cbranch_scc1 .LBB71_115
; %bb.91:
	v_and_b32_e32 v1, 3, v0
	v_lshlrev_b32_e32 v1, 2, v1
	s_sub_i32 s2, s35, s34
	v_xor_b32_e32 v2, 0xffff8000, v12
	v_mov_b32_e32 v16, 1
	s_mov_b32 s3, s2
	v_mov_b32_e32 v17, v1
	s_mov_b32 s4, s34
.LBB71_92:                              ; =>This Inner Loop Header: Depth=1
	s_min_u32 s5, s3, 8
	v_lshrrev_b32_sdwa v18, s4, v2 dst_sel:DWORD dst_unused:UNUSED_PAD src0_sel:DWORD src1_sel:WORD_0
	v_bfe_u32 v18, v18, 0, s5
	v_lshl_add_u32 v18, v18, 4, v17
	ds_add_u32 v18, v16
	s_add_i32 s4, s4, 8
	s_add_i32 s3, s3, -8
	s_cmp_ge_u32 s4, s35
	v_add_u32_e32 v17, 0x1000, v17
	s_cbranch_scc0 .LBB71_92
; %bb.93:
	v_xor_b32_e32 v2, 0xffff8000, v13
	v_mov_b32_e32 v16, 1
	s_mov_b32 s3, s2
	v_mov_b32_e32 v17, v1
	s_mov_b32 s4, s34
.LBB71_94:                              ; =>This Inner Loop Header: Depth=1
	s_min_u32 s5, s3, 8
	v_lshrrev_b32_sdwa v18, s4, v2 dst_sel:DWORD dst_unused:UNUSED_PAD src0_sel:DWORD src1_sel:WORD_0
	v_bfe_u32 v18, v18, 0, s5
	v_lshl_add_u32 v18, v18, 4, v17
	ds_add_u32 v18, v16
	s_add_i32 s4, s4, 8
	s_add_i32 s3, s3, -8
	s_cmp_lt_u32 s4, s35
	v_add_u32_e32 v17, 0x1000, v17
	s_cbranch_scc1 .LBB71_94
; %bb.95:
	v_xor_b32_e32 v2, 0xffff8000, v14
	v_mov_b32_e32 v16, 1
	s_mov_b32 s3, s2
	v_mov_b32_e32 v17, v1
	s_mov_b32 s4, s34
.LBB71_96:                              ; =>This Inner Loop Header: Depth=1
	s_min_u32 s5, s3, 8
	v_lshrrev_b32_sdwa v18, s4, v2 dst_sel:DWORD dst_unused:UNUSED_PAD src0_sel:DWORD src1_sel:WORD_0
	v_bfe_u32 v18, v18, 0, s5
	v_lshl_add_u32 v18, v18, 4, v17
	ds_add_u32 v18, v16
	s_add_i32 s4, s4, 8
	s_add_i32 s3, s3, -8
	s_cmp_lt_u32 s4, s35
	v_add_u32_e32 v17, 0x1000, v17
	s_cbranch_scc1 .LBB71_96
	;; [unrolled: 17-line block ×3, first 2 shown]
; %bb.99:
	v_xor_b32_e32 v2, 0xffff8000, v3
	v_mov_b32_e32 v16, 1
	s_mov_b32 s3, s2
	v_mov_b32_e32 v17, v1
	s_mov_b32 s4, s34
.LBB71_100:                             ; =>This Inner Loop Header: Depth=1
	s_min_u32 s5, s3, 8
	v_lshrrev_b32_sdwa v18, s4, v2 dst_sel:DWORD dst_unused:UNUSED_PAD src0_sel:DWORD src1_sel:WORD_0
	v_bfe_u32 v18, v18, 0, s5
	v_lshl_add_u32 v18, v18, 4, v17
	ds_add_u32 v18, v16
	s_add_i32 s4, s4, 8
	s_add_i32 s3, s3, -8
	s_cmp_lt_u32 s4, s35
	v_add_u32_e32 v17, 0x1000, v17
	s_cbranch_scc1 .LBB71_100
; %bb.101:
	v_xor_b32_e32 v2, 0xffff8000, v4
	v_mov_b32_e32 v16, 1
	s_mov_b32 s3, s2
	v_mov_b32_e32 v17, v1
	s_mov_b32 s4, s34
.LBB71_102:                             ; =>This Inner Loop Header: Depth=1
	s_min_u32 s5, s3, 8
	v_lshrrev_b32_sdwa v18, s4, v2 dst_sel:DWORD dst_unused:UNUSED_PAD src0_sel:DWORD src1_sel:WORD_0
	v_bfe_u32 v18, v18, 0, s5
	v_lshl_add_u32 v18, v18, 4, v17
	ds_add_u32 v18, v16
	s_add_i32 s4, s4, 8
	s_add_i32 s3, s3, -8
	s_cmp_lt_u32 s4, s35
	v_add_u32_e32 v17, 0x1000, v17
	s_cbranch_scc1 .LBB71_102
	;; [unrolled: 17-line block ×7, first 2 shown]
; %bb.113:
	v_xor_b32_e32 v2, 0xffff8000, v10
	v_mov_b32_e32 v16, 1
	s_mov_b32 s3, s34
.LBB71_114:                             ; =>This Inner Loop Header: Depth=1
	s_min_u32 s4, s2, 8
	v_lshrrev_b32_sdwa v17, s3, v2 dst_sel:DWORD dst_unused:UNUSED_PAD src0_sel:DWORD src1_sel:WORD_0
	v_bfe_u32 v17, v17, 0, s4
	v_lshl_add_u32 v17, v17, 4, v1
	ds_add_u32 v17, v16
	s_add_i32 s3, s3, 8
	s_add_i32 s2, s2, -8
	s_cmp_lt_u32 s3, s35
	v_add_u32_e32 v1, 0x1000, v1
	s_cbranch_scc1 .LBB71_114
.LBB71_115:
	s_and_b64 vcc, exec, s[0:1]
	s_waitcnt lgkmcnt(0)
	s_barrier
	s_cbranch_vccz .LBB71_120
; %bb.116:
	s_movk_i32 s0, 0x100
	v_cmp_gt_u32_e32 vcc, s0, v0
	v_lshlrev_b32_e32 v16, 4, v0
	v_mov_b32_e32 v2, 0
	v_mov_b32_e32 v1, v0
	s_branch .LBB71_118
.LBB71_117:                             ;   in Loop: Header=BB71_118 Depth=1
	s_or_b64 exec, exec, s[2:3]
	s_add_i32 s34, s34, 8
	v_add_u32_e32 v1, 0x100, v1
	s_cmp_ge_u32 s34, s35
	v_add_u32_e32 v16, 0x1000, v16
	s_cbranch_scc1 .LBB71_120
.LBB71_118:                             ; =>This Inner Loop Header: Depth=1
	s_and_saveexec_b64 s[2:3], vcc
	s_cbranch_execz .LBB71_117
; %bb.119:                              ;   in Loop: Header=BB71_118 Depth=1
	ds_read2_b32 v[17:18], v16 offset1:1
	ds_read2_b32 v[19:20], v16 offset0:2 offset1:3
	v_lshlrev_b64 v[21:22], 3, v[1:2]
	v_mov_b32_e32 v23, s27
	s_waitcnt lgkmcnt(1)
	v_add_u32_e32 v17, v18, v17
	s_waitcnt lgkmcnt(0)
	v_add3_u32 v17, v17, v19, v20
	v_add_co_u32_e64 v19, s[0:1], s26, v21
	v_addc_co_u32_e64 v20, s[0:1], v23, v22, s[0:1]
	v_mov_b32_e32 v18, v2
	global_atomic_add_x2 v[19:20], v[17:18], off
	s_branch .LBB71_117
.LBB71_120:
	s_mov_b64 s[0:1], 0
.LBB71_121:
	s_and_b64 vcc, exec, s[0:1]
	s_cbranch_vccz .LBB71_128
; %bb.122:
	v_or_b32_e32 v2, 0x400, v0
	s_movk_i32 s0, 0x700
	v_mov_b32_e32 v1, 0
	v_cmp_gt_u32_e32 vcc, s0, v2
	ds_write2st64_b32 v11, v1, v1 offset1:4
	ds_write2st64_b32 v11, v1, v1 offset0:8 offset1:12
	ds_write_b32 v11, v1 offset:4096
	s_and_saveexec_b64 s[0:1], vcc
	s_cbranch_execz .LBB71_126
; %bb.123:
	s_movk_i32 s2, 0x200
	v_cmp_gt_u32_e32 vcc, s2, v0
	ds_write_b32 v11, v1 offset:5120
	s_and_b64 exec, exec, vcc
	s_cbranch_execz .LBB71_126
; %bb.124:
	s_movk_i32 s2, 0x100
	v_mov_b32_e32 v1, 0
	v_cmp_gt_u32_e32 vcc, s2, v0
	ds_write_b32 v11, v1 offset:6144
	s_and_b64 exec, exec, vcc
; %bb.125:
	ds_write_b32 v11, v1 offset:7168
.LBB71_126:
	s_or_b64 exec, exec, s[0:1]
	s_waitcnt vmcnt(7)
	v_xor_b32_e32 v1, 0xffff8000, v12
	s_waitcnt vmcnt(6)
	v_xor_b32_e32 v2, 0xffff8000, v13
	v_and_b32_e32 v13, 3, v0
	v_and_b32_e32 v1, 0xffff, v1
	s_waitcnt vmcnt(5)
	v_xor_b32_e32 v11, 0xffff8000, v14
	v_lshlrev_b32_e32 v14, 4, v1
	v_lshlrev_b32_e32 v13, 2, v13
	s_movk_i32 s0, 0xff0
	s_waitcnt vmcnt(4)
	v_xor_b32_e32 v12, 0xffff8000, v15
	v_and_or_b32 v14, v14, s0, v13
	v_mov_b32_e32 v15, 1
	v_bfe_u32 v1, v1, 8, 8
	s_waitcnt vmcnt(0) lgkmcnt(0)
	s_barrier
	ds_add_u32 v14, v15
	v_lshl_or_b32 v1, v1, 4, v13
	ds_add_u32 v1, v15 offset:4096
	v_and_b32_e32 v1, 0xffff, v2
	v_lshlrev_b32_e32 v2, 4, v1
	v_and_or_b32 v2, v2, s0, v13
	v_bfe_u32 v1, v1, 8, 8
	ds_add_u32 v2, v15
	v_lshl_or_b32 v1, v1, 4, v13
	ds_add_u32 v1, v15 offset:4096
	v_and_b32_e32 v1, 0xffff, v11
	v_lshlrev_b32_e32 v2, 4, v1
	v_and_or_b32 v2, v2, s0, v13
	v_bfe_u32 v1, v1, 8, 8
	;; [unrolled: 7-line block ×3, first 2 shown]
	v_xor_b32_e32 v3, 0xffff8000, v3
	ds_add_u32 v2, v15
	v_lshl_or_b32 v1, v1, 4, v13
	ds_add_u32 v1, v15 offset:4096
	v_and_b32_e32 v1, 0xffff, v3
	v_lshlrev_b32_e32 v2, 4, v1
	v_and_or_b32 v2, v2, s0, v13
	v_bfe_u32 v1, v1, 8, 8
	v_xor_b32_e32 v4, 0xffff8000, v4
	ds_add_u32 v2, v15
	v_lshl_or_b32 v1, v1, 4, v13
	ds_add_u32 v1, v15 offset:4096
	v_and_b32_e32 v1, 0xffff, v4
	v_lshlrev_b32_e32 v2, 4, v1
	v_and_or_b32 v2, v2, s0, v13
	v_bfe_u32 v1, v1, 8, 8
	;; [unrolled: 8-line block ×8, first 2 shown]
	ds_add_u32 v2, v15
	v_lshl_or_b32 v1, v1, 4, v13
	ds_add_u32 v1, v15 offset:4096
	s_movk_i32 s0, 0x100
	v_cmp_gt_u32_e32 vcc, s0, v0
	s_waitcnt lgkmcnt(0)
	s_barrier
	s_and_saveexec_b64 s[0:1], vcc
	s_cbranch_execz .LBB71_128
; %bb.127:
	v_lshlrev_b32_e32 v6, 4, v0
	ds_read2_b32 v[1:2], v6 offset1:1
	ds_read2_b32 v[3:4], v6 offset0:2 offset1:3
	v_lshlrev_b32_e32 v7, 3, v0
	v_mov_b32_e32 v5, 0
	v_or_b32_e32 v0, 0x1000, v6
	s_waitcnt lgkmcnt(1)
	v_add_u32_e32 v1, v2, v1
	s_waitcnt lgkmcnt(0)
	v_add3_u32 v4, v1, v3, v4
	global_atomic_add_x2 v7, v[4:5], s[26:27]
	v_or_b32_e32 v2, 0x1008, v6
	ds_read2_b32 v[0:1], v0 offset1:1
	ds_read2_b32 v[2:3], v2 offset1:1
	s_waitcnt lgkmcnt(1)
	v_add_u32_e32 v0, v1, v0
	s_waitcnt lgkmcnt(0)
	v_add3_u32 v4, v0, v2, v3
	global_atomic_add_x2 v7, v[4:5], s[26:27] offset:2048
.LBB71_128:
	s_endpgm
	.section	.rodata,"a",@progbits
	.p2align	6, 0x0
	.amdhsa_kernel _ZN7rocprim17ROCPRIM_304000_NS6detail26onesweep_histograms_kernelINS1_34wrapped_radix_sort_onesweep_configINS0_14default_configEsN2at4cuda3cub6detail10OpaqueTypeILi8EEEEELb0EPKsmNS0_19identity_decomposerEEEvT1_PT2_SG_SG_T3_jj
		.amdhsa_group_segment_fixed_size 8192
		.amdhsa_private_segment_fixed_size 0
		.amdhsa_kernarg_size 44
		.amdhsa_user_sgpr_count 6
		.amdhsa_user_sgpr_private_segment_buffer 1
		.amdhsa_user_sgpr_dispatch_ptr 0
		.amdhsa_user_sgpr_queue_ptr 0
		.amdhsa_user_sgpr_kernarg_segment_ptr 1
		.amdhsa_user_sgpr_dispatch_id 0
		.amdhsa_user_sgpr_flat_scratch_init 0
		.amdhsa_user_sgpr_private_segment_size 0
		.amdhsa_uses_dynamic_stack 0
		.amdhsa_system_sgpr_private_segment_wavefront_offset 0
		.amdhsa_system_sgpr_workgroup_id_x 1
		.amdhsa_system_sgpr_workgroup_id_y 0
		.amdhsa_system_sgpr_workgroup_id_z 0
		.amdhsa_system_sgpr_workgroup_info 0
		.amdhsa_system_vgpr_workitem_id 0
		.amdhsa_next_free_vgpr 29
		.amdhsa_next_free_sgpr 61
		.amdhsa_reserve_vcc 1
		.amdhsa_reserve_flat_scratch 0
		.amdhsa_float_round_mode_32 0
		.amdhsa_float_round_mode_16_64 0
		.amdhsa_float_denorm_mode_32 3
		.amdhsa_float_denorm_mode_16_64 3
		.amdhsa_dx10_clamp 1
		.amdhsa_ieee_mode 1
		.amdhsa_fp16_overflow 0
		.amdhsa_exception_fp_ieee_invalid_op 0
		.amdhsa_exception_fp_denorm_src 0
		.amdhsa_exception_fp_ieee_div_zero 0
		.amdhsa_exception_fp_ieee_overflow 0
		.amdhsa_exception_fp_ieee_underflow 0
		.amdhsa_exception_fp_ieee_inexact 0
		.amdhsa_exception_int_div_zero 0
	.end_amdhsa_kernel
	.section	.text._ZN7rocprim17ROCPRIM_304000_NS6detail26onesweep_histograms_kernelINS1_34wrapped_radix_sort_onesweep_configINS0_14default_configEsN2at4cuda3cub6detail10OpaqueTypeILi8EEEEELb0EPKsmNS0_19identity_decomposerEEEvT1_PT2_SG_SG_T3_jj,"axG",@progbits,_ZN7rocprim17ROCPRIM_304000_NS6detail26onesweep_histograms_kernelINS1_34wrapped_radix_sort_onesweep_configINS0_14default_configEsN2at4cuda3cub6detail10OpaqueTypeILi8EEEEELb0EPKsmNS0_19identity_decomposerEEEvT1_PT2_SG_SG_T3_jj,comdat
.Lfunc_end71:
	.size	_ZN7rocprim17ROCPRIM_304000_NS6detail26onesweep_histograms_kernelINS1_34wrapped_radix_sort_onesweep_configINS0_14default_configEsN2at4cuda3cub6detail10OpaqueTypeILi8EEEEELb0EPKsmNS0_19identity_decomposerEEEvT1_PT2_SG_SG_T3_jj, .Lfunc_end71-_ZN7rocprim17ROCPRIM_304000_NS6detail26onesweep_histograms_kernelINS1_34wrapped_radix_sort_onesweep_configINS0_14default_configEsN2at4cuda3cub6detail10OpaqueTypeILi8EEEEELb0EPKsmNS0_19identity_decomposerEEEvT1_PT2_SG_SG_T3_jj
                                        ; -- End function
	.set _ZN7rocprim17ROCPRIM_304000_NS6detail26onesweep_histograms_kernelINS1_34wrapped_radix_sort_onesweep_configINS0_14default_configEsN2at4cuda3cub6detail10OpaqueTypeILi8EEEEELb0EPKsmNS0_19identity_decomposerEEEvT1_PT2_SG_SG_T3_jj.num_vgpr, 24
	.set _ZN7rocprim17ROCPRIM_304000_NS6detail26onesweep_histograms_kernelINS1_34wrapped_radix_sort_onesweep_configINS0_14default_configEsN2at4cuda3cub6detail10OpaqueTypeILi8EEEEELb0EPKsmNS0_19identity_decomposerEEEvT1_PT2_SG_SG_T3_jj.num_agpr, 0
	.set _ZN7rocprim17ROCPRIM_304000_NS6detail26onesweep_histograms_kernelINS1_34wrapped_radix_sort_onesweep_configINS0_14default_configEsN2at4cuda3cub6detail10OpaqueTypeILi8EEEEELb0EPKsmNS0_19identity_decomposerEEEvT1_PT2_SG_SG_T3_jj.numbered_sgpr, 39
	.set _ZN7rocprim17ROCPRIM_304000_NS6detail26onesweep_histograms_kernelINS1_34wrapped_radix_sort_onesweep_configINS0_14default_configEsN2at4cuda3cub6detail10OpaqueTypeILi8EEEEELb0EPKsmNS0_19identity_decomposerEEEvT1_PT2_SG_SG_T3_jj.num_named_barrier, 0
	.set _ZN7rocprim17ROCPRIM_304000_NS6detail26onesweep_histograms_kernelINS1_34wrapped_radix_sort_onesweep_configINS0_14default_configEsN2at4cuda3cub6detail10OpaqueTypeILi8EEEEELb0EPKsmNS0_19identity_decomposerEEEvT1_PT2_SG_SG_T3_jj.private_seg_size, 0
	.set _ZN7rocprim17ROCPRIM_304000_NS6detail26onesweep_histograms_kernelINS1_34wrapped_radix_sort_onesweep_configINS0_14default_configEsN2at4cuda3cub6detail10OpaqueTypeILi8EEEEELb0EPKsmNS0_19identity_decomposerEEEvT1_PT2_SG_SG_T3_jj.uses_vcc, 1
	.set _ZN7rocprim17ROCPRIM_304000_NS6detail26onesweep_histograms_kernelINS1_34wrapped_radix_sort_onesweep_configINS0_14default_configEsN2at4cuda3cub6detail10OpaqueTypeILi8EEEEELb0EPKsmNS0_19identity_decomposerEEEvT1_PT2_SG_SG_T3_jj.uses_flat_scratch, 0
	.set _ZN7rocprim17ROCPRIM_304000_NS6detail26onesweep_histograms_kernelINS1_34wrapped_radix_sort_onesweep_configINS0_14default_configEsN2at4cuda3cub6detail10OpaqueTypeILi8EEEEELb0EPKsmNS0_19identity_decomposerEEEvT1_PT2_SG_SG_T3_jj.has_dyn_sized_stack, 0
	.set _ZN7rocprim17ROCPRIM_304000_NS6detail26onesweep_histograms_kernelINS1_34wrapped_radix_sort_onesweep_configINS0_14default_configEsN2at4cuda3cub6detail10OpaqueTypeILi8EEEEELb0EPKsmNS0_19identity_decomposerEEEvT1_PT2_SG_SG_T3_jj.has_recursion, 0
	.set _ZN7rocprim17ROCPRIM_304000_NS6detail26onesweep_histograms_kernelINS1_34wrapped_radix_sort_onesweep_configINS0_14default_configEsN2at4cuda3cub6detail10OpaqueTypeILi8EEEEELb0EPKsmNS0_19identity_decomposerEEEvT1_PT2_SG_SG_T3_jj.has_indirect_call, 0
	.section	.AMDGPU.csdata,"",@progbits
; Kernel info:
; codeLenInByte = 4948
; TotalNumSgprs: 43
; NumVgprs: 24
; ScratchSize: 0
; MemoryBound: 0
; FloatMode: 240
; IeeeMode: 1
; LDSByteSize: 8192 bytes/workgroup (compile time only)
; SGPRBlocks: 8
; VGPRBlocks: 7
; NumSGPRsForWavesPerEU: 65
; NumVGPRsForWavesPerEU: 29
; Occupancy: 8
; WaveLimiterHint : 1
; COMPUTE_PGM_RSRC2:SCRATCH_EN: 0
; COMPUTE_PGM_RSRC2:USER_SGPR: 6
; COMPUTE_PGM_RSRC2:TRAP_HANDLER: 0
; COMPUTE_PGM_RSRC2:TGID_X_EN: 1
; COMPUTE_PGM_RSRC2:TGID_Y_EN: 0
; COMPUTE_PGM_RSRC2:TGID_Z_EN: 0
; COMPUTE_PGM_RSRC2:TIDIG_COMP_CNT: 0
	.section	.text._ZN7rocprim17ROCPRIM_304000_NS6detail25onesweep_iteration_kernelINS1_34wrapped_radix_sort_onesweep_configINS0_14default_configEsN2at4cuda3cub6detail10OpaqueTypeILi8EEEEELb0EPKsPsPKSA_PSA_mNS0_19identity_decomposerEEEvT1_T2_T3_T4_jPT5_SO_PNS1_23onesweep_lookback_stateET6_jjj,"axG",@progbits,_ZN7rocprim17ROCPRIM_304000_NS6detail25onesweep_iteration_kernelINS1_34wrapped_radix_sort_onesweep_configINS0_14default_configEsN2at4cuda3cub6detail10OpaqueTypeILi8EEEEELb0EPKsPsPKSA_PSA_mNS0_19identity_decomposerEEEvT1_T2_T3_T4_jPT5_SO_PNS1_23onesweep_lookback_stateET6_jjj,comdat
	.protected	_ZN7rocprim17ROCPRIM_304000_NS6detail25onesweep_iteration_kernelINS1_34wrapped_radix_sort_onesweep_configINS0_14default_configEsN2at4cuda3cub6detail10OpaqueTypeILi8EEEEELb0EPKsPsPKSA_PSA_mNS0_19identity_decomposerEEEvT1_T2_T3_T4_jPT5_SO_PNS1_23onesweep_lookback_stateET6_jjj ; -- Begin function _ZN7rocprim17ROCPRIM_304000_NS6detail25onesweep_iteration_kernelINS1_34wrapped_radix_sort_onesweep_configINS0_14default_configEsN2at4cuda3cub6detail10OpaqueTypeILi8EEEEELb0EPKsPsPKSA_PSA_mNS0_19identity_decomposerEEEvT1_T2_T3_T4_jPT5_SO_PNS1_23onesweep_lookback_stateET6_jjj
	.globl	_ZN7rocprim17ROCPRIM_304000_NS6detail25onesweep_iteration_kernelINS1_34wrapped_radix_sort_onesweep_configINS0_14default_configEsN2at4cuda3cub6detail10OpaqueTypeILi8EEEEELb0EPKsPsPKSA_PSA_mNS0_19identity_decomposerEEEvT1_T2_T3_T4_jPT5_SO_PNS1_23onesweep_lookback_stateET6_jjj
	.p2align	8
	.type	_ZN7rocprim17ROCPRIM_304000_NS6detail25onesweep_iteration_kernelINS1_34wrapped_radix_sort_onesweep_configINS0_14default_configEsN2at4cuda3cub6detail10OpaqueTypeILi8EEEEELb0EPKsPsPKSA_PSA_mNS0_19identity_decomposerEEEvT1_T2_T3_T4_jPT5_SO_PNS1_23onesweep_lookback_stateET6_jjj,@function
_ZN7rocprim17ROCPRIM_304000_NS6detail25onesweep_iteration_kernelINS1_34wrapped_radix_sort_onesweep_configINS0_14default_configEsN2at4cuda3cub6detail10OpaqueTypeILi8EEEEELb0EPKsPsPKSA_PSA_mNS0_19identity_decomposerEEEvT1_T2_T3_T4_jPT5_SO_PNS1_23onesweep_lookback_stateET6_jjj: ; @_ZN7rocprim17ROCPRIM_304000_NS6detail25onesweep_iteration_kernelINS1_34wrapped_radix_sort_onesweep_configINS0_14default_configEsN2at4cuda3cub6detail10OpaqueTypeILi8EEEEELb0EPKsPsPKSA_PSA_mNS0_19identity_decomposerEEEvT1_T2_T3_T4_jPT5_SO_PNS1_23onesweep_lookback_stateET6_jjj
; %bb.0:
	s_load_dwordx8 s[56:63], s[4:5], 0x0
	s_load_dwordx4 s[68:71], s[4:5], 0x44
	s_load_dwordx4 s[64:67], s[4:5], 0x28
	s_load_dwordx2 s[72:73], s[4:5], 0x38
	s_mov_b32 s7, s6
	s_mov_b64 s[0:1], -1
	s_waitcnt lgkmcnt(0)
	s_cmp_ge_u32 s6, s70
	s_mul_i32 s54, s6, 0xc00
	v_mbcnt_lo_u32_b32 v29, -1, 0
	s_cbranch_scc0 .LBB72_152
; %bb.1:
	s_load_dword s2, s[4:5], 0x20
	s_mulk_i32 s70, 0xf400
	s_mov_b32 s55, 0
	s_lshl_b64 s[0:1], s[54:55], 1
	v_mbcnt_hi_u32_b32 v13, -1, v29
	s_waitcnt lgkmcnt(0)
	s_add_i32 s70, s70, s2
	s_add_u32 s0, s56, s0
	s_addc_u32 s1, s57, s1
	v_and_b32_e32 v15, 0xc0, v0
	v_lshlrev_b32_e32 v3, 1, v13
	v_mul_u32_u24_e32 v14, 12, v15
	v_mov_b32_e32 v4, s1
	v_add_co_u32_e32 v3, vcc, s0, v3
	v_addc_co_u32_e32 v4, vcc, 0, v4, vcc
	v_lshlrev_b32_e32 v5, 1, v14
	v_add_co_u32_e32 v11, vcc, v3, v5
	v_addc_co_u32_e32 v12, vcc, 0, v4, vcc
	v_or_b32_e32 v16, v13, v14
	v_mov_b32_e32 v3, 0x7fff7fff
	v_cmp_gt_u32_e32 vcc, s70, v16
	v_mov_b32_e32 v4, v3
	v_mov_b32_e32 v5, v3
	;; [unrolled: 1-line block ×5, first 2 shown]
	s_and_saveexec_b64 s[0:1], vcc
	s_cbranch_execz .LBB72_3
; %bb.2:
	global_load_ushort v4, v[11:12], off
	s_movk_i32 s2, 0x7fff
	v_mov_b32_e32 v9, 0x5040100
	v_mov_b32_e32 v5, v3
	;; [unrolled: 1-line block ×5, first 2 shown]
	s_waitcnt vmcnt(0)
	v_perm_b32 v4, s2, v4, v9
	v_mov_b32_e32 v9, v3
	v_mov_b32_e32 v3, v4
	;; [unrolled: 1-line block ×9, first 2 shown]
.LBB72_3:
	s_or_b64 exec, exec, s[0:1]
	v_add_u32_e32 v9, 64, v16
	v_cmp_gt_u32_e64 s[0:1], s70, v9
	s_and_saveexec_b64 s[2:3], s[0:1]
	s_cbranch_execz .LBB72_5
; %bb.4:
	global_load_ushort v9, v[11:12], off offset:128
	s_mov_b32 s8, 0x5040100
	s_waitcnt vmcnt(0)
	v_perm_b32 v3, v9, v3, s8
.LBB72_5:
	s_or_b64 exec, exec, s[2:3]
	v_add_u32_e32 v9, 0x80, v16
	v_cmp_gt_u32_e64 s[2:3], s70, v9
	s_and_saveexec_b64 s[8:9], s[2:3]
	s_cbranch_execz .LBB72_7
; %bb.6:
	global_load_ushort v9, v[11:12], off offset:256
	s_mov_b32 s10, 0xffff
	s_waitcnt vmcnt(0)
	v_bfi_b32 v4, s10, v9, v4
.LBB72_7:
	s_or_b64 exec, exec, s[8:9]
	v_add_u32_e32 v9, 0xc0, v16
	v_cmp_gt_u32_e64 s[50:51], s70, v9
	s_and_saveexec_b64 s[8:9], s[50:51]
	s_cbranch_execz .LBB72_9
; %bb.8:
	global_load_ushort v9, v[11:12], off offset:384
	s_mov_b32 s10, 0x5040100
	s_waitcnt vmcnt(0)
	v_perm_b32 v4, v9, v4, s10
.LBB72_9:
	s_or_b64 exec, exec, s[8:9]
	v_add_u32_e32 v9, 0x100, v16
	v_cmp_gt_u32_e64 s[8:9], s70, v9
	s_and_saveexec_b64 s[10:11], s[8:9]
	s_cbranch_execz .LBB72_11
; %bb.10:
	global_load_ushort v9, v[11:12], off offset:512
	s_mov_b32 s12, 0xffff
	s_waitcnt vmcnt(0)
	v_bfi_b32 v5, s12, v9, v5
.LBB72_11:
	;; [unrolled: 22-line block ×5, first 2 shown]
	s_or_b64 exec, exec, s[22:23]
	v_add_u32_e32 v9, 0x2c0, v16
	v_cmp_gt_u32_e64 s[22:23], s70, v9
	s_and_saveexec_b64 s[24:25], s[22:23]
	s_cbranch_execz .LBB72_25
; %bb.24:
	global_load_ushort v9, v[11:12], off offset:1408
	s_mov_b32 s26, 0x5040100
	s_waitcnt vmcnt(0)
	v_perm_b32 v8, v9, v8, s26
.LBB72_25:
	s_or_b64 exec, exec, s[24:25]
	s_load_dword s24, s[4:5], 0x5c
	s_load_dword s33, s[4:5], 0x50
	s_add_u32 s25, s4, 0x50
	s_addc_u32 s26, s5, 0
	v_mov_b32_e32 v9, 0
	s_waitcnt lgkmcnt(0)
	s_lshr_b32 s27, s24, 16
	s_cmp_lt_u32 s6, s33
	s_cselect_b32 s24, 12, 18
	s_add_u32 s24, s25, s24
	s_addc_u32 s25, s26, 0
	global_load_ushort v11, v9, s[24:25]
	v_xor_b32_e32 v12, 0xffff8000, v3
	s_lshl_b32 s24, -1, s69
	v_lshrrev_b32_sdwa v10, s68, v12 dst_sel:DWORD dst_unused:UNUSED_PAD src0_sel:DWORD src1_sel:WORD_0
	s_not_b32 s74, s24
	v_and_b32_e32 v18, s74, v10
	v_and_b32_e32 v20, 1, v18
	v_add_co_u32_e64 v21, s[24:25], -1, v20
	v_lshlrev_b32_e32 v10, 30, v18
	v_addc_co_u32_e64 v22, s[24:25], 0, -1, s[24:25]
	v_mad_u32_u24 v17, v2, s27, v1
	v_cmp_ne_u32_e64 s[24:25], 0, v20
	v_cmp_gt_i64_e64 s[26:27], 0, v[9:10]
	v_not_b32_e32 v20, v10
	v_lshlrev_b32_e32 v10, 29, v18
	v_xor_b32_e32 v22, s25, v22
	v_xor_b32_e32 v21, s24, v21
	v_ashrrev_i32_e32 v20, 31, v20
	v_cmp_gt_i64_e64 s[24:25], 0, v[9:10]
	v_not_b32_e32 v23, v10
	v_lshlrev_b32_e32 v10, 28, v18
	v_and_b32_e32 v22, exec_hi, v22
	v_and_b32_e32 v21, exec_lo, v21
	v_xor_b32_e32 v24, s27, v20
	v_xor_b32_e32 v20, s26, v20
	v_ashrrev_i32_e32 v23, 31, v23
	v_cmp_gt_i64_e64 s[26:27], 0, v[9:10]
	v_not_b32_e32 v25, v10
	v_lshlrev_b32_e32 v10, 27, v18
	v_and_b32_e32 v22, v22, v24
	v_and_b32_e32 v20, v21, v20
	v_xor_b32_e32 v21, s25, v23
	v_xor_b32_e32 v23, s24, v23
	v_ashrrev_i32_e32 v24, 31, v25
	v_cmp_gt_i64_e64 s[24:25], 0, v[9:10]
	v_not_b32_e32 v25, v10
	v_lshlrev_b32_e32 v10, 26, v18
	v_and_b32_e32 v21, v22, v21
	v_and_b32_e32 v20, v20, v23
	;; [unrolled: 8-line block ×3, first 2 shown]
	v_xor_b32_e32 v22, s25, v24
	v_xor_b32_e32 v23, s24, v24
	v_ashrrev_i32_e32 v24, 31, v25
	v_cmp_gt_i64_e64 s[24:25], 0, v[9:10]
	v_not_b32_e32 v25, v10
	v_mul_u32_u24_e32 v19, 20, v18
	v_lshlrev_b32_e32 v10, 24, v18
	v_and_b32_e32 v18, v21, v22
	v_and_b32_e32 v20, v20, v23
	v_xor_b32_e32 v21, s27, v24
	v_ashrrev_i32_e32 v23, 31, v25
	v_xor_b32_e32 v22, s26, v24
	v_and_b32_e32 v18, v18, v21
	v_xor_b32_e32 v21, s25, v23
	v_and_b32_e32 v20, v20, v22
	;; [unrolled: 2-line block ×3, first 2 shown]
	v_cmp_gt_i64_e64 s[26:27], 0, v[9:10]
	v_not_b32_e32 v10, v10
	v_ashrrev_i32_e32 v10, 31, v10
	v_and_b32_e32 v20, v20, v22
	v_xor_b32_e32 v22, s27, v10
	v_xor_b32_e32 v10, s26, v10
	v_and_b32_e32 v10, v20, v10
	s_movk_i32 s28, 0x8000
	v_mul_u32_u24_e32 v16, 20, v0
	ds_write2_b32 v16, v9, v9 offset0:4 offset1:5
	ds_write2_b32 v16, v9, v9 offset0:6 offset1:7
	ds_write_b32 v16, v9 offset:32
	s_waitcnt vmcnt(0) lgkmcnt(0)
	s_barrier
	v_mad_u64_u32 v[17:18], s[24:25], v17, v11, v[0:1]
	v_and_b32_e32 v11, v21, v22
	v_cmp_ne_u64_e64 s[24:25], 0, v[10:11]
	v_lshrrev_b32_e32 v17, 4, v17
	v_and_b32_e32 v25, 0xffffffc, v17
	v_mbcnt_lo_u32_b32 v17, v10, 0
	v_mbcnt_hi_u32_b32 v18, v11, v17
	v_cmp_eq_u32_e64 s[26:27], 0, v18
	s_and_b64 s[26:27], s[24:25], s[26:27]
	v_add_u32_e32 v20, v25, v19
	; wave barrier
	s_and_saveexec_b64 s[24:25], s[26:27]
; %bb.26:
	v_bcnt_u32_b32 v10, v10, 0
	v_bcnt_u32_b32 v10, v11, v10
	ds_write_b32 v20, v10 offset:16
; %bb.27:
	s_or_b64 exec, exec, s[24:25]
	v_xor_b32_sdwa v17, v3, s28 dst_sel:DWORD dst_unused:UNUSED_PAD src0_sel:WORD_1 src1_sel:DWORD
	v_lshrrev_b32_sdwa v3, s68, v17 dst_sel:DWORD dst_unused:UNUSED_PAD src0_sel:DWORD src1_sel:WORD_0
	v_and_b32_e32 v3, s74, v3
	v_mad_u32_u24 v10, v3, 20, v25
	; wave barrier
	ds_read_b32 v19, v10 offset:16
	v_and_b32_e32 v10, 1, v3
	v_add_co_u32_e64 v21, s[24:25], -1, v10
	v_addc_co_u32_e64 v22, s[24:25], 0, -1, s[24:25]
	v_cmp_ne_u32_e64 s[24:25], 0, v10
	v_xor_b32_e32 v10, s25, v22
	v_and_b32_e32 v22, exec_hi, v10
	v_lshlrev_b32_e32 v10, 30, v3
	v_xor_b32_e32 v21, s24, v21
	v_cmp_gt_i64_e64 s[24:25], 0, v[9:10]
	v_not_b32_e32 v10, v10
	v_ashrrev_i32_e32 v10, 31, v10
	v_and_b32_e32 v21, exec_lo, v21
	v_xor_b32_e32 v23, s25, v10
	v_xor_b32_e32 v10, s24, v10
	v_and_b32_e32 v21, v21, v10
	v_lshlrev_b32_e32 v10, 29, v3
	v_cmp_gt_i64_e64 s[24:25], 0, v[9:10]
	v_not_b32_e32 v10, v10
	v_ashrrev_i32_e32 v10, 31, v10
	v_and_b32_e32 v22, v22, v23
	v_xor_b32_e32 v23, s25, v10
	v_xor_b32_e32 v10, s24, v10
	v_and_b32_e32 v21, v21, v10
	v_lshlrev_b32_e32 v10, 28, v3
	v_cmp_gt_i64_e64 s[24:25], 0, v[9:10]
	v_not_b32_e32 v10, v10
	v_ashrrev_i32_e32 v10, 31, v10
	v_and_b32_e32 v22, v22, v23
	v_xor_b32_e32 v23, s25, v10
	v_xor_b32_e32 v10, s24, v10
	v_and_b32_e32 v21, v21, v10
	v_lshlrev_b32_e32 v10, 27, v3
	v_cmp_gt_i64_e64 s[24:25], 0, v[9:10]
	v_not_b32_e32 v10, v10
	v_ashrrev_i32_e32 v10, 31, v10
	v_and_b32_e32 v22, v22, v23
	v_xor_b32_e32 v23, s25, v10
	v_xor_b32_e32 v10, s24, v10
	v_and_b32_e32 v21, v21, v10
	v_lshlrev_b32_e32 v10, 26, v3
	v_cmp_gt_i64_e64 s[24:25], 0, v[9:10]
	v_not_b32_e32 v10, v10
	v_ashrrev_i32_e32 v10, 31, v10
	v_and_b32_e32 v22, v22, v23
	v_xor_b32_e32 v23, s25, v10
	v_xor_b32_e32 v10, s24, v10
	v_and_b32_e32 v21, v21, v10
	v_lshlrev_b32_e32 v10, 25, v3
	v_cmp_gt_i64_e64 s[24:25], 0, v[9:10]
	v_not_b32_e32 v10, v10
	v_ashrrev_i32_e32 v10, 31, v10
	v_and_b32_e32 v22, v22, v23
	v_xor_b32_e32 v23, s25, v10
	v_xor_b32_e32 v10, s24, v10
	v_and_b32_e32 v21, v21, v10
	v_lshlrev_b32_e32 v10, 24, v3
	v_mul_u32_u24_e32 v11, 20, v3
	v_cmp_gt_i64_e64 s[24:25], 0, v[9:10]
	v_not_b32_e32 v3, v10
	v_ashrrev_i32_e32 v3, 31, v3
	v_and_b32_e32 v22, v22, v23
	v_xor_b32_e32 v9, s25, v3
	v_xor_b32_e32 v3, s24, v3
	v_and_b32_e32 v10, v22, v9
	v_and_b32_e32 v9, v21, v3
	v_mbcnt_lo_u32_b32 v3, v9, 0
	v_mbcnt_hi_u32_b32 v21, v10, v3
	v_cmp_ne_u64_e64 s[24:25], 0, v[9:10]
	v_cmp_eq_u32_e64 s[26:27], 0, v21
	s_and_b64 s[26:27], s[24:25], s[26:27]
	v_add_u32_e32 v24, v25, v11
	; wave barrier
	s_and_saveexec_b64 s[24:25], s[26:27]
	s_cbranch_execz .LBB72_29
; %bb.28:
	v_bcnt_u32_b32 v3, v9, 0
	v_bcnt_u32_b32 v3, v10, v3
	s_waitcnt lgkmcnt(0)
	v_add_u32_e32 v3, v19, v3
	ds_write_b32 v24, v3 offset:16
.LBB72_29:
	s_or_b64 exec, exec, s[24:25]
	v_xor_b32_e32 v22, 0xffff8000, v4
	v_lshrrev_b32_sdwa v3, s68, v22 dst_sel:DWORD dst_unused:UNUSED_PAD src0_sel:DWORD src1_sel:WORD_0
	v_and_b32_e32 v3, s74, v3
	v_and_b32_e32 v10, 1, v3
	v_add_co_u32_e64 v11, s[24:25], -1, v10
	v_addc_co_u32_e64 v26, s[24:25], 0, -1, s[24:25]
	v_cmp_ne_u32_e64 s[24:25], 0, v10
	v_mad_u32_u24 v9, v3, 20, v25
	v_xor_b32_e32 v10, s25, v26
	; wave barrier
	ds_read_b32 v23, v9 offset:16
	v_mov_b32_e32 v9, 0
	v_and_b32_e32 v26, exec_hi, v10
	v_lshlrev_b32_e32 v10, 30, v3
	v_xor_b32_e32 v11, s24, v11
	v_cmp_gt_i64_e64 s[24:25], 0, v[9:10]
	v_not_b32_e32 v10, v10
	v_ashrrev_i32_e32 v10, 31, v10
	v_and_b32_e32 v11, exec_lo, v11
	v_xor_b32_e32 v28, s25, v10
	v_xor_b32_e32 v10, s24, v10
	v_and_b32_e32 v11, v11, v10
	v_lshlrev_b32_e32 v10, 29, v3
	v_cmp_gt_i64_e64 s[24:25], 0, v[9:10]
	v_not_b32_e32 v10, v10
	v_ashrrev_i32_e32 v10, 31, v10
	v_and_b32_e32 v26, v26, v28
	v_xor_b32_e32 v28, s25, v10
	v_xor_b32_e32 v10, s24, v10
	v_and_b32_e32 v11, v11, v10
	v_lshlrev_b32_e32 v10, 28, v3
	v_cmp_gt_i64_e64 s[24:25], 0, v[9:10]
	v_not_b32_e32 v10, v10
	v_ashrrev_i32_e32 v10, 31, v10
	v_and_b32_e32 v26, v26, v28
	;; [unrolled: 8-line block ×5, first 2 shown]
	v_xor_b32_e32 v28, s25, v10
	v_xor_b32_e32 v10, s24, v10
	v_and_b32_e32 v26, v26, v28
	v_and_b32_e32 v28, v11, v10
	v_lshlrev_b32_e32 v10, 24, v3
	v_mul_u32_u24_e32 v27, 20, v3
	v_cmp_gt_i64_e64 s[24:25], 0, v[9:10]
	v_not_b32_e32 v3, v10
	v_ashrrev_i32_e32 v3, 31, v3
	v_xor_b32_e32 v10, s25, v3
	v_xor_b32_e32 v3, s24, v3
	v_and_b32_e32 v11, v26, v10
	v_and_b32_e32 v10, v28, v3
	v_mbcnt_lo_u32_b32 v3, v10, 0
	v_mbcnt_hi_u32_b32 v26, v11, v3
	v_cmp_ne_u64_e64 s[24:25], 0, v[10:11]
	v_cmp_eq_u32_e64 s[26:27], 0, v26
	s_and_b64 s[26:27], s[24:25], s[26:27]
	v_add_u32_e32 v28, v25, v27
	; wave barrier
	s_and_saveexec_b64 s[24:25], s[26:27]
	s_cbranch_execz .LBB72_31
; %bb.30:
	v_bcnt_u32_b32 v3, v10, 0
	v_bcnt_u32_b32 v3, v11, v3
	s_waitcnt lgkmcnt(0)
	v_add_u32_e32 v3, v23, v3
	ds_write_b32 v28, v3 offset:16
.LBB72_31:
	s_or_b64 exec, exec, s[24:25]
	v_xor_b32_sdwa v11, v4, s28 dst_sel:DWORD dst_unused:UNUSED_PAD src0_sel:WORD_1 src1_sel:DWORD
	v_lshrrev_b32_sdwa v3, s68, v11 dst_sel:DWORD dst_unused:UNUSED_PAD src0_sel:DWORD src1_sel:WORD_0
	v_and_b32_e32 v3, s74, v3
	v_mad_u32_u24 v4, v3, 20, v25
	; wave barrier
	ds_read_b32 v27, v4 offset:16
	v_and_b32_e32 v4, 1, v3
	v_add_co_u32_e64 v10, s[24:25], -1, v4
	v_addc_co_u32_e64 v31, s[24:25], 0, -1, s[24:25]
	v_cmp_ne_u32_e64 s[24:25], 0, v4
	v_xor_b32_e32 v10, s24, v10
	v_xor_b32_e32 v4, s25, v31
	v_and_b32_e32 v31, exec_lo, v10
	v_lshlrev_b32_e32 v10, 30, v3
	v_cmp_gt_i64_e64 s[24:25], 0, v[9:10]
	v_not_b32_e32 v10, v10
	v_ashrrev_i32_e32 v10, 31, v10
	v_xor_b32_e32 v32, s25, v10
	v_xor_b32_e32 v10, s24, v10
	v_and_b32_e32 v31, v31, v10
	v_lshlrev_b32_e32 v10, 29, v3
	v_cmp_gt_i64_e64 s[24:25], 0, v[9:10]
	v_not_b32_e32 v10, v10
	v_and_b32_e32 v4, exec_hi, v4
	v_ashrrev_i32_e32 v10, 31, v10
	v_and_b32_e32 v4, v4, v32
	v_xor_b32_e32 v32, s25, v10
	v_xor_b32_e32 v10, s24, v10
	v_and_b32_e32 v31, v31, v10
	v_lshlrev_b32_e32 v10, 28, v3
	v_cmp_gt_i64_e64 s[24:25], 0, v[9:10]
	v_not_b32_e32 v10, v10
	v_ashrrev_i32_e32 v10, 31, v10
	v_and_b32_e32 v4, v4, v32
	v_xor_b32_e32 v32, s25, v10
	v_xor_b32_e32 v10, s24, v10
	v_and_b32_e32 v31, v31, v10
	v_lshlrev_b32_e32 v10, 27, v3
	v_cmp_gt_i64_e64 s[24:25], 0, v[9:10]
	v_not_b32_e32 v10, v10
	;; [unrolled: 8-line block ×4, first 2 shown]
	v_ashrrev_i32_e32 v10, 31, v10
	v_and_b32_e32 v4, v4, v32
	v_xor_b32_e32 v32, s25, v10
	v_xor_b32_e32 v10, s24, v10
	v_and_b32_e32 v31, v31, v10
	v_lshlrev_b32_e32 v10, 24, v3
	v_mul_u32_u24_e32 v30, 20, v3
	v_cmp_gt_i64_e64 s[24:25], 0, v[9:10]
	v_not_b32_e32 v3, v10
	v_ashrrev_i32_e32 v3, 31, v3
	v_xor_b32_e32 v9, s25, v3
	v_xor_b32_e32 v3, s24, v3
	v_and_b32_e32 v4, v4, v32
	v_and_b32_e32 v3, v31, v3
	;; [unrolled: 1-line block ×3, first 2 shown]
	v_mbcnt_lo_u32_b32 v9, v3, 0
	v_mbcnt_hi_u32_b32 v32, v4, v9
	v_cmp_ne_u64_e64 s[24:25], 0, v[3:4]
	v_cmp_eq_u32_e64 s[26:27], 0, v32
	s_and_b64 s[26:27], s[24:25], s[26:27]
	v_add_u32_e32 v30, v25, v30
	; wave barrier
	s_and_saveexec_b64 s[24:25], s[26:27]
	s_cbranch_execz .LBB72_33
; %bb.32:
	v_bcnt_u32_b32 v3, v3, 0
	v_bcnt_u32_b32 v3, v4, v3
	s_waitcnt lgkmcnt(0)
	v_add_u32_e32 v3, v27, v3
	ds_write_b32 v30, v3 offset:16
.LBB72_33:
	s_or_b64 exec, exec, s[24:25]
	v_xor_b32_e32 v31, 0xffff8000, v5
	v_lshrrev_b32_sdwa v3, s68, v31 dst_sel:DWORD dst_unused:UNUSED_PAD src0_sel:DWORD src1_sel:WORD_0
	v_and_b32_e32 v9, s74, v3
	v_and_b32_e32 v4, 1, v9
	v_add_co_u32_e64 v10, s[24:25], -1, v4
	v_addc_co_u32_e64 v34, s[24:25], 0, -1, s[24:25]
	v_cmp_ne_u32_e64 s[24:25], 0, v4
	v_mad_u32_u24 v3, v9, 20, v25
	v_xor_b32_e32 v4, s25, v34
	; wave barrier
	ds_read_b32 v33, v3 offset:16
	v_mov_b32_e32 v3, 0
	v_and_b32_e32 v34, exec_hi, v4
	v_lshlrev_b32_e32 v4, 30, v9
	v_xor_b32_e32 v10, s24, v10
	v_cmp_gt_i64_e64 s[24:25], 0, v[3:4]
	v_not_b32_e32 v4, v4
	v_ashrrev_i32_e32 v4, 31, v4
	v_and_b32_e32 v10, exec_lo, v10
	v_xor_b32_e32 v36, s25, v4
	v_xor_b32_e32 v4, s24, v4
	v_and_b32_e32 v10, v10, v4
	v_lshlrev_b32_e32 v4, 29, v9
	v_cmp_gt_i64_e64 s[24:25], 0, v[3:4]
	v_not_b32_e32 v4, v4
	v_ashrrev_i32_e32 v4, 31, v4
	v_and_b32_e32 v34, v34, v36
	v_xor_b32_e32 v36, s25, v4
	v_xor_b32_e32 v4, s24, v4
	v_and_b32_e32 v10, v10, v4
	v_lshlrev_b32_e32 v4, 28, v9
	v_cmp_gt_i64_e64 s[24:25], 0, v[3:4]
	v_not_b32_e32 v4, v4
	v_ashrrev_i32_e32 v4, 31, v4
	v_and_b32_e32 v34, v34, v36
	;; [unrolled: 8-line block ×5, first 2 shown]
	v_xor_b32_e32 v36, s25, v4
	v_xor_b32_e32 v4, s24, v4
	v_and_b32_e32 v34, v34, v36
	v_and_b32_e32 v36, v10, v4
	v_lshlrev_b32_e32 v4, 24, v9
	v_cmp_gt_i64_e64 s[24:25], 0, v[3:4]
	v_not_b32_e32 v4, v4
	v_ashrrev_i32_e32 v4, 31, v4
	v_mul_u32_u24_e32 v35, 20, v9
	v_xor_b32_e32 v9, s25, v4
	v_xor_b32_e32 v4, s24, v4
	v_and_b32_e32 v10, v34, v9
	v_and_b32_e32 v9, v36, v4
	v_mbcnt_lo_u32_b32 v4, v9, 0
	v_mbcnt_hi_u32_b32 v34, v10, v4
	v_cmp_ne_u64_e64 s[24:25], 0, v[9:10]
	v_cmp_eq_u32_e64 s[26:27], 0, v34
	s_and_b64 s[26:27], s[24:25], s[26:27]
	v_add_u32_e32 v35, v25, v35
	; wave barrier
	s_and_saveexec_b64 s[24:25], s[26:27]
	s_cbranch_execz .LBB72_35
; %bb.34:
	v_bcnt_u32_b32 v4, v9, 0
	v_bcnt_u32_b32 v4, v10, v4
	s_waitcnt lgkmcnt(0)
	v_add_u32_e32 v4, v33, v4
	ds_write_b32 v35, v4 offset:16
.LBB72_35:
	s_or_b64 exec, exec, s[24:25]
	v_xor_b32_sdwa v9, v5, s28 dst_sel:DWORD dst_unused:UNUSED_PAD src0_sel:WORD_1 src1_sel:DWORD
	v_lshrrev_b32_sdwa v4, s68, v9 dst_sel:DWORD dst_unused:UNUSED_PAD src0_sel:DWORD src1_sel:WORD_0
	v_and_b32_e32 v5, s74, v4
	v_mad_u32_u24 v4, v5, 20, v25
	; wave barrier
	ds_read_b32 v10, v4 offset:16
	v_and_b32_e32 v4, 1, v5
	v_add_co_u32_e64 v36, s[24:25], -1, v4
	v_addc_co_u32_e64 v38, s[24:25], 0, -1, s[24:25]
	v_cmp_ne_u32_e64 s[24:25], 0, v4
	v_xor_b32_e32 v4, s25, v38
	v_and_b32_e32 v38, exec_hi, v4
	v_lshlrev_b32_e32 v4, 30, v5
	v_xor_b32_e32 v36, s24, v36
	v_cmp_gt_i64_e64 s[24:25], 0, v[3:4]
	v_not_b32_e32 v4, v4
	v_ashrrev_i32_e32 v4, 31, v4
	v_and_b32_e32 v36, exec_lo, v36
	v_xor_b32_e32 v39, s25, v4
	v_xor_b32_e32 v4, s24, v4
	v_and_b32_e32 v36, v36, v4
	v_lshlrev_b32_e32 v4, 29, v5
	v_cmp_gt_i64_e64 s[24:25], 0, v[3:4]
	v_not_b32_e32 v4, v4
	v_ashrrev_i32_e32 v4, 31, v4
	v_and_b32_e32 v38, v38, v39
	v_xor_b32_e32 v39, s25, v4
	v_xor_b32_e32 v4, s24, v4
	v_and_b32_e32 v36, v36, v4
	v_lshlrev_b32_e32 v4, 28, v5
	v_cmp_gt_i64_e64 s[24:25], 0, v[3:4]
	v_not_b32_e32 v4, v4
	v_ashrrev_i32_e32 v4, 31, v4
	v_and_b32_e32 v38, v38, v39
	;; [unrolled: 8-line block ×5, first 2 shown]
	v_xor_b32_e32 v39, s25, v4
	v_xor_b32_e32 v4, s24, v4
	v_and_b32_e32 v36, v36, v4
	v_lshlrev_b32_e32 v4, 24, v5
	v_cmp_gt_i64_e64 s[24:25], 0, v[3:4]
	v_not_b32_e32 v3, v4
	v_ashrrev_i32_e32 v3, 31, v3
	v_xor_b32_e32 v4, s25, v3
	v_xor_b32_e32 v3, s24, v3
	v_and_b32_e32 v38, v38, v39
	v_and_b32_e32 v3, v36, v3
	v_mul_u32_u24_e32 v37, 20, v5
	v_and_b32_e32 v4, v38, v4
	v_mbcnt_lo_u32_b32 v5, v3, 0
	v_mbcnt_hi_u32_b32 v36, v4, v5
	v_cmp_ne_u64_e64 s[24:25], 0, v[3:4]
	v_cmp_eq_u32_e64 s[26:27], 0, v36
	s_and_b64 s[26:27], s[24:25], s[26:27]
	v_add_u32_e32 v38, v25, v37
	; wave barrier
	s_and_saveexec_b64 s[24:25], s[26:27]
	s_cbranch_execz .LBB72_37
; %bb.36:
	v_bcnt_u32_b32 v3, v3, 0
	v_bcnt_u32_b32 v3, v4, v3
	s_waitcnt lgkmcnt(0)
	v_add_u32_e32 v3, v10, v3
	ds_write_b32 v38, v3 offset:16
.LBB72_37:
	s_or_b64 exec, exec, s[24:25]
	v_xor_b32_e32 v45, 0xffff8000, v6
	v_lshrrev_b32_sdwa v3, s68, v45 dst_sel:DWORD dst_unused:UNUSED_PAD src0_sel:DWORD src1_sel:WORD_0
	v_and_b32_e32 v5, s74, v3
	v_and_b32_e32 v4, 1, v5
	v_add_co_u32_e64 v40, s[24:25], -1, v4
	v_addc_co_u32_e64 v41, s[24:25], 0, -1, s[24:25]
	v_cmp_ne_u32_e64 s[24:25], 0, v4
	v_mad_u32_u24 v3, v5, 20, v25
	v_xor_b32_e32 v4, s25, v41
	; wave barrier
	ds_read_b32 v37, v3 offset:16
	v_mov_b32_e32 v3, 0
	v_and_b32_e32 v41, exec_hi, v4
	v_lshlrev_b32_e32 v4, 30, v5
	v_xor_b32_e32 v40, s24, v40
	v_cmp_gt_i64_e64 s[24:25], 0, v[3:4]
	v_not_b32_e32 v4, v4
	v_ashrrev_i32_e32 v4, 31, v4
	v_and_b32_e32 v40, exec_lo, v40
	v_xor_b32_e32 v42, s25, v4
	v_xor_b32_e32 v4, s24, v4
	v_and_b32_e32 v40, v40, v4
	v_lshlrev_b32_e32 v4, 29, v5
	v_cmp_gt_i64_e64 s[24:25], 0, v[3:4]
	v_not_b32_e32 v4, v4
	v_ashrrev_i32_e32 v4, 31, v4
	v_and_b32_e32 v41, v41, v42
	v_xor_b32_e32 v42, s25, v4
	v_xor_b32_e32 v4, s24, v4
	v_and_b32_e32 v40, v40, v4
	v_lshlrev_b32_e32 v4, 28, v5
	v_cmp_gt_i64_e64 s[24:25], 0, v[3:4]
	v_not_b32_e32 v4, v4
	v_ashrrev_i32_e32 v4, 31, v4
	v_and_b32_e32 v41, v41, v42
	;; [unrolled: 8-line block ×5, first 2 shown]
	v_xor_b32_e32 v42, s25, v4
	v_xor_b32_e32 v4, s24, v4
	v_and_b32_e32 v40, v40, v4
	v_lshlrev_b32_e32 v4, 24, v5
	v_cmp_gt_i64_e64 s[24:25], 0, v[3:4]
	v_not_b32_e32 v4, v4
	v_ashrrev_i32_e32 v4, 31, v4
	v_mul_u32_u24_e32 v39, 20, v5
	v_xor_b32_e32 v5, s25, v4
	v_xor_b32_e32 v4, s24, v4
	v_and_b32_e32 v41, v41, v42
	v_and_b32_e32 v4, v40, v4
	;; [unrolled: 1-line block ×3, first 2 shown]
	v_mbcnt_lo_u32_b32 v40, v4, 0
	v_mbcnt_hi_u32_b32 v47, v5, v40
	v_cmp_ne_u64_e64 s[24:25], 0, v[4:5]
	v_cmp_eq_u32_e64 s[26:27], 0, v47
	s_and_b64 s[26:27], s[24:25], s[26:27]
	v_add_u32_e32 v39, v25, v39
	; wave barrier
	s_and_saveexec_b64 s[24:25], s[26:27]
	s_cbranch_execz .LBB72_39
; %bb.38:
	v_bcnt_u32_b32 v4, v4, 0
	v_bcnt_u32_b32 v4, v5, v4
	s_waitcnt lgkmcnt(0)
	v_add_u32_e32 v4, v37, v4
	ds_write_b32 v39, v4 offset:16
.LBB72_39:
	s_or_b64 exec, exec, s[24:25]
	v_xor_b32_sdwa v46, v6, s28 dst_sel:DWORD dst_unused:UNUSED_PAD src0_sel:WORD_1 src1_sel:DWORD
	v_lshrrev_b32_sdwa v4, s68, v46 dst_sel:DWORD dst_unused:UNUSED_PAD src0_sel:DWORD src1_sel:WORD_0
	v_and_b32_e32 v5, s74, v4
	v_mad_u32_u24 v4, v5, 20, v25
	; wave barrier
	ds_read_b32 v48, v4 offset:16
	v_and_b32_e32 v4, 1, v5
	v_add_co_u32_e64 v40, s[24:25], -1, v4
	v_addc_co_u32_e64 v41, s[24:25], 0, -1, s[24:25]
	v_cmp_ne_u32_e64 s[24:25], 0, v4
	v_xor_b32_e32 v4, s25, v41
	v_and_b32_e32 v41, exec_hi, v4
	v_lshlrev_b32_e32 v4, 30, v5
	v_xor_b32_e32 v40, s24, v40
	v_cmp_gt_i64_e64 s[24:25], 0, v[3:4]
	v_not_b32_e32 v4, v4
	v_ashrrev_i32_e32 v4, 31, v4
	v_and_b32_e32 v40, exec_lo, v40
	v_xor_b32_e32 v42, s25, v4
	v_xor_b32_e32 v4, s24, v4
	v_and_b32_e32 v40, v40, v4
	v_lshlrev_b32_e32 v4, 29, v5
	v_cmp_gt_i64_e64 s[24:25], 0, v[3:4]
	v_not_b32_e32 v4, v4
	v_ashrrev_i32_e32 v4, 31, v4
	v_and_b32_e32 v41, v41, v42
	v_xor_b32_e32 v42, s25, v4
	v_xor_b32_e32 v4, s24, v4
	v_and_b32_e32 v40, v40, v4
	v_lshlrev_b32_e32 v4, 28, v5
	v_cmp_gt_i64_e64 s[24:25], 0, v[3:4]
	v_not_b32_e32 v4, v4
	v_ashrrev_i32_e32 v4, 31, v4
	v_and_b32_e32 v41, v41, v42
	;; [unrolled: 8-line block ×5, first 2 shown]
	v_xor_b32_e32 v42, s25, v4
	v_xor_b32_e32 v4, s24, v4
	v_and_b32_e32 v40, v40, v4
	v_lshlrev_b32_e32 v4, 24, v5
	v_cmp_gt_i64_e64 s[24:25], 0, v[3:4]
	v_not_b32_e32 v3, v4
	v_ashrrev_i32_e32 v3, 31, v3
	v_xor_b32_e32 v4, s25, v3
	v_xor_b32_e32 v3, s24, v3
	v_and_b32_e32 v41, v41, v42
	v_and_b32_e32 v3, v40, v3
	v_mul_u32_u24_e32 v6, 20, v5
	v_and_b32_e32 v4, v41, v4
	v_mbcnt_lo_u32_b32 v5, v3, 0
	v_mbcnt_hi_u32_b32 v50, v4, v5
	v_cmp_ne_u64_e64 s[24:25], 0, v[3:4]
	v_cmp_eq_u32_e64 s[26:27], 0, v50
	s_and_b64 s[26:27], s[24:25], s[26:27]
	v_add_u32_e32 v40, v25, v6
	; wave barrier
	s_and_saveexec_b64 s[24:25], s[26:27]
	s_cbranch_execz .LBB72_41
; %bb.40:
	v_bcnt_u32_b32 v3, v3, 0
	v_bcnt_u32_b32 v3, v4, v3
	s_waitcnt lgkmcnt(0)
	v_add_u32_e32 v3, v48, v3
	ds_write_b32 v40, v3 offset:16
.LBB72_41:
	s_or_b64 exec, exec, s[24:25]
	v_xor_b32_e32 v49, 0xffff8000, v7
	v_lshrrev_b32_sdwa v3, s68, v49 dst_sel:DWORD dst_unused:UNUSED_PAD src0_sel:DWORD src1_sel:WORD_0
	v_and_b32_e32 v5, s74, v3
	v_and_b32_e32 v4, 1, v5
	v_add_co_u32_e64 v41, s[24:25], -1, v4
	v_addc_co_u32_e64 v42, s[24:25], 0, -1, s[24:25]
	v_cmp_ne_u32_e64 s[24:25], 0, v4
	v_mad_u32_u24 v3, v5, 20, v25
	v_xor_b32_e32 v4, s25, v42
	; wave barrier
	ds_read_b32 v51, v3 offset:16
	v_mov_b32_e32 v3, 0
	v_and_b32_e32 v42, exec_hi, v4
	v_lshlrev_b32_e32 v4, 30, v5
	v_xor_b32_e32 v41, s24, v41
	v_cmp_gt_i64_e64 s[24:25], 0, v[3:4]
	v_not_b32_e32 v4, v4
	v_ashrrev_i32_e32 v4, 31, v4
	v_and_b32_e32 v41, exec_lo, v41
	v_xor_b32_e32 v43, s25, v4
	v_xor_b32_e32 v4, s24, v4
	v_and_b32_e32 v41, v41, v4
	v_lshlrev_b32_e32 v4, 29, v5
	v_cmp_gt_i64_e64 s[24:25], 0, v[3:4]
	v_not_b32_e32 v4, v4
	v_ashrrev_i32_e32 v4, 31, v4
	v_and_b32_e32 v42, v42, v43
	v_xor_b32_e32 v43, s25, v4
	v_xor_b32_e32 v4, s24, v4
	v_and_b32_e32 v41, v41, v4
	v_lshlrev_b32_e32 v4, 28, v5
	v_cmp_gt_i64_e64 s[24:25], 0, v[3:4]
	v_not_b32_e32 v4, v4
	v_ashrrev_i32_e32 v4, 31, v4
	v_and_b32_e32 v42, v42, v43
	;; [unrolled: 8-line block ×5, first 2 shown]
	v_xor_b32_e32 v43, s25, v4
	v_xor_b32_e32 v4, s24, v4
	v_and_b32_e32 v41, v41, v4
	v_lshlrev_b32_e32 v4, 24, v5
	v_cmp_gt_i64_e64 s[24:25], 0, v[3:4]
	v_not_b32_e32 v4, v4
	v_ashrrev_i32_e32 v4, 31, v4
	v_mul_u32_u24_e32 v6, 20, v5
	v_xor_b32_e32 v5, s25, v4
	v_xor_b32_e32 v4, s24, v4
	v_and_b32_e32 v42, v42, v43
	v_and_b32_e32 v4, v41, v4
	;; [unrolled: 1-line block ×3, first 2 shown]
	v_mbcnt_lo_u32_b32 v41, v4, 0
	v_mbcnt_hi_u32_b32 v52, v5, v41
	v_cmp_ne_u64_e64 s[24:25], 0, v[4:5]
	v_cmp_eq_u32_e64 s[26:27], 0, v52
	s_and_b64 s[26:27], s[24:25], s[26:27]
	v_add_u32_e32 v41, v25, v6
	; wave barrier
	s_and_saveexec_b64 s[24:25], s[26:27]
	s_cbranch_execz .LBB72_43
; %bb.42:
	v_bcnt_u32_b32 v4, v4, 0
	v_bcnt_u32_b32 v4, v5, v4
	s_waitcnt lgkmcnt(0)
	v_add_u32_e32 v4, v51, v4
	ds_write_b32 v41, v4 offset:16
.LBB72_43:
	s_or_b64 exec, exec, s[24:25]
	v_xor_b32_sdwa v7, v7, s28 dst_sel:DWORD dst_unused:UNUSED_PAD src0_sel:WORD_1 src1_sel:DWORD
	v_lshrrev_b32_sdwa v4, s68, v7 dst_sel:DWORD dst_unused:UNUSED_PAD src0_sel:DWORD src1_sel:WORD_0
	v_and_b32_e32 v5, s74, v4
	v_mad_u32_u24 v4, v5, 20, v25
	; wave barrier
	ds_read_b32 v53, v4 offset:16
	v_and_b32_e32 v4, 1, v5
	v_add_co_u32_e64 v42, s[24:25], -1, v4
	v_addc_co_u32_e64 v43, s[24:25], 0, -1, s[24:25]
	v_cmp_ne_u32_e64 s[24:25], 0, v4
	v_xor_b32_e32 v4, s25, v43
	v_and_b32_e32 v43, exec_hi, v4
	v_lshlrev_b32_e32 v4, 30, v5
	v_xor_b32_e32 v42, s24, v42
	v_cmp_gt_i64_e64 s[24:25], 0, v[3:4]
	v_not_b32_e32 v4, v4
	v_ashrrev_i32_e32 v4, 31, v4
	v_and_b32_e32 v42, exec_lo, v42
	v_xor_b32_e32 v44, s25, v4
	v_xor_b32_e32 v4, s24, v4
	v_and_b32_e32 v42, v42, v4
	v_lshlrev_b32_e32 v4, 29, v5
	v_cmp_gt_i64_e64 s[24:25], 0, v[3:4]
	v_not_b32_e32 v4, v4
	v_ashrrev_i32_e32 v4, 31, v4
	v_and_b32_e32 v43, v43, v44
	v_xor_b32_e32 v44, s25, v4
	v_xor_b32_e32 v4, s24, v4
	v_and_b32_e32 v42, v42, v4
	v_lshlrev_b32_e32 v4, 28, v5
	v_cmp_gt_i64_e64 s[24:25], 0, v[3:4]
	v_not_b32_e32 v4, v4
	v_ashrrev_i32_e32 v4, 31, v4
	v_and_b32_e32 v43, v43, v44
	v_xor_b32_e32 v44, s25, v4
	v_xor_b32_e32 v4, s24, v4
	v_and_b32_e32 v42, v42, v4
	v_lshlrev_b32_e32 v4, 27, v5
	v_cmp_gt_i64_e64 s[24:25], 0, v[3:4]
	v_not_b32_e32 v4, v4
	v_ashrrev_i32_e32 v4, 31, v4
	v_and_b32_e32 v43, v43, v44
	v_xor_b32_e32 v44, s25, v4
	v_xor_b32_e32 v4, s24, v4
	v_and_b32_e32 v42, v42, v4
	v_lshlrev_b32_e32 v4, 26, v5
	v_cmp_gt_i64_e64 s[24:25], 0, v[3:4]
	v_not_b32_e32 v4, v4
	v_ashrrev_i32_e32 v4, 31, v4
	v_and_b32_e32 v43, v43, v44
	v_xor_b32_e32 v44, s25, v4
	v_xor_b32_e32 v4, s24, v4
	v_and_b32_e32 v42, v42, v4
	v_lshlrev_b32_e32 v4, 25, v5
	v_cmp_gt_i64_e64 s[24:25], 0, v[3:4]
	v_not_b32_e32 v4, v4
	v_ashrrev_i32_e32 v4, 31, v4
	v_and_b32_e32 v43, v43, v44
	v_xor_b32_e32 v44, s25, v4
	v_xor_b32_e32 v4, s24, v4
	v_and_b32_e32 v42, v42, v4
	v_lshlrev_b32_e32 v4, 24, v5
	v_cmp_gt_i64_e64 s[24:25], 0, v[3:4]
	v_not_b32_e32 v3, v4
	v_ashrrev_i32_e32 v3, 31, v3
	v_xor_b32_e32 v4, s25, v3
	v_xor_b32_e32 v3, s24, v3
	v_and_b32_e32 v43, v43, v44
	v_and_b32_e32 v3, v42, v3
	v_mul_u32_u24_e32 v6, 20, v5
	v_and_b32_e32 v4, v43, v4
	v_mbcnt_lo_u32_b32 v5, v3, 0
	v_mbcnt_hi_u32_b32 v55, v4, v5
	v_cmp_ne_u64_e64 s[24:25], 0, v[3:4]
	v_cmp_eq_u32_e64 s[26:27], 0, v55
	s_and_b64 s[26:27], s[24:25], s[26:27]
	v_add_u32_e32 v42, v25, v6
	; wave barrier
	s_and_saveexec_b64 s[24:25], s[26:27]
	s_cbranch_execz .LBB72_45
; %bb.44:
	v_bcnt_u32_b32 v3, v3, 0
	v_bcnt_u32_b32 v3, v4, v3
	s_waitcnt lgkmcnt(0)
	v_add_u32_e32 v3, v53, v3
	ds_write_b32 v42, v3 offset:16
.LBB72_45:
	s_or_b64 exec, exec, s[24:25]
	v_xor_b32_e32 v54, 0xffff8000, v8
	v_lshrrev_b32_sdwa v3, s68, v54 dst_sel:DWORD dst_unused:UNUSED_PAD src0_sel:DWORD src1_sel:WORD_0
	v_and_b32_e32 v5, s74, v3
	v_and_b32_e32 v4, 1, v5
	v_add_co_u32_e64 v43, s[24:25], -1, v4
	v_addc_co_u32_e64 v44, s[24:25], 0, -1, s[24:25]
	v_cmp_ne_u32_e64 s[24:25], 0, v4
	v_mad_u32_u24 v3, v5, 20, v25
	v_xor_b32_e32 v4, s25, v44
	; wave barrier
	ds_read_b32 v56, v3 offset:16
	v_mov_b32_e32 v3, 0
	v_and_b32_e32 v44, exec_hi, v4
	v_lshlrev_b32_e32 v4, 30, v5
	v_xor_b32_e32 v43, s24, v43
	v_cmp_gt_i64_e64 s[24:25], 0, v[3:4]
	v_not_b32_e32 v4, v4
	v_ashrrev_i32_e32 v4, 31, v4
	v_and_b32_e32 v43, exec_lo, v43
	v_xor_b32_e32 v57, s25, v4
	v_xor_b32_e32 v4, s24, v4
	v_and_b32_e32 v43, v43, v4
	v_lshlrev_b32_e32 v4, 29, v5
	v_cmp_gt_i64_e64 s[24:25], 0, v[3:4]
	v_not_b32_e32 v4, v4
	v_ashrrev_i32_e32 v4, 31, v4
	v_and_b32_e32 v44, v44, v57
	v_xor_b32_e32 v57, s25, v4
	v_xor_b32_e32 v4, s24, v4
	v_and_b32_e32 v43, v43, v4
	v_lshlrev_b32_e32 v4, 28, v5
	v_cmp_gt_i64_e64 s[24:25], 0, v[3:4]
	v_not_b32_e32 v4, v4
	v_ashrrev_i32_e32 v4, 31, v4
	v_and_b32_e32 v44, v44, v57
	;; [unrolled: 8-line block ×5, first 2 shown]
	v_xor_b32_e32 v57, s25, v4
	v_xor_b32_e32 v4, s24, v4
	v_and_b32_e32 v43, v43, v4
	v_lshlrev_b32_e32 v4, 24, v5
	v_cmp_gt_i64_e64 s[24:25], 0, v[3:4]
	v_not_b32_e32 v4, v4
	v_ashrrev_i32_e32 v4, 31, v4
	v_mul_u32_u24_e32 v6, 20, v5
	v_xor_b32_e32 v5, s25, v4
	v_xor_b32_e32 v4, s24, v4
	v_and_b32_e32 v44, v44, v57
	v_and_b32_e32 v4, v43, v4
	;; [unrolled: 1-line block ×3, first 2 shown]
	v_mbcnt_lo_u32_b32 v43, v4, 0
	v_mbcnt_hi_u32_b32 v57, v5, v43
	v_cmp_ne_u64_e64 s[24:25], 0, v[4:5]
	v_cmp_eq_u32_e64 s[26:27], 0, v57
	s_and_b64 s[26:27], s[24:25], s[26:27]
	v_add_u32_e32 v43, v25, v6
	; wave barrier
	s_and_saveexec_b64 s[24:25], s[26:27]
	s_cbranch_execz .LBB72_47
; %bb.46:
	v_bcnt_u32_b32 v4, v4, 0
	v_bcnt_u32_b32 v4, v5, v4
	s_waitcnt lgkmcnt(0)
	v_add_u32_e32 v4, v56, v4
	ds_write_b32 v43, v4 offset:16
.LBB72_47:
	s_or_b64 exec, exec, s[24:25]
	v_xor_b32_sdwa v8, v8, s28 dst_sel:DWORD dst_unused:UNUSED_PAD src0_sel:WORD_1 src1_sel:DWORD
	v_lshrrev_b32_sdwa v4, s68, v8 dst_sel:DWORD dst_unused:UNUSED_PAD src0_sel:DWORD src1_sel:WORD_0
	v_and_b32_e32 v5, s74, v4
	v_mad_u32_u24 v4, v5, 20, v25
	; wave barrier
	ds_read_b32 v58, v4 offset:16
	v_and_b32_e32 v4, 1, v5
	v_add_co_u32_e64 v44, s[24:25], -1, v4
	v_addc_co_u32_e64 v59, s[24:25], 0, -1, s[24:25]
	v_cmp_ne_u32_e64 s[24:25], 0, v4
	v_xor_b32_e32 v4, s25, v59
	v_and_b32_e32 v59, exec_hi, v4
	v_lshlrev_b32_e32 v4, 30, v5
	v_xor_b32_e32 v44, s24, v44
	v_cmp_gt_i64_e64 s[24:25], 0, v[3:4]
	v_not_b32_e32 v4, v4
	v_ashrrev_i32_e32 v4, 31, v4
	v_and_b32_e32 v44, exec_lo, v44
	v_xor_b32_e32 v60, s25, v4
	v_xor_b32_e32 v4, s24, v4
	v_and_b32_e32 v44, v44, v4
	v_lshlrev_b32_e32 v4, 29, v5
	v_cmp_gt_i64_e64 s[24:25], 0, v[3:4]
	v_not_b32_e32 v4, v4
	v_ashrrev_i32_e32 v4, 31, v4
	v_and_b32_e32 v59, v59, v60
	v_xor_b32_e32 v60, s25, v4
	v_xor_b32_e32 v4, s24, v4
	v_and_b32_e32 v44, v44, v4
	v_lshlrev_b32_e32 v4, 28, v5
	v_cmp_gt_i64_e64 s[24:25], 0, v[3:4]
	v_not_b32_e32 v4, v4
	v_ashrrev_i32_e32 v4, 31, v4
	v_and_b32_e32 v59, v59, v60
	;; [unrolled: 8-line block ×5, first 2 shown]
	v_xor_b32_e32 v60, s25, v4
	v_xor_b32_e32 v4, s24, v4
	v_and_b32_e32 v44, v44, v4
	v_lshlrev_b32_e32 v4, 24, v5
	v_cmp_gt_i64_e64 s[24:25], 0, v[3:4]
	v_not_b32_e32 v3, v4
	v_ashrrev_i32_e32 v3, 31, v3
	v_xor_b32_e32 v4, s25, v3
	v_xor_b32_e32 v3, s24, v3
	v_and_b32_e32 v59, v59, v60
	v_and_b32_e32 v3, v44, v3
	v_mul_u32_u24_e32 v6, 20, v5
	v_and_b32_e32 v4, v59, v4
	v_mbcnt_lo_u32_b32 v5, v3, 0
	v_mbcnt_hi_u32_b32 v59, v4, v5
	v_cmp_ne_u64_e64 s[24:25], 0, v[3:4]
	v_cmp_eq_u32_e64 s[26:27], 0, v59
	s_and_b64 s[26:27], s[24:25], s[26:27]
	v_add_u32_e32 v25, v25, v6
	; wave barrier
	s_and_saveexec_b64 s[24:25], s[26:27]
	s_cbranch_execz .LBB72_49
; %bb.48:
	v_bcnt_u32_b32 v3, v3, 0
	v_bcnt_u32_b32 v3, v4, v3
	s_waitcnt lgkmcnt(0)
	v_add_u32_e32 v3, v58, v3
	ds_write_b32 v25, v3 offset:16
.LBB72_49:
	s_or_b64 exec, exec, s[24:25]
	; wave barrier
	s_waitcnt lgkmcnt(0)
	s_barrier
	ds_read2_b32 v[5:6], v16 offset0:4 offset1:5
	ds_read2_b32 v[3:4], v16 offset0:6 offset1:7
	ds_read_b32 v44, v16 offset:32
	v_min_u32_e32 v15, 0xc0, v15
	v_or_b32_e32 v15, 63, v15
	s_waitcnt lgkmcnt(1)
	v_add3_u32 v60, v6, v5, v3
	s_waitcnt lgkmcnt(0)
	v_add3_u32 v44, v60, v4, v44
	v_and_b32_e32 v60, 15, v13
	v_cmp_ne_u32_e64 s[24:25], 0, v60
	v_mov_b32_dpp v61, v44 row_shr:1 row_mask:0xf bank_mask:0xf
	v_cndmask_b32_e64 v61, 0, v61, s[24:25]
	v_add_u32_e32 v44, v61, v44
	v_cmp_lt_u32_e64 s[24:25], 1, v60
	s_nop 0
	v_mov_b32_dpp v61, v44 row_shr:2 row_mask:0xf bank_mask:0xf
	v_cndmask_b32_e64 v61, 0, v61, s[24:25]
	v_add_u32_e32 v44, v44, v61
	v_cmp_lt_u32_e64 s[24:25], 3, v60
	s_nop 0
	;; [unrolled: 5-line block ×3, first 2 shown]
	v_mov_b32_dpp v61, v44 row_shr:8 row_mask:0xf bank_mask:0xf
	v_cndmask_b32_e64 v60, 0, v61, s[24:25]
	v_add_u32_e32 v44, v44, v60
	v_bfe_i32 v61, v13, 4, 1
	v_cmp_lt_u32_e64 s[24:25], 31, v13
	v_mov_b32_dpp v60, v44 row_bcast:15 row_mask:0xf bank_mask:0xf
	v_and_b32_e32 v60, v61, v60
	v_add_u32_e32 v44, v44, v60
	s_nop 1
	v_mov_b32_dpp v60, v44 row_bcast:31 row_mask:0xf bank_mask:0xf
	v_cndmask_b32_e64 v60, 0, v60, s[24:25]
	v_add_u32_e32 v44, v44, v60
	v_lshrrev_b32_e32 v60, 6, v0
	v_cmp_eq_u32_e64 s[24:25], v0, v15
	s_and_saveexec_b64 s[26:27], s[24:25]
; %bb.50:
	v_lshlrev_b32_e32 v15, 2, v60
	ds_write_b32 v15, v44
; %bb.51:
	s_or_b64 exec, exec, s[26:27]
	v_cmp_gt_u32_e64 s[24:25], 4, v0
	s_waitcnt lgkmcnt(0)
	s_barrier
	s_and_saveexec_b64 s[26:27], s[24:25]
	s_cbranch_execz .LBB72_53
; %bb.52:
	v_lshlrev_b32_e32 v15, 2, v0
	ds_read_b32 v61, v15
	v_and_b32_e32 v62, 3, v13
	v_cmp_ne_u32_e64 s[24:25], 0, v62
	s_waitcnt lgkmcnt(0)
	v_mov_b32_dpp v63, v61 row_shr:1 row_mask:0xf bank_mask:0xf
	v_cndmask_b32_e64 v63, 0, v63, s[24:25]
	v_add_u32_e32 v61, v63, v61
	v_cmp_lt_u32_e64 s[24:25], 1, v62
	s_nop 0
	v_mov_b32_dpp v63, v61 row_shr:2 row_mask:0xf bank_mask:0xf
	v_cndmask_b32_e64 v62, 0, v63, s[24:25]
	v_add_u32_e32 v61, v61, v62
	ds_write_b32 v15, v61
.LBB72_53:
	s_or_b64 exec, exec, s[26:27]
	v_cmp_lt_u32_e64 s[24:25], 63, v0
	v_mov_b32_e32 v15, 0
	s_waitcnt lgkmcnt(0)
	s_barrier
	s_and_saveexec_b64 s[26:27], s[24:25]
; %bb.54:
	v_lshl_add_u32 v15, v60, 2, -4
	ds_read_b32 v15, v15
; %bb.55:
	s_or_b64 exec, exec, s[26:27]
	v_add_u32_e32 v60, -1, v13
	v_and_b32_e32 v61, 64, v13
	v_cmp_lt_i32_e64 s[24:25], v60, v61
	v_cndmask_b32_e64 v60, v60, v13, s[24:25]
	s_waitcnt lgkmcnt(0)
	v_add_u32_e32 v44, v15, v44
	v_lshlrev_b32_e32 v60, 2, v60
	ds_bpermute_b32 v44, v60, v44
	v_cmp_eq_u32_e64 s[24:25], 0, v13
	s_waitcnt lgkmcnt(0)
	v_cndmask_b32_e64 v15, v44, v15, s[24:25]
	v_cmp_ne_u32_e64 s[24:25], 0, v0
	v_cndmask_b32_e64 v15, 0, v15, s[24:25]
	v_add_u32_e32 v5, v15, v5
	v_add_u32_e32 v6, v5, v6
	;; [unrolled: 1-line block ×4, first 2 shown]
	ds_write2_b32 v16, v15, v5 offset0:4 offset1:5
	ds_write2_b32 v16, v6, v3 offset0:6 offset1:7
	ds_write_b32 v16, v4 offset:32
	s_waitcnt lgkmcnt(0)
	s_barrier
	ds_read_b32 v4, v20 offset:16
	ds_read_b32 v5, v24 offset:16
	;; [unrolled: 1-line block ×13, first 2 shown]
	v_add_u32_e32 v16, 1, v0
	s_movk_i32 s24, 0x100
	v_cmp_ne_u32_e64 s[24:25], s24, v16
	v_mov_b32_e32 v3, 0xc00
	s_and_saveexec_b64 s[26:27], s[24:25]
; %bb.56:
	v_mul_u32_u24_e32 v3, 20, v16
	ds_read_b32 v3, v3 offset:16
; %bb.57:
	s_or_b64 exec, exec, s[26:27]
	s_waitcnt lgkmcnt(12)
	v_add_u32_e32 v44, v4, v18
	s_waitcnt lgkmcnt(11)
	v_add3_u32 v43, v21, v19, v5
	v_lshlrev_b32_e32 v4, 1, v44
	s_waitcnt lgkmcnt(10)
	v_add3_u32 v42, v26, v23, v6
	s_waitcnt lgkmcnt(0)
	s_barrier
	ds_write_b16 v4, v12 offset:2048
	v_lshlrev_b32_e32 v4, 1, v43
	v_add3_u32 v41, v32, v27, v15
	ds_write_b16 v4, v17 offset:2048
	v_lshlrev_b32_e32 v4, 1, v42
	v_add3_u32 v40, v34, v33, v20
	;; [unrolled: 3-line block ×9, first 2 shown]
	ds_write_b16 v4, v7 offset:2048
	v_lshlrev_b32_e32 v4, 1, v34
	ds_write_b16 v4, v54 offset:2048
	v_lshlrev_b32_e32 v4, 1, v33
	ds_write_b16 v4, v8 offset:2048
	v_sub_u32_e32 v31, v3, v30
	v_lshl_or_b32 v3, s6, 8, v0
	v_mov_b32_e32 v4, 0
	v_lshlrev_b64 v[5:6], 2, v[3:4]
	v_mov_b32_e32 v9, s73
	v_add_co_u32_e64 v5, s[24:25], s72, v5
	v_addc_co_u32_e64 v6, s[24:25], v9, v6, s[24:25]
	v_or_b32_e32 v3, 2.0, v31
	s_mov_b64 s[26:27], 0
	s_brev_b32 s34, -4
	s_mov_b32 s35, s7
	v_mov_b32_e32 v10, 0
	s_waitcnt lgkmcnt(0)
	s_barrier
	global_store_dword v[5:6], v3, off
                                        ; implicit-def: $sgpr24_sgpr25
	s_branch .LBB72_60
.LBB72_58:                              ;   in Loop: Header=BB72_60 Depth=1
	s_or_b64 exec, exec, s[30:31]
.LBB72_59:                              ;   in Loop: Header=BB72_60 Depth=1
	s_or_b64 exec, exec, s[28:29]
	v_and_b32_e32 v7, 0x3fffffff, v3
	v_add_u32_e32 v10, v7, v10
	v_cmp_gt_i32_e64 s[24:25], -2.0, v3
	s_and_b64 s[28:29], exec, s[24:25]
	s_or_b64 s[26:27], s[28:29], s[26:27]
	s_andn2_b64 exec, exec, s[26:27]
	s_cbranch_execz .LBB72_65
.LBB72_60:                              ; =>This Loop Header: Depth=1
                                        ;     Child Loop BB72_63 Depth 2
	s_or_b64 s[24:25], s[24:25], exec
	s_cmp_eq_u32 s35, 0
	s_cbranch_scc1 .LBB72_64
; %bb.61:                               ;   in Loop: Header=BB72_60 Depth=1
	s_add_i32 s35, s35, -1
	v_lshl_or_b32 v3, s35, 8, v0
	v_lshlrev_b64 v[7:8], 2, v[3:4]
	v_add_co_u32_e64 v7, s[24:25], s72, v7
	v_addc_co_u32_e64 v8, s[24:25], v9, v8, s[24:25]
	global_load_dword v3, v[7:8], off glc
	s_waitcnt vmcnt(0)
	v_cmp_gt_u32_e64 s[24:25], 2.0, v3
	s_and_saveexec_b64 s[28:29], s[24:25]
	s_cbranch_execz .LBB72_59
; %bb.62:                               ;   in Loop: Header=BB72_60 Depth=1
	s_mov_b64 s[30:31], 0
.LBB72_63:                              ;   Parent Loop BB72_60 Depth=1
                                        ; =>  This Inner Loop Header: Depth=2
	global_load_dword v3, v[7:8], off glc
	s_waitcnt vmcnt(0)
	v_cmp_lt_u32_e64 s[24:25], s34, v3
	s_or_b64 s[30:31], s[24:25], s[30:31]
	s_andn2_b64 exec, exec, s[30:31]
	s_cbranch_execnz .LBB72_63
	s_branch .LBB72_58
.LBB72_64:                              ;   in Loop: Header=BB72_60 Depth=1
                                        ; implicit-def: $sgpr35
	s_and_b64 s[28:29], exec, s[24:25]
	s_or_b64 s[26:27], s[28:29], s[26:27]
	s_andn2_b64 exec, exec, s[26:27]
	s_cbranch_execnz .LBB72_60
.LBB72_65:
	s_or_b64 exec, exec, s[26:27]
	v_add_u32_e32 v3, v10, v31
	v_or_b32_e32 v3, 0x80000000, v3
	v_lshlrev_b32_e32 v32, 3, v0
	global_store_dword v[5:6], v3, off
	global_load_dwordx2 v[3:4], v32, s[64:65]
	v_sub_co_u32_e64 v5, s[24:25], v10, v30
	v_subb_co_u32_e64 v6, s[24:25], 0, 0, s[24:25]
	s_waitcnt vmcnt(0)
	v_add_co_u32_e64 v3, s[24:25], v5, v3
	v_addc_co_u32_e64 v4, s[24:25], v6, v4, s[24:25]
	v_cmp_gt_u32_e64 s[24:25], s70, v0
	ds_write_b64 v32, v[3:4]
	s_waitcnt lgkmcnt(0)
	s_barrier
	s_and_saveexec_b64 s[28:29], s[24:25]
	s_cbranch_execz .LBB72_67
; %bb.66:
	v_mad_i32_i24 v3, v0, -6, v32
	ds_read_u16 v5, v3 offset:2048
	v_mov_b32_e32 v6, s59
	v_lshlrev_b32_e32 v7, 1, v0
	s_waitcnt lgkmcnt(0)
	v_lshrrev_b32_sdwa v3, s68, v5 dst_sel:DWORD dst_unused:UNUSED_PAD src0_sel:DWORD src1_sel:WORD_0
	v_and_b32_e32 v3, s74, v3
	v_lshlrev_b32_e32 v3, 3, v3
	ds_read_b64 v[3:4], v3
	v_xor_b32_e32 v5, 0xffff8000, v5
	s_waitcnt lgkmcnt(0)
	v_lshlrev_b64 v[3:4], 1, v[3:4]
	v_add_co_u32_e64 v3, s[26:27], s58, v3
	v_addc_co_u32_e64 v4, s[26:27], v6, v4, s[26:27]
	v_add_co_u32_e64 v3, s[26:27], v3, v7
	v_addc_co_u32_e64 v4, s[26:27], 0, v4, s[26:27]
	global_store_short v[3:4], v5, off
.LBB72_67:
	s_or_b64 exec, exec, s[28:29]
	v_or_b32_e32 v3, 0x100, v0
	v_cmp_gt_u32_e64 s[26:27], s70, v3
	s_and_saveexec_b64 s[30:31], s[26:27]
	s_cbranch_execz .LBB72_69
; %bb.68:
	v_mad_i32_i24 v3, v0, -6, v32
	ds_read_u16 v5, v3 offset:2560
	v_mov_b32_e32 v6, s59
	v_lshlrev_b32_e32 v7, 1, v0
	s_waitcnt lgkmcnt(0)
	v_lshrrev_b32_sdwa v3, s68, v5 dst_sel:DWORD dst_unused:UNUSED_PAD src0_sel:DWORD src1_sel:WORD_0
	v_and_b32_e32 v3, s74, v3
	v_lshlrev_b32_e32 v3, 3, v3
	ds_read_b64 v[3:4], v3
	v_xor_b32_e32 v5, 0xffff8000, v5
	s_waitcnt lgkmcnt(0)
	v_lshlrev_b64 v[3:4], 1, v[3:4]
	v_add_co_u32_e64 v3, s[28:29], s58, v3
	v_addc_co_u32_e64 v4, s[28:29], v6, v4, s[28:29]
	v_add_co_u32_e64 v3, s[28:29], v3, v7
	v_addc_co_u32_e64 v4, s[28:29], 0, v4, s[28:29]
	global_store_short v[3:4], v5, off offset:512
.LBB72_69:
	s_or_b64 exec, exec, s[30:31]
	v_or_b32_e32 v45, 0x200, v0
	v_cmp_gt_u32_e64 s[28:29], s70, v45
	s_and_saveexec_b64 s[34:35], s[28:29]
	s_cbranch_execz .LBB72_71
; %bb.70:
	v_mad_i32_i24 v3, v0, -6, v32
	ds_read_u16 v5, v3 offset:3072
	v_mov_b32_e32 v6, s59
	v_lshlrev_b32_e32 v7, 1, v0
	s_waitcnt lgkmcnt(0)
	v_lshrrev_b32_sdwa v3, s68, v5 dst_sel:DWORD dst_unused:UNUSED_PAD src0_sel:DWORD src1_sel:WORD_0
	v_and_b32_e32 v3, s74, v3
	v_lshlrev_b32_e32 v3, 3, v3
	ds_read_b64 v[3:4], v3
	v_xor_b32_e32 v5, 0xffff8000, v5
	s_waitcnt lgkmcnt(0)
	v_lshlrev_b64 v[3:4], 1, v[3:4]
	v_add_co_u32_e64 v3, s[30:31], s58, v3
	v_addc_co_u32_e64 v4, s[30:31], v6, v4, s[30:31]
	v_add_co_u32_e64 v3, s[30:31], v3, v7
	v_addc_co_u32_e64 v4, s[30:31], 0, v4, s[30:31]
	global_store_short v[3:4], v5, off offset:1024
.LBB72_71:
	;; [unrolled: 24-line block ×6, first 2 shown]
	s_or_b64 exec, exec, s[42:43]
	v_or_b32_e32 v50, 0x700, v0
	v_cmp_gt_u32_e64 s[40:41], s70, v50
	s_and_saveexec_b64 s[44:45], s[40:41]
	s_cbranch_execz .LBB72_81
; %bb.80:
	v_lshlrev_b32_e32 v5, 1, v0
	ds_read_u16 v6, v5 offset:5632
	v_mov_b32_e32 v7, s59
	s_waitcnt lgkmcnt(0)
	v_lshrrev_b32_sdwa v3, s68, v6 dst_sel:DWORD dst_unused:UNUSED_PAD src0_sel:DWORD src1_sel:WORD_0
	v_and_b32_e32 v3, s74, v3
	v_lshlrev_b32_e32 v3, 3, v3
	ds_read_b64 v[3:4], v3
	v_xor_b32_e32 v6, 0xffff8000, v6
	s_waitcnt lgkmcnt(0)
	v_lshlrev_b64 v[3:4], 1, v[3:4]
	v_add_co_u32_e64 v3, s[42:43], s58, v3
	v_addc_co_u32_e64 v4, s[42:43], v7, v4, s[42:43]
	v_add_co_u32_e64 v3, s[42:43], v3, v5
	v_addc_co_u32_e64 v4, s[42:43], 0, v4, s[42:43]
	global_store_short v[3:4], v6, off offset:3584
.LBB72_81:
	s_or_b64 exec, exec, s[44:45]
	v_or_b32_e32 v51, 0x800, v0
	v_cmp_gt_u32_e64 s[42:43], s70, v51
	s_and_saveexec_b64 s[46:47], s[42:43]
	s_cbranch_execz .LBB72_83
; %bb.82:
	v_lshlrev_b32_e32 v3, 1, v0
	ds_read_u16 v5, v3 offset:6144
	v_mov_b32_e32 v6, s59
	v_lshlrev_b32_e32 v7, 1, v51
	s_waitcnt lgkmcnt(0)
	v_lshrrev_b32_sdwa v3, s68, v5 dst_sel:DWORD dst_unused:UNUSED_PAD src0_sel:DWORD src1_sel:WORD_0
	v_and_b32_e32 v3, s74, v3
	v_lshlrev_b32_e32 v3, 3, v3
	ds_read_b64 v[3:4], v3
	v_xor_b32_e32 v5, 0xffff8000, v5
	s_waitcnt lgkmcnt(0)
	v_lshlrev_b64 v[3:4], 1, v[3:4]
	v_add_co_u32_e64 v3, s[44:45], s58, v3
	v_addc_co_u32_e64 v4, s[44:45], v6, v4, s[44:45]
	v_add_co_u32_e64 v3, s[44:45], v3, v7
	v_addc_co_u32_e64 v4, s[44:45], 0, v4, s[44:45]
	global_store_short v[3:4], v5, off
.LBB72_83:
	s_or_b64 exec, exec, s[46:47]
	v_or_b32_e32 v52, 0x900, v0
	v_cmp_gt_u32_e64 s[44:45], s70, v52
	s_and_saveexec_b64 s[48:49], s[44:45]
	s_cbranch_execz .LBB72_85
; %bb.84:
	v_lshlrev_b32_e32 v3, 1, v0
	ds_read_u16 v5, v3 offset:6656
	v_mov_b32_e32 v6, s59
	v_lshlrev_b32_e32 v7, 1, v52
	s_waitcnt lgkmcnt(0)
	v_lshrrev_b32_sdwa v3, s68, v5 dst_sel:DWORD dst_unused:UNUSED_PAD src0_sel:DWORD src1_sel:WORD_0
	v_and_b32_e32 v3, s74, v3
	v_lshlrev_b32_e32 v3, 3, v3
	ds_read_b64 v[3:4], v3
	v_xor_b32_e32 v5, 0xffff8000, v5
	s_waitcnt lgkmcnt(0)
	v_lshlrev_b64 v[3:4], 1, v[3:4]
	v_add_co_u32_e64 v3, s[46:47], s58, v3
	v_addc_co_u32_e64 v4, s[46:47], v6, v4, s[46:47]
	v_add_co_u32_e64 v3, s[46:47], v3, v7
	v_addc_co_u32_e64 v4, s[46:47], 0, v4, s[46:47]
	global_store_short v[3:4], v5, off
.LBB72_85:
	;; [unrolled: 24-line block ×4, first 2 shown]
	s_or_b64 exec, exec, s[70:71]
	s_lshl_b64 s[52:53], s[54:55], 3
	s_add_u32 s52, s60, s52
	s_addc_u32 s53, s61, s53
	v_lshlrev_b32_e32 v3, 3, v13
	v_mov_b32_e32 v4, s53
	v_add_co_u32_e64 v3, s[52:53], s52, v3
	v_addc_co_u32_e64 v4, s[52:53], 0, v4, s[52:53]
	v_lshlrev_b32_e32 v5, 3, v14
	v_add_co_u32_e64 v27, s[52:53], v3, v5
	v_addc_co_u32_e64 v28, s[52:53], 0, v4, s[52:53]
                                        ; implicit-def: $vgpr3_vgpr4
	s_and_saveexec_b64 s[52:53], vcc
	s_xor_b64 s[52:53], exec, s[52:53]
	s_cbranch_execz .LBB72_101
; %bb.90:
	global_load_dwordx2 v[3:4], v[27:28], off
	s_or_b64 exec, exec, s[52:53]
                                        ; implicit-def: $vgpr5_vgpr6
	s_and_saveexec_b64 s[52:53], s[0:1]
	s_cbranch_execnz .LBB72_102
.LBB72_91:
	s_or_b64 exec, exec, s[52:53]
                                        ; implicit-def: $vgpr7_vgpr8
	s_and_saveexec_b64 s[0:1], s[2:3]
	s_cbranch_execz .LBB72_103
.LBB72_92:
	global_load_dwordx2 v[7:8], v[27:28], off offset:1024
	s_or_b64 exec, exec, s[0:1]
                                        ; implicit-def: $vgpr9_vgpr10
	s_and_saveexec_b64 s[0:1], s[50:51]
	s_cbranch_execnz .LBB72_104
.LBB72_93:
	s_or_b64 exec, exec, s[0:1]
                                        ; implicit-def: $vgpr11_vgpr12
	s_and_saveexec_b64 s[0:1], s[8:9]
	s_cbranch_execz .LBB72_105
.LBB72_94:
	global_load_dwordx2 v[11:12], v[27:28], off offset:2048
	s_or_b64 exec, exec, s[0:1]
                                        ; implicit-def: $vgpr13_vgpr14
	s_and_saveexec_b64 s[0:1], s[10:11]
	s_cbranch_execnz .LBB72_106
.LBB72_95:
	s_or_b64 exec, exec, s[0:1]
                                        ; implicit-def: $vgpr15_vgpr16
	s_and_saveexec_b64 s[0:1], s[12:13]
	s_cbranch_execz .LBB72_107
.LBB72_96:
	global_load_dwordx2 v[15:16], v[27:28], off offset:3072
	s_or_b64 exec, exec, s[0:1]
                                        ; implicit-def: $vgpr17_vgpr18
	s_and_saveexec_b64 s[0:1], s[14:15]
	s_cbranch_execnz .LBB72_108
.LBB72_97:
	s_or_b64 exec, exec, s[0:1]
                                        ; implicit-def: $vgpr19_vgpr20
	s_and_saveexec_b64 s[0:1], s[16:17]
	s_cbranch_execz .LBB72_109
.LBB72_98:
	v_add_co_u32_e32 v19, vcc, 0x1000, v27
	v_addc_co_u32_e32 v20, vcc, 0, v28, vcc
	global_load_dwordx2 v[19:20], v[19:20], off
	s_or_b64 exec, exec, s[0:1]
                                        ; implicit-def: $vgpr21_vgpr22
	s_and_saveexec_b64 s[0:1], s[18:19]
	s_cbranch_execnz .LBB72_110
.LBB72_99:
	s_or_b64 exec, exec, s[0:1]
                                        ; implicit-def: $vgpr23_vgpr24
	s_and_saveexec_b64 s[0:1], s[20:21]
	s_cbranch_execz .LBB72_111
.LBB72_100:
	v_add_co_u32_e32 v23, vcc, 0x1000, v27
	v_addc_co_u32_e32 v24, vcc, 0, v28, vcc
	global_load_dwordx2 v[23:24], v[23:24], off offset:1024
	s_or_b64 exec, exec, s[0:1]
                                        ; implicit-def: $vgpr25_vgpr26
	s_and_saveexec_b64 s[0:1], s[22:23]
	s_cbranch_execnz .LBB72_112
	s_branch .LBB72_113
.LBB72_101:
	s_or_b64 exec, exec, s[52:53]
                                        ; implicit-def: $vgpr5_vgpr6
	s_and_saveexec_b64 s[52:53], s[0:1]
	s_cbranch_execz .LBB72_91
.LBB72_102:
	global_load_dwordx2 v[5:6], v[27:28], off offset:512
	s_or_b64 exec, exec, s[52:53]
                                        ; implicit-def: $vgpr7_vgpr8
	s_and_saveexec_b64 s[0:1], s[2:3]
	s_cbranch_execnz .LBB72_92
.LBB72_103:
	s_or_b64 exec, exec, s[0:1]
                                        ; implicit-def: $vgpr9_vgpr10
	s_and_saveexec_b64 s[0:1], s[50:51]
	s_cbranch_execz .LBB72_93
.LBB72_104:
	global_load_dwordx2 v[9:10], v[27:28], off offset:1536
	s_or_b64 exec, exec, s[0:1]
                                        ; implicit-def: $vgpr11_vgpr12
	s_and_saveexec_b64 s[0:1], s[8:9]
	s_cbranch_execnz .LBB72_94
.LBB72_105:
	s_or_b64 exec, exec, s[0:1]
                                        ; implicit-def: $vgpr13_vgpr14
	s_and_saveexec_b64 s[0:1], s[10:11]
	s_cbranch_execz .LBB72_95
.LBB72_106:
	global_load_dwordx2 v[13:14], v[27:28], off offset:2560
	s_or_b64 exec, exec, s[0:1]
                                        ; implicit-def: $vgpr15_vgpr16
	s_and_saveexec_b64 s[0:1], s[12:13]
	s_cbranch_execnz .LBB72_96
.LBB72_107:
	s_or_b64 exec, exec, s[0:1]
                                        ; implicit-def: $vgpr17_vgpr18
	s_and_saveexec_b64 s[0:1], s[14:15]
	s_cbranch_execz .LBB72_97
.LBB72_108:
	global_load_dwordx2 v[17:18], v[27:28], off offset:3584
	s_or_b64 exec, exec, s[0:1]
                                        ; implicit-def: $vgpr19_vgpr20
	s_and_saveexec_b64 s[0:1], s[16:17]
	s_cbranch_execnz .LBB72_98
.LBB72_109:
	s_or_b64 exec, exec, s[0:1]
                                        ; implicit-def: $vgpr21_vgpr22
	s_and_saveexec_b64 s[0:1], s[18:19]
	s_cbranch_execz .LBB72_99
.LBB72_110:
	v_add_co_u32_e32 v21, vcc, 0x1000, v27
	v_addc_co_u32_e32 v22, vcc, 0, v28, vcc
	global_load_dwordx2 v[21:22], v[21:22], off offset:512
	s_or_b64 exec, exec, s[0:1]
                                        ; implicit-def: $vgpr23_vgpr24
	s_and_saveexec_b64 s[0:1], s[20:21]
	s_cbranch_execnz .LBB72_100
.LBB72_111:
	s_or_b64 exec, exec, s[0:1]
                                        ; implicit-def: $vgpr25_vgpr26
	s_and_saveexec_b64 s[0:1], s[22:23]
	s_cbranch_execz .LBB72_113
.LBB72_112:
	v_add_co_u32_e32 v25, vcc, 0x1000, v27
	v_addc_co_u32_e32 v26, vcc, 0, v28, vcc
	global_load_dwordx2 v[25:26], v[25:26], off offset:1536
.LBB72_113:
	s_or_b64 exec, exec, s[0:1]
	v_mov_b32_e32 v62, 0
	v_mov_b32_e32 v64, 0
	s_and_saveexec_b64 s[0:1], s[24:25]
	s_cbranch_execz .LBB72_115
; %bb.114:
	v_lshlrev_b32_e32 v27, 1, v0
	ds_read_u16 v27, v27 offset:2048
	s_waitcnt lgkmcnt(0)
	v_lshrrev_b32_e32 v27, s68, v27
	v_and_b32_e32 v64, s74, v27
.LBB72_115:
	s_or_b64 exec, exec, s[0:1]
	s_and_saveexec_b64 s[0:1], s[26:27]
	s_cbranch_execz .LBB72_117
; %bb.116:
	v_lshlrev_b32_e32 v27, 1, v0
	ds_read_u16 v27, v27 offset:2560
	s_waitcnt lgkmcnt(0)
	v_lshrrev_b32_e32 v27, s68, v27
	v_and_b32_e32 v62, s74, v27
.LBB72_117:
	s_or_b64 exec, exec, s[0:1]
	v_mov_b32_e32 v60, 0
	v_mov_b32_e32 v63, 0
	s_and_saveexec_b64 s[0:1], s[28:29]
	s_cbranch_execz .LBB72_119
; %bb.118:
	v_lshlrev_b32_e32 v27, 1, v0
	ds_read_u16 v27, v27 offset:3072
	s_waitcnt lgkmcnt(0)
	v_lshrrev_b32_e32 v27, s68, v27
	v_and_b32_e32 v63, s74, v27
.LBB72_119:
	s_or_b64 exec, exec, s[0:1]
	s_and_saveexec_b64 s[0:1], s[30:31]
	s_cbranch_execz .LBB72_121
; %bb.120:
	v_lshlrev_b32_e32 v27, 1, v0
	ds_read_u16 v27, v27 offset:3584
	s_waitcnt lgkmcnt(0)
	v_lshrrev_b32_e32 v27, s68, v27
	v_and_b32_e32 v60, s74, v27
.LBB72_121:
	;; [unrolled: 22-line block ×6, first 2 shown]
	s_or_b64 exec, exec, s[0:1]
	v_lshlrev_b32_e32 v44, 3, v44
	s_waitcnt vmcnt(0)
	s_barrier
	ds_write_b64 v44, v[3:4] offset:2048
	v_lshlrev_b32_e32 v3, 3, v43
	ds_write_b64 v3, v[5:6] offset:2048
	v_lshlrev_b32_e32 v3, 3, v42
	;; [unrolled: 2-line block ×11, first 2 shown]
	ds_write_b64 v3, v[25:26] offset:2048
	s_waitcnt lgkmcnt(0)
	s_barrier
	s_and_saveexec_b64 s[0:1], s[24:25]
	s_cbranch_execz .LBB72_196
; %bb.138:
	v_lshlrev_b32_e32 v3, 3, v64
	ds_read_b64 v[3:4], v3
	ds_read_b64 v[5:6], v32 offset:2048
	v_mov_b32_e32 v7, s63
	s_waitcnt lgkmcnt(1)
	v_lshlrev_b64 v[3:4], 3, v[3:4]
	v_add_co_u32_e32 v3, vcc, s62, v3
	v_addc_co_u32_e32 v4, vcc, v7, v4, vcc
	v_add_co_u32_e32 v3, vcc, v3, v32
	v_addc_co_u32_e32 v4, vcc, 0, v4, vcc
	s_waitcnt lgkmcnt(0)
	global_store_dwordx2 v[3:4], v[5:6], off
	s_or_b64 exec, exec, s[0:1]
	s_and_saveexec_b64 s[0:1], s[26:27]
	s_cbranch_execnz .LBB72_197
.LBB72_139:
	s_or_b64 exec, exec, s[0:1]
	s_and_saveexec_b64 s[0:1], s[28:29]
	s_cbranch_execz .LBB72_198
.LBB72_140:
	v_lshlrev_b32_e32 v3, 3, v63
	ds_read_b64 v[3:4], v3
	ds_read_b64 v[5:6], v32 offset:6144
	v_mov_b32_e32 v7, s63
	s_waitcnt lgkmcnt(1)
	v_lshlrev_b64 v[3:4], 3, v[3:4]
	v_add_co_u32_e32 v3, vcc, s62, v3
	v_addc_co_u32_e32 v4, vcc, v7, v4, vcc
	v_lshlrev_b32_e32 v7, 3, v45
	v_add_co_u32_e32 v3, vcc, v3, v7
	v_addc_co_u32_e32 v4, vcc, 0, v4, vcc
	s_waitcnt lgkmcnt(0)
	global_store_dwordx2 v[3:4], v[5:6], off
	s_or_b64 exec, exec, s[0:1]
	s_and_saveexec_b64 s[0:1], s[30:31]
	s_cbranch_execnz .LBB72_199
.LBB72_141:
	s_or_b64 exec, exec, s[0:1]
	s_and_saveexec_b64 s[0:1], s[34:35]
	s_cbranch_execz .LBB72_200
.LBB72_142:
	v_lshlrev_b32_e32 v3, 3, v61
	ds_read_b64 v[3:4], v3
	ds_read_b64 v[5:6], v32 offset:10240
	v_mov_b32_e32 v7, s63
	s_waitcnt lgkmcnt(1)
	v_lshlrev_b64 v[3:4], 3, v[3:4]
	v_add_co_u32_e32 v3, vcc, s62, v3
	v_addc_co_u32_e32 v4, vcc, v7, v4, vcc
	v_lshlrev_b32_e32 v7, 3, v47
	v_add_co_u32_e32 v3, vcc, v3, v7
	v_addc_co_u32_e32 v4, vcc, 0, v4, vcc
	s_waitcnt lgkmcnt(0)
	global_store_dwordx2 v[3:4], v[5:6], off
	s_or_b64 exec, exec, s[0:1]
	s_and_saveexec_b64 s[0:1], s[36:37]
	s_cbranch_execnz .LBB72_201
.LBB72_143:
	s_or_b64 exec, exec, s[0:1]
	s_and_saveexec_b64 s[0:1], s[38:39]
	s_cbranch_execz .LBB72_202
.LBB72_144:
	v_lshlrev_b32_e32 v3, 3, v59
	ds_read_b64 v[3:4], v3
	ds_read_b64 v[5:6], v32 offset:14336
	v_mov_b32_e32 v7, s63
	s_waitcnt lgkmcnt(1)
	v_lshlrev_b64 v[3:4], 3, v[3:4]
	v_add_co_u32_e32 v3, vcc, s62, v3
	v_addc_co_u32_e32 v4, vcc, v7, v4, vcc
	v_lshlrev_b32_e32 v7, 3, v49
	v_add_co_u32_e32 v3, vcc, v3, v7
	v_addc_co_u32_e32 v4, vcc, 0, v4, vcc
	s_waitcnt lgkmcnt(0)
	global_store_dwordx2 v[3:4], v[5:6], off
	s_or_b64 exec, exec, s[0:1]
	s_and_saveexec_b64 s[0:1], s[40:41]
	s_cbranch_execnz .LBB72_203
.LBB72_145:
	s_or_b64 exec, exec, s[0:1]
	s_and_saveexec_b64 s[0:1], s[42:43]
	s_cbranch_execz .LBB72_204
.LBB72_146:
	v_lshlrev_b32_e32 v3, 3, v57
	ds_read_b64 v[3:4], v3
	ds_read_b64 v[5:6], v32 offset:18432
	v_mov_b32_e32 v7, s63
	s_waitcnt lgkmcnt(1)
	v_lshlrev_b64 v[3:4], 3, v[3:4]
	v_add_co_u32_e32 v3, vcc, s62, v3
	v_addc_co_u32_e32 v4, vcc, v7, v4, vcc
	v_lshlrev_b32_e32 v7, 3, v51
	v_add_co_u32_e32 v3, vcc, v3, v7
	v_addc_co_u32_e32 v4, vcc, 0, v4, vcc
	s_waitcnt lgkmcnt(0)
	global_store_dwordx2 v[3:4], v[5:6], off
	s_or_b64 exec, exec, s[0:1]
	s_and_saveexec_b64 s[0:1], s[44:45]
	s_cbranch_execnz .LBB72_205
.LBB72_147:
	s_or_b64 exec, exec, s[0:1]
	s_and_saveexec_b64 s[0:1], s[46:47]
	s_cbranch_execz .LBB72_206
.LBB72_148:
	v_lshlrev_b32_e32 v3, 3, v55
	ds_read_b64 v[3:4], v3
	ds_read_b64 v[5:6], v32 offset:22528
	v_mov_b32_e32 v7, s63
	s_waitcnt lgkmcnt(1)
	v_lshlrev_b64 v[3:4], 3, v[3:4]
	v_add_co_u32_e32 v3, vcc, s62, v3
	v_addc_co_u32_e32 v4, vcc, v7, v4, vcc
	v_lshlrev_b32_e32 v7, 3, v53
	v_add_co_u32_e32 v3, vcc, v3, v7
	v_addc_co_u32_e32 v4, vcc, 0, v4, vcc
	s_waitcnt lgkmcnt(0)
	global_store_dwordx2 v[3:4], v[5:6], off
	s_or_b64 exec, exec, s[0:1]
	s_and_saveexec_b64 s[0:1], s[48:49]
	s_cbranch_execnz .LBB72_207
.LBB72_149:
	s_or_b64 exec, exec, s[0:1]
	s_add_i32 s33, s33, -1
	s_cmp_eq_u32 s6, s33
	s_cbranch_scc0 .LBB72_151
.LBB72_150:
	ds_read_b64 v[3:4], v32
	v_add_co_u32_e32 v5, vcc, v31, v30
	v_addc_co_u32_e64 v6, s[0:1], 0, 0, vcc
	s_waitcnt lgkmcnt(0)
	v_add_co_u32_e32 v3, vcc, v5, v3
	v_addc_co_u32_e32 v4, vcc, v6, v4, vcc
	global_store_dwordx2 v32, v[3:4], s[66:67]
.LBB72_151:
	s_mov_b64 s[0:1], 0
.LBB72_152:
	s_and_b64 vcc, exec, s[0:1]
	s_cbranch_vccz .LBB72_195
; %bb.153:
	s_mov_b32 s55, 0
	s_lshl_b64 s[0:1], s[54:55], 1
	v_mbcnt_hi_u32_b32 v8, -1, v29
	s_add_u32 s0, s56, s0
	v_lshlrev_b32_e32 v4, 1, v8
	v_add_co_u32_e32 v4, vcc, s0, v4
	s_load_dword s8, s[4:5], 0x50
	s_load_dword s0, s[4:5], 0x5c
	s_addc_u32 s1, s57, s1
	v_and_b32_e32 v9, 0xc0, v0
	v_mul_u32_u24_e32 v7, 12, v9
	v_mov_b32_e32 v5, s1
	s_add_u32 s1, s4, 0x50
	v_addc_co_u32_e32 v5, vcc, 0, v5, vcc
	v_lshlrev_b32_e32 v6, 1, v7
	s_addc_u32 s2, s5, 0
	s_waitcnt lgkmcnt(0)
	s_lshr_b32 s3, s0, 16
	v_add_co_u32_e32 v4, vcc, v4, v6
	s_cmp_lt_u32 s6, s8
	v_addc_co_u32_e32 v5, vcc, 0, v5, vcc
	s_cselect_b32 s0, 12, 18
	global_load_ushort v10, v[4:5], off
	s_add_u32 s0, s1, s0
	v_mov_b32_e32 v3, 0
	s_addc_u32 s1, s2, 0
	global_load_ushort v12, v3, s[0:1]
	v_mul_u32_u24_e32 v6, 20, v0
	ds_write2_b32 v6, v3, v3 offset0:4 offset1:5
	ds_write2_b32 v6, v3, v3 offset0:6 offset1:7
	ds_write_b32 v6, v3 offset:32
	global_load_ushort v11, v[4:5], off offset:128
	global_load_ushort v15, v[4:5], off offset:256
	;; [unrolled: 1-line block ×11, first 2 shown]
	s_lshl_b32 s0, -1, s69
	v_mad_u32_u24 v1, v2, s3, v1
	s_not_b32 s9, s0
	s_waitcnt vmcnt(0) lgkmcnt(0)
	s_barrier
	; wave barrier
	v_xor_b32_e32 v5, 0xffff8000, v10
	v_lshrrev_b32_sdwa v2, s68, v5 dst_sel:DWORD dst_unused:UNUSED_PAD src0_sel:DWORD src1_sel:WORD_0
	v_and_b32_e32 v13, s9, v2
	v_lshlrev_b32_e32 v4, 30, v13
	v_mad_u64_u32 v[1:2], s[0:1], v1, v12, v[0:1]
	v_and_b32_e32 v2, 1, v13
	v_add_co_u32_e32 v10, vcc, -1, v2
	v_addc_co_u32_e64 v12, s[0:1], 0, -1, vcc
	v_cmp_ne_u32_e32 vcc, 0, v2
	v_cmp_gt_i64_e64 s[0:1], 0, v[3:4]
	v_not_b32_e32 v2, v4
	v_lshlrev_b32_e32 v4, 29, v13
	v_xor_b32_e32 v12, vcc_hi, v12
	v_xor_b32_e32 v10, vcc_lo, v10
	v_ashrrev_i32_e32 v2, 31, v2
	v_cmp_gt_i64_e32 vcc, 0, v[3:4]
	v_not_b32_e32 v14, v4
	v_lshlrev_b32_e32 v4, 28, v13
	v_and_b32_e32 v12, exec_hi, v12
	v_and_b32_e32 v10, exec_lo, v10
	v_xor_b32_e32 v16, s1, v2
	v_xor_b32_e32 v2, s0, v2
	v_ashrrev_i32_e32 v14, 31, v14
	v_cmp_gt_i64_e64 s[0:1], 0, v[3:4]
	v_not_b32_e32 v17, v4
	v_lshlrev_b32_e32 v4, 27, v13
	v_lshrrev_b32_e32 v1, 6, v1
	v_and_b32_e32 v12, v12, v16
	v_and_b32_e32 v2, v10, v2
	v_xor_b32_e32 v10, vcc_hi, v14
	v_xor_b32_e32 v14, vcc_lo, v14
	v_ashrrev_i32_e32 v16, 31, v17
	v_cmp_gt_i64_e32 vcc, 0, v[3:4]
	v_not_b32_e32 v4, v4
	v_lshlrev_b32_e32 v20, 2, v1
	v_and_b32_e32 v1, v12, v10
	v_and_b32_e32 v2, v2, v14
	v_xor_b32_e32 v12, s1, v16
	v_xor_b32_e32 v14, s0, v16
	v_ashrrev_i32_e32 v4, 31, v4
	v_and_b32_e32 v1, v1, v12
	v_and_b32_e32 v2, v2, v14
	v_xor_b32_e32 v12, vcc_hi, v4
	v_xor_b32_e32 v4, vcc_lo, v4
	v_and_b32_e32 v2, v2, v4
	v_lshlrev_b32_e32 v4, 26, v13
	v_cmp_gt_i64_e32 vcc, 0, v[3:4]
	v_not_b32_e32 v4, v4
	v_ashrrev_i32_e32 v4, 31, v4
	v_and_b32_e32 v1, v1, v12
	v_xor_b32_e32 v12, vcc_hi, v4
	v_xor_b32_e32 v4, vcc_lo, v4
	v_and_b32_e32 v2, v2, v4
	v_lshlrev_b32_e32 v4, 25, v13
	v_cmp_gt_i64_e32 vcc, 0, v[3:4]
	v_not_b32_e32 v4, v4
	v_ashrrev_i32_e32 v4, 31, v4
	v_and_b32_e32 v1, v1, v12
	v_xor_b32_e32 v12, vcc_hi, v4
	v_xor_b32_e32 v4, vcc_lo, v4
	v_and_b32_e32 v1, v1, v12
	v_and_b32_e32 v12, v2, v4
	v_lshlrev_b32_e32 v4, 24, v13
	v_cmp_gt_i64_e32 vcc, 0, v[3:4]
	v_not_b32_e32 v2, v4
	v_ashrrev_i32_e32 v2, 31, v2
	v_mad_u32_u24 v10, v13, 20, v20
	v_xor_b32_e32 v4, vcc_hi, v2
	v_xor_b32_e32 v13, vcc_lo, v2
	v_and_b32_e32 v2, v1, v4
	v_and_b32_e32 v1, v12, v13
	v_mbcnt_lo_u32_b32 v4, v1, 0
	v_mbcnt_hi_u32_b32 v12, v2, v4
	v_cmp_ne_u64_e32 vcc, 0, v[1:2]
	v_cmp_eq_u32_e64 s[0:1], 0, v12
	s_and_b64 s[2:3], vcc, s[0:1]
	s_and_saveexec_b64 s[0:1], s[2:3]
; %bb.154:
	v_bcnt_u32_b32 v1, v1, 0
	v_bcnt_u32_b32 v1, v2, v1
	ds_write_b32 v10, v1 offset:16
; %bb.155:
	s_or_b64 exec, exec, s[0:1]
	v_xor_b32_e32 v11, 0xffff8000, v11
	v_lshrrev_b32_sdwa v1, s68, v11 dst_sel:DWORD dst_unused:UNUSED_PAD src0_sel:DWORD src1_sel:WORD_0
	v_and_b32_e32 v1, s9, v1
	v_and_b32_e32 v2, 1, v1
	v_add_co_u32_e32 v4, vcc, -1, v2
	v_addc_co_u32_e64 v16, s[0:1], 0, -1, vcc
	v_cmp_ne_u32_e32 vcc, 0, v2
	v_xor_b32_e32 v4, vcc_lo, v4
	v_xor_b32_e32 v2, vcc_hi, v16
	v_and_b32_e32 v16, exec_lo, v4
	v_lshlrev_b32_e32 v4, 30, v1
	v_cmp_gt_i64_e32 vcc, 0, v[3:4]
	v_not_b32_e32 v4, v4
	v_ashrrev_i32_e32 v4, 31, v4
	v_xor_b32_e32 v17, vcc_hi, v4
	v_xor_b32_e32 v4, vcc_lo, v4
	v_and_b32_e32 v16, v16, v4
	v_lshlrev_b32_e32 v4, 29, v1
	v_cmp_gt_i64_e32 vcc, 0, v[3:4]
	v_not_b32_e32 v4, v4
	v_and_b32_e32 v2, exec_hi, v2
	v_ashrrev_i32_e32 v4, 31, v4
	v_and_b32_e32 v2, v2, v17
	v_xor_b32_e32 v17, vcc_hi, v4
	v_xor_b32_e32 v4, vcc_lo, v4
	v_and_b32_e32 v16, v16, v4
	v_lshlrev_b32_e32 v4, 28, v1
	v_cmp_gt_i64_e32 vcc, 0, v[3:4]
	v_not_b32_e32 v4, v4
	v_ashrrev_i32_e32 v4, 31, v4
	v_and_b32_e32 v2, v2, v17
	v_xor_b32_e32 v17, vcc_hi, v4
	v_xor_b32_e32 v4, vcc_lo, v4
	v_and_b32_e32 v16, v16, v4
	v_lshlrev_b32_e32 v4, 27, v1
	v_cmp_gt_i64_e32 vcc, 0, v[3:4]
	v_not_b32_e32 v4, v4
	;; [unrolled: 8-line block ×4, first 2 shown]
	v_ashrrev_i32_e32 v4, 31, v4
	v_and_b32_e32 v2, v2, v17
	v_xor_b32_e32 v17, vcc_hi, v4
	v_xor_b32_e32 v4, vcc_lo, v4
	v_and_b32_e32 v16, v16, v4
	v_lshlrev_b32_e32 v4, 24, v1
	v_mad_u32_u24 v14, v1, 20, v20
	v_cmp_gt_i64_e32 vcc, 0, v[3:4]
	v_not_b32_e32 v1, v4
	v_ashrrev_i32_e32 v1, 31, v1
	v_xor_b32_e32 v3, vcc_hi, v1
	v_xor_b32_e32 v1, vcc_lo, v1
	; wave barrier
	ds_read_b32 v13, v14 offset:16
	v_and_b32_e32 v2, v2, v17
	v_and_b32_e32 v1, v16, v1
	;; [unrolled: 1-line block ×3, first 2 shown]
	v_mbcnt_lo_u32_b32 v3, v1, 0
	v_mbcnt_hi_u32_b32 v16, v2, v3
	v_cmp_ne_u64_e32 vcc, 0, v[1:2]
	v_cmp_eq_u32_e64 s[0:1], 0, v16
	s_and_b64 s[2:3], vcc, s[0:1]
	; wave barrier
	s_and_saveexec_b64 s[0:1], s[2:3]
	s_cbranch_execz .LBB72_157
; %bb.156:
	v_bcnt_u32_b32 v1, v1, 0
	v_bcnt_u32_b32 v1, v2, v1
	s_waitcnt lgkmcnt(0)
	v_add_u32_e32 v1, v13, v1
	ds_write_b32 v14, v1 offset:16
.LBB72_157:
	s_or_b64 exec, exec, s[0:1]
	v_xor_b32_e32 v15, 0xffff8000, v15
	v_lshrrev_b32_sdwa v1, s68, v15 dst_sel:DWORD dst_unused:UNUSED_PAD src0_sel:DWORD src1_sel:WORD_0
	v_and_b32_e32 v3, s9, v1
	v_and_b32_e32 v2, 1, v3
	v_add_co_u32_e32 v4, vcc, -1, v2
	v_addc_co_u32_e64 v22, s[0:1], 0, -1, vcc
	v_cmp_ne_u32_e32 vcc, 0, v2
	v_xor_b32_e32 v2, vcc_hi, v22
	v_mov_b32_e32 v1, 0
	v_and_b32_e32 v22, exec_hi, v2
	v_lshlrev_b32_e32 v2, 30, v3
	v_xor_b32_e32 v4, vcc_lo, v4
	v_cmp_gt_i64_e32 vcc, 0, v[1:2]
	v_not_b32_e32 v2, v2
	v_ashrrev_i32_e32 v2, 31, v2
	v_and_b32_e32 v4, exec_lo, v4
	v_xor_b32_e32 v23, vcc_hi, v2
	v_xor_b32_e32 v2, vcc_lo, v2
	v_and_b32_e32 v4, v4, v2
	v_lshlrev_b32_e32 v2, 29, v3
	v_cmp_gt_i64_e32 vcc, 0, v[1:2]
	v_not_b32_e32 v2, v2
	v_ashrrev_i32_e32 v2, 31, v2
	v_and_b32_e32 v22, v22, v23
	v_xor_b32_e32 v23, vcc_hi, v2
	v_xor_b32_e32 v2, vcc_lo, v2
	v_and_b32_e32 v4, v4, v2
	v_lshlrev_b32_e32 v2, 28, v3
	v_cmp_gt_i64_e32 vcc, 0, v[1:2]
	v_not_b32_e32 v2, v2
	v_ashrrev_i32_e32 v2, 31, v2
	v_and_b32_e32 v22, v22, v23
	;; [unrolled: 8-line block ×5, first 2 shown]
	v_xor_b32_e32 v23, vcc_hi, v2
	v_xor_b32_e32 v2, vcc_lo, v2
	v_and_b32_e32 v4, v4, v2
	v_lshlrev_b32_e32 v2, 24, v3
	v_cmp_gt_i64_e32 vcc, 0, v[1:2]
	v_not_b32_e32 v2, v2
	v_ashrrev_i32_e32 v2, 31, v2
	v_mad_u32_u24 v19, v3, 20, v20
	v_xor_b32_e32 v3, vcc_hi, v2
	v_xor_b32_e32 v2, vcc_lo, v2
	; wave barrier
	ds_read_b32 v17, v19 offset:16
	v_and_b32_e32 v22, v22, v23
	v_and_b32_e32 v2, v4, v2
	;; [unrolled: 1-line block ×3, first 2 shown]
	v_mbcnt_lo_u32_b32 v4, v2, 0
	v_mbcnt_hi_u32_b32 v22, v3, v4
	v_cmp_ne_u64_e32 vcc, 0, v[2:3]
	v_cmp_eq_u32_e64 s[0:1], 0, v22
	s_and_b64 s[2:3], vcc, s[0:1]
	; wave barrier
	s_and_saveexec_b64 s[0:1], s[2:3]
	s_cbranch_execz .LBB72_159
; %bb.158:
	v_bcnt_u32_b32 v2, v2, 0
	v_bcnt_u32_b32 v2, v3, v2
	s_waitcnt lgkmcnt(0)
	v_add_u32_e32 v2, v17, v2
	ds_write_b32 v19, v2 offset:16
.LBB72_159:
	s_or_b64 exec, exec, s[0:1]
	v_xor_b32_e32 v21, 0xffff8000, v21
	v_lshrrev_b32_sdwa v2, s68, v21 dst_sel:DWORD dst_unused:UNUSED_PAD src0_sel:DWORD src1_sel:WORD_0
	v_and_b32_e32 v3, s9, v2
	v_and_b32_e32 v2, 1, v3
	v_add_co_u32_e32 v4, vcc, -1, v2
	v_addc_co_u32_e64 v27, s[0:1], 0, -1, vcc
	v_cmp_ne_u32_e32 vcc, 0, v2
	v_xor_b32_e32 v2, vcc_hi, v27
	v_and_b32_e32 v27, exec_hi, v2
	v_lshlrev_b32_e32 v2, 30, v3
	v_xor_b32_e32 v4, vcc_lo, v4
	v_cmp_gt_i64_e32 vcc, 0, v[1:2]
	v_not_b32_e32 v2, v2
	v_ashrrev_i32_e32 v2, 31, v2
	v_and_b32_e32 v4, exec_lo, v4
	v_xor_b32_e32 v28, vcc_hi, v2
	v_xor_b32_e32 v2, vcc_lo, v2
	v_and_b32_e32 v4, v4, v2
	v_lshlrev_b32_e32 v2, 29, v3
	v_cmp_gt_i64_e32 vcc, 0, v[1:2]
	v_not_b32_e32 v2, v2
	v_ashrrev_i32_e32 v2, 31, v2
	v_and_b32_e32 v27, v27, v28
	v_xor_b32_e32 v28, vcc_hi, v2
	v_xor_b32_e32 v2, vcc_lo, v2
	v_and_b32_e32 v4, v4, v2
	v_lshlrev_b32_e32 v2, 28, v3
	v_cmp_gt_i64_e32 vcc, 0, v[1:2]
	v_not_b32_e32 v2, v2
	v_ashrrev_i32_e32 v2, 31, v2
	v_and_b32_e32 v27, v27, v28
	;; [unrolled: 8-line block ×5, first 2 shown]
	v_xor_b32_e32 v28, vcc_hi, v2
	v_xor_b32_e32 v2, vcc_lo, v2
	v_and_b32_e32 v4, v4, v2
	v_lshlrev_b32_e32 v2, 24, v3
	v_cmp_gt_i64_e32 vcc, 0, v[1:2]
	v_not_b32_e32 v1, v2
	v_ashrrev_i32_e32 v1, 31, v1
	v_mad_u32_u24 v25, v3, 20, v20
	v_xor_b32_e32 v2, vcc_hi, v1
	v_xor_b32_e32 v1, vcc_lo, v1
	; wave barrier
	ds_read_b32 v23, v25 offset:16
	v_and_b32_e32 v27, v27, v28
	v_and_b32_e32 v1, v4, v1
	;; [unrolled: 1-line block ×3, first 2 shown]
	v_mbcnt_lo_u32_b32 v3, v1, 0
	v_mbcnt_hi_u32_b32 v27, v2, v3
	v_cmp_ne_u64_e32 vcc, 0, v[1:2]
	v_cmp_eq_u32_e64 s[0:1], 0, v27
	s_and_b64 s[2:3], vcc, s[0:1]
	; wave barrier
	s_and_saveexec_b64 s[0:1], s[2:3]
	s_cbranch_execz .LBB72_161
; %bb.160:
	v_bcnt_u32_b32 v1, v1, 0
	v_bcnt_u32_b32 v1, v2, v1
	s_waitcnt lgkmcnt(0)
	v_add_u32_e32 v1, v23, v1
	ds_write_b32 v25, v1 offset:16
.LBB72_161:
	s_or_b64 exec, exec, s[0:1]
	v_xor_b32_e32 v26, 0xffff8000, v26
	v_lshrrev_b32_sdwa v1, s68, v26 dst_sel:DWORD dst_unused:UNUSED_PAD src0_sel:DWORD src1_sel:WORD_0
	v_and_b32_e32 v3, s9, v1
	v_and_b32_e32 v2, 1, v3
	v_add_co_u32_e32 v4, vcc, -1, v2
	v_addc_co_u32_e64 v32, s[0:1], 0, -1, vcc
	v_cmp_ne_u32_e32 vcc, 0, v2
	v_xor_b32_e32 v2, vcc_hi, v32
	v_mov_b32_e32 v1, 0
	v_and_b32_e32 v32, exec_hi, v2
	v_lshlrev_b32_e32 v2, 30, v3
	v_xor_b32_e32 v4, vcc_lo, v4
	v_cmp_gt_i64_e32 vcc, 0, v[1:2]
	v_not_b32_e32 v2, v2
	v_ashrrev_i32_e32 v2, 31, v2
	v_and_b32_e32 v4, exec_lo, v4
	v_xor_b32_e32 v33, vcc_hi, v2
	v_xor_b32_e32 v2, vcc_lo, v2
	v_and_b32_e32 v4, v4, v2
	v_lshlrev_b32_e32 v2, 29, v3
	v_cmp_gt_i64_e32 vcc, 0, v[1:2]
	v_not_b32_e32 v2, v2
	v_ashrrev_i32_e32 v2, 31, v2
	v_and_b32_e32 v32, v32, v33
	v_xor_b32_e32 v33, vcc_hi, v2
	v_xor_b32_e32 v2, vcc_lo, v2
	v_and_b32_e32 v4, v4, v2
	v_lshlrev_b32_e32 v2, 28, v3
	v_cmp_gt_i64_e32 vcc, 0, v[1:2]
	v_not_b32_e32 v2, v2
	v_ashrrev_i32_e32 v2, 31, v2
	v_and_b32_e32 v32, v32, v33
	;; [unrolled: 8-line block ×5, first 2 shown]
	v_xor_b32_e32 v33, vcc_hi, v2
	v_xor_b32_e32 v2, vcc_lo, v2
	v_and_b32_e32 v4, v4, v2
	v_lshlrev_b32_e32 v2, 24, v3
	v_cmp_gt_i64_e32 vcc, 0, v[1:2]
	v_not_b32_e32 v2, v2
	v_ashrrev_i32_e32 v2, 31, v2
	v_mad_u32_u24 v30, v3, 20, v20
	v_xor_b32_e32 v3, vcc_hi, v2
	v_xor_b32_e32 v2, vcc_lo, v2
	; wave barrier
	ds_read_b32 v28, v30 offset:16
	v_and_b32_e32 v32, v32, v33
	v_and_b32_e32 v2, v4, v2
	;; [unrolled: 1-line block ×3, first 2 shown]
	v_mbcnt_lo_u32_b32 v4, v2, 0
	v_mbcnt_hi_u32_b32 v32, v3, v4
	v_cmp_ne_u64_e32 vcc, 0, v[2:3]
	v_cmp_eq_u32_e64 s[0:1], 0, v32
	s_and_b64 s[2:3], vcc, s[0:1]
	; wave barrier
	s_and_saveexec_b64 s[0:1], s[2:3]
	s_cbranch_execz .LBB72_163
; %bb.162:
	v_bcnt_u32_b32 v2, v2, 0
	v_bcnt_u32_b32 v2, v3, v2
	s_waitcnt lgkmcnt(0)
	v_add_u32_e32 v2, v28, v2
	ds_write_b32 v30, v2 offset:16
.LBB72_163:
	s_or_b64 exec, exec, s[0:1]
	v_xor_b32_e32 v31, 0xffff8000, v31
	v_lshrrev_b32_sdwa v2, s68, v31 dst_sel:DWORD dst_unused:UNUSED_PAD src0_sel:DWORD src1_sel:WORD_0
	v_and_b32_e32 v3, s9, v2
	v_and_b32_e32 v2, 1, v3
	v_add_co_u32_e32 v4, vcc, -1, v2
	v_addc_co_u32_e64 v37, s[0:1], 0, -1, vcc
	v_cmp_ne_u32_e32 vcc, 0, v2
	v_xor_b32_e32 v2, vcc_hi, v37
	v_and_b32_e32 v37, exec_hi, v2
	v_lshlrev_b32_e32 v2, 30, v3
	v_xor_b32_e32 v4, vcc_lo, v4
	v_cmp_gt_i64_e32 vcc, 0, v[1:2]
	v_not_b32_e32 v2, v2
	v_ashrrev_i32_e32 v2, 31, v2
	v_and_b32_e32 v4, exec_lo, v4
	v_xor_b32_e32 v38, vcc_hi, v2
	v_xor_b32_e32 v2, vcc_lo, v2
	v_and_b32_e32 v4, v4, v2
	v_lshlrev_b32_e32 v2, 29, v3
	v_cmp_gt_i64_e32 vcc, 0, v[1:2]
	v_not_b32_e32 v2, v2
	v_ashrrev_i32_e32 v2, 31, v2
	v_and_b32_e32 v37, v37, v38
	v_xor_b32_e32 v38, vcc_hi, v2
	v_xor_b32_e32 v2, vcc_lo, v2
	v_and_b32_e32 v4, v4, v2
	v_lshlrev_b32_e32 v2, 28, v3
	v_cmp_gt_i64_e32 vcc, 0, v[1:2]
	v_not_b32_e32 v2, v2
	v_ashrrev_i32_e32 v2, 31, v2
	v_and_b32_e32 v37, v37, v38
	v_xor_b32_e32 v38, vcc_hi, v2
	v_xor_b32_e32 v2, vcc_lo, v2
	v_and_b32_e32 v4, v4, v2
	v_lshlrev_b32_e32 v2, 27, v3
	v_cmp_gt_i64_e32 vcc, 0, v[1:2]
	v_not_b32_e32 v2, v2
	v_ashrrev_i32_e32 v2, 31, v2
	v_and_b32_e32 v37, v37, v38
	v_xor_b32_e32 v38, vcc_hi, v2
	v_xor_b32_e32 v2, vcc_lo, v2
	v_and_b32_e32 v4, v4, v2
	v_lshlrev_b32_e32 v2, 26, v3
	v_cmp_gt_i64_e32 vcc, 0, v[1:2]
	v_not_b32_e32 v2, v2
	v_ashrrev_i32_e32 v2, 31, v2
	v_and_b32_e32 v37, v37, v38
	v_xor_b32_e32 v38, vcc_hi, v2
	v_xor_b32_e32 v2, vcc_lo, v2
	v_and_b32_e32 v4, v4, v2
	v_lshlrev_b32_e32 v2, 25, v3
	v_cmp_gt_i64_e32 vcc, 0, v[1:2]
	v_not_b32_e32 v2, v2
	v_ashrrev_i32_e32 v2, 31, v2
	v_and_b32_e32 v37, v37, v38
	v_xor_b32_e32 v38, vcc_hi, v2
	v_xor_b32_e32 v2, vcc_lo, v2
	v_and_b32_e32 v4, v4, v2
	v_lshlrev_b32_e32 v2, 24, v3
	v_cmp_gt_i64_e32 vcc, 0, v[1:2]
	v_not_b32_e32 v1, v2
	v_ashrrev_i32_e32 v1, 31, v1
	v_mad_u32_u24 v35, v3, 20, v20
	v_xor_b32_e32 v2, vcc_hi, v1
	v_xor_b32_e32 v1, vcc_lo, v1
	; wave barrier
	ds_read_b32 v33, v35 offset:16
	v_and_b32_e32 v37, v37, v38
	v_and_b32_e32 v1, v4, v1
	;; [unrolled: 1-line block ×3, first 2 shown]
	v_mbcnt_lo_u32_b32 v3, v1, 0
	v_mbcnt_hi_u32_b32 v37, v2, v3
	v_cmp_ne_u64_e32 vcc, 0, v[1:2]
	v_cmp_eq_u32_e64 s[0:1], 0, v37
	s_and_b64 s[2:3], vcc, s[0:1]
	; wave barrier
	s_and_saveexec_b64 s[0:1], s[2:3]
	s_cbranch_execz .LBB72_165
; %bb.164:
	v_bcnt_u32_b32 v1, v1, 0
	v_bcnt_u32_b32 v1, v2, v1
	s_waitcnt lgkmcnt(0)
	v_add_u32_e32 v1, v33, v1
	ds_write_b32 v35, v1 offset:16
.LBB72_165:
	s_or_b64 exec, exec, s[0:1]
	v_xor_b32_e32 v36, 0xffff8000, v36
	v_lshrrev_b32_sdwa v1, s68, v36 dst_sel:DWORD dst_unused:UNUSED_PAD src0_sel:DWORD src1_sel:WORD_0
	v_and_b32_e32 v3, s9, v1
	v_and_b32_e32 v2, 1, v3
	v_add_co_u32_e32 v4, vcc, -1, v2
	v_addc_co_u32_e64 v41, s[0:1], 0, -1, vcc
	v_cmp_ne_u32_e32 vcc, 0, v2
	v_xor_b32_e32 v2, vcc_hi, v41
	v_mov_b32_e32 v1, 0
	v_and_b32_e32 v41, exec_hi, v2
	v_lshlrev_b32_e32 v2, 30, v3
	v_xor_b32_e32 v4, vcc_lo, v4
	v_cmp_gt_i64_e32 vcc, 0, v[1:2]
	v_not_b32_e32 v2, v2
	v_ashrrev_i32_e32 v2, 31, v2
	v_and_b32_e32 v4, exec_lo, v4
	v_xor_b32_e32 v42, vcc_hi, v2
	v_xor_b32_e32 v2, vcc_lo, v2
	v_and_b32_e32 v4, v4, v2
	v_lshlrev_b32_e32 v2, 29, v3
	v_cmp_gt_i64_e32 vcc, 0, v[1:2]
	v_not_b32_e32 v2, v2
	v_ashrrev_i32_e32 v2, 31, v2
	v_and_b32_e32 v41, v41, v42
	v_xor_b32_e32 v42, vcc_hi, v2
	v_xor_b32_e32 v2, vcc_lo, v2
	v_and_b32_e32 v4, v4, v2
	v_lshlrev_b32_e32 v2, 28, v3
	v_cmp_gt_i64_e32 vcc, 0, v[1:2]
	v_not_b32_e32 v2, v2
	v_ashrrev_i32_e32 v2, 31, v2
	v_and_b32_e32 v41, v41, v42
	;; [unrolled: 8-line block ×5, first 2 shown]
	v_xor_b32_e32 v42, vcc_hi, v2
	v_xor_b32_e32 v2, vcc_lo, v2
	v_and_b32_e32 v4, v4, v2
	v_lshlrev_b32_e32 v2, 24, v3
	v_cmp_gt_i64_e32 vcc, 0, v[1:2]
	v_not_b32_e32 v2, v2
	v_ashrrev_i32_e32 v2, 31, v2
	v_mad_u32_u24 v40, v3, 20, v20
	v_xor_b32_e32 v3, vcc_hi, v2
	v_xor_b32_e32 v2, vcc_lo, v2
	; wave barrier
	ds_read_b32 v38, v40 offset:16
	v_and_b32_e32 v41, v41, v42
	v_and_b32_e32 v2, v4, v2
	;; [unrolled: 1-line block ×3, first 2 shown]
	v_mbcnt_lo_u32_b32 v4, v2, 0
	v_mbcnt_hi_u32_b32 v41, v3, v4
	v_cmp_ne_u64_e32 vcc, 0, v[2:3]
	v_cmp_eq_u32_e64 s[0:1], 0, v41
	s_and_b64 s[2:3], vcc, s[0:1]
	; wave barrier
	s_and_saveexec_b64 s[0:1], s[2:3]
	s_cbranch_execz .LBB72_167
; %bb.166:
	v_bcnt_u32_b32 v2, v2, 0
	v_bcnt_u32_b32 v2, v3, v2
	s_waitcnt lgkmcnt(0)
	v_add_u32_e32 v2, v38, v2
	ds_write_b32 v40, v2 offset:16
.LBB72_167:
	s_or_b64 exec, exec, s[0:1]
	v_xor_b32_e32 v39, 0xffff8000, v39
	v_lshrrev_b32_sdwa v2, s68, v39 dst_sel:DWORD dst_unused:UNUSED_PAD src0_sel:DWORD src1_sel:WORD_0
	v_and_b32_e32 v3, s9, v2
	v_and_b32_e32 v2, 1, v3
	v_add_co_u32_e32 v4, vcc, -1, v2
	v_addc_co_u32_e64 v44, s[0:1], 0, -1, vcc
	v_cmp_ne_u32_e32 vcc, 0, v2
	v_xor_b32_e32 v2, vcc_hi, v44
	v_and_b32_e32 v44, exec_hi, v2
	v_lshlrev_b32_e32 v2, 30, v3
	v_xor_b32_e32 v4, vcc_lo, v4
	v_cmp_gt_i64_e32 vcc, 0, v[1:2]
	v_not_b32_e32 v2, v2
	v_ashrrev_i32_e32 v2, 31, v2
	v_and_b32_e32 v4, exec_lo, v4
	v_xor_b32_e32 v45, vcc_hi, v2
	v_xor_b32_e32 v2, vcc_lo, v2
	v_and_b32_e32 v4, v4, v2
	v_lshlrev_b32_e32 v2, 29, v3
	v_cmp_gt_i64_e32 vcc, 0, v[1:2]
	v_not_b32_e32 v2, v2
	v_ashrrev_i32_e32 v2, 31, v2
	v_and_b32_e32 v44, v44, v45
	v_xor_b32_e32 v45, vcc_hi, v2
	v_xor_b32_e32 v2, vcc_lo, v2
	v_and_b32_e32 v4, v4, v2
	v_lshlrev_b32_e32 v2, 28, v3
	v_cmp_gt_i64_e32 vcc, 0, v[1:2]
	v_not_b32_e32 v2, v2
	v_ashrrev_i32_e32 v2, 31, v2
	v_and_b32_e32 v44, v44, v45
	v_xor_b32_e32 v45, vcc_hi, v2
	v_xor_b32_e32 v2, vcc_lo, v2
	v_and_b32_e32 v4, v4, v2
	v_lshlrev_b32_e32 v2, 27, v3
	v_cmp_gt_i64_e32 vcc, 0, v[1:2]
	v_not_b32_e32 v2, v2
	v_ashrrev_i32_e32 v2, 31, v2
	v_and_b32_e32 v44, v44, v45
	v_xor_b32_e32 v45, vcc_hi, v2
	v_xor_b32_e32 v2, vcc_lo, v2
	v_and_b32_e32 v4, v4, v2
	v_lshlrev_b32_e32 v2, 26, v3
	v_cmp_gt_i64_e32 vcc, 0, v[1:2]
	v_not_b32_e32 v2, v2
	v_ashrrev_i32_e32 v2, 31, v2
	v_and_b32_e32 v44, v44, v45
	v_xor_b32_e32 v45, vcc_hi, v2
	v_xor_b32_e32 v2, vcc_lo, v2
	v_and_b32_e32 v4, v4, v2
	v_lshlrev_b32_e32 v2, 25, v3
	v_cmp_gt_i64_e32 vcc, 0, v[1:2]
	v_not_b32_e32 v2, v2
	v_ashrrev_i32_e32 v2, 31, v2
	v_and_b32_e32 v44, v44, v45
	v_xor_b32_e32 v45, vcc_hi, v2
	v_xor_b32_e32 v2, vcc_lo, v2
	v_and_b32_e32 v4, v4, v2
	v_lshlrev_b32_e32 v2, 24, v3
	v_cmp_gt_i64_e32 vcc, 0, v[1:2]
	v_not_b32_e32 v1, v2
	v_ashrrev_i32_e32 v1, 31, v1
	v_mad_u32_u24 v43, v3, 20, v20
	v_xor_b32_e32 v2, vcc_hi, v1
	v_xor_b32_e32 v1, vcc_lo, v1
	; wave barrier
	ds_read_b32 v42, v43 offset:16
	v_and_b32_e32 v44, v44, v45
	v_and_b32_e32 v1, v4, v1
	;; [unrolled: 1-line block ×3, first 2 shown]
	v_mbcnt_lo_u32_b32 v3, v1, 0
	v_mbcnt_hi_u32_b32 v44, v2, v3
	v_cmp_ne_u64_e32 vcc, 0, v[1:2]
	v_cmp_eq_u32_e64 s[0:1], 0, v44
	s_and_b64 s[2:3], vcc, s[0:1]
	; wave barrier
	s_and_saveexec_b64 s[0:1], s[2:3]
	s_cbranch_execz .LBB72_169
; %bb.168:
	v_bcnt_u32_b32 v1, v1, 0
	v_bcnt_u32_b32 v1, v2, v1
	s_waitcnt lgkmcnt(0)
	v_add_u32_e32 v1, v42, v1
	ds_write_b32 v43, v1 offset:16
.LBB72_169:
	s_or_b64 exec, exec, s[0:1]
	v_xor_b32_e32 v34, 0xffff8000, v34
	v_lshrrev_b32_sdwa v1, s68, v34 dst_sel:DWORD dst_unused:UNUSED_PAD src0_sel:DWORD src1_sel:WORD_0
	v_and_b32_e32 v3, s9, v1
	v_and_b32_e32 v2, 1, v3
	v_add_co_u32_e32 v4, vcc, -1, v2
	v_addc_co_u32_e64 v47, s[0:1], 0, -1, vcc
	v_cmp_ne_u32_e32 vcc, 0, v2
	v_xor_b32_e32 v2, vcc_hi, v47
	v_mov_b32_e32 v1, 0
	v_and_b32_e32 v47, exec_hi, v2
	v_lshlrev_b32_e32 v2, 30, v3
	v_xor_b32_e32 v4, vcc_lo, v4
	v_cmp_gt_i64_e32 vcc, 0, v[1:2]
	v_not_b32_e32 v2, v2
	v_ashrrev_i32_e32 v2, 31, v2
	v_and_b32_e32 v4, exec_lo, v4
	v_xor_b32_e32 v48, vcc_hi, v2
	v_xor_b32_e32 v2, vcc_lo, v2
	v_and_b32_e32 v4, v4, v2
	v_lshlrev_b32_e32 v2, 29, v3
	v_cmp_gt_i64_e32 vcc, 0, v[1:2]
	v_not_b32_e32 v2, v2
	v_ashrrev_i32_e32 v2, 31, v2
	v_and_b32_e32 v47, v47, v48
	v_xor_b32_e32 v48, vcc_hi, v2
	v_xor_b32_e32 v2, vcc_lo, v2
	v_and_b32_e32 v4, v4, v2
	v_lshlrev_b32_e32 v2, 28, v3
	v_cmp_gt_i64_e32 vcc, 0, v[1:2]
	v_not_b32_e32 v2, v2
	v_ashrrev_i32_e32 v2, 31, v2
	v_and_b32_e32 v47, v47, v48
	;; [unrolled: 8-line block ×5, first 2 shown]
	v_xor_b32_e32 v48, vcc_hi, v2
	v_xor_b32_e32 v2, vcc_lo, v2
	v_and_b32_e32 v4, v4, v2
	v_lshlrev_b32_e32 v2, 24, v3
	v_cmp_gt_i64_e32 vcc, 0, v[1:2]
	v_not_b32_e32 v2, v2
	v_ashrrev_i32_e32 v2, 31, v2
	v_mad_u32_u24 v46, v3, 20, v20
	v_xor_b32_e32 v3, vcc_hi, v2
	v_xor_b32_e32 v2, vcc_lo, v2
	; wave barrier
	ds_read_b32 v45, v46 offset:16
	v_and_b32_e32 v47, v47, v48
	v_and_b32_e32 v2, v4, v2
	;; [unrolled: 1-line block ×3, first 2 shown]
	v_mbcnt_lo_u32_b32 v4, v2, 0
	v_mbcnt_hi_u32_b32 v48, v3, v4
	v_cmp_ne_u64_e32 vcc, 0, v[2:3]
	v_cmp_eq_u32_e64 s[0:1], 0, v48
	s_and_b64 s[2:3], vcc, s[0:1]
	; wave barrier
	s_and_saveexec_b64 s[0:1], s[2:3]
	s_cbranch_execz .LBB72_171
; %bb.170:
	v_bcnt_u32_b32 v2, v2, 0
	v_bcnt_u32_b32 v2, v3, v2
	s_waitcnt lgkmcnt(0)
	v_add_u32_e32 v2, v45, v2
	ds_write_b32 v46, v2 offset:16
.LBB72_171:
	s_or_b64 exec, exec, s[0:1]
	v_xor_b32_e32 v47, 0xffff8000, v29
	v_lshrrev_b32_sdwa v2, s68, v47 dst_sel:DWORD dst_unused:UNUSED_PAD src0_sel:DWORD src1_sel:WORD_0
	v_and_b32_e32 v3, s9, v2
	v_and_b32_e32 v2, 1, v3
	v_add_co_u32_e32 v4, vcc, -1, v2
	v_addc_co_u32_e64 v50, s[0:1], 0, -1, vcc
	v_cmp_ne_u32_e32 vcc, 0, v2
	v_xor_b32_e32 v2, vcc_hi, v50
	v_and_b32_e32 v50, exec_hi, v2
	v_lshlrev_b32_e32 v2, 30, v3
	v_xor_b32_e32 v4, vcc_lo, v4
	v_cmp_gt_i64_e32 vcc, 0, v[1:2]
	v_not_b32_e32 v2, v2
	v_ashrrev_i32_e32 v2, 31, v2
	v_and_b32_e32 v4, exec_lo, v4
	v_xor_b32_e32 v51, vcc_hi, v2
	v_xor_b32_e32 v2, vcc_lo, v2
	v_and_b32_e32 v4, v4, v2
	v_lshlrev_b32_e32 v2, 29, v3
	v_cmp_gt_i64_e32 vcc, 0, v[1:2]
	v_not_b32_e32 v2, v2
	v_ashrrev_i32_e32 v2, 31, v2
	v_and_b32_e32 v50, v50, v51
	v_xor_b32_e32 v51, vcc_hi, v2
	v_xor_b32_e32 v2, vcc_lo, v2
	v_and_b32_e32 v4, v4, v2
	v_lshlrev_b32_e32 v2, 28, v3
	v_cmp_gt_i64_e32 vcc, 0, v[1:2]
	v_not_b32_e32 v2, v2
	v_ashrrev_i32_e32 v2, 31, v2
	v_and_b32_e32 v50, v50, v51
	;; [unrolled: 8-line block ×5, first 2 shown]
	v_xor_b32_e32 v51, vcc_hi, v2
	v_xor_b32_e32 v2, vcc_lo, v2
	v_and_b32_e32 v4, v4, v2
	v_lshlrev_b32_e32 v2, 24, v3
	v_cmp_gt_i64_e32 vcc, 0, v[1:2]
	v_not_b32_e32 v1, v2
	v_ashrrev_i32_e32 v1, 31, v1
	v_mad_u32_u24 v29, v3, 20, v20
	v_xor_b32_e32 v2, vcc_hi, v1
	v_xor_b32_e32 v1, vcc_lo, v1
	; wave barrier
	ds_read_b32 v49, v29 offset:16
	v_and_b32_e32 v50, v50, v51
	v_and_b32_e32 v1, v4, v1
	;; [unrolled: 1-line block ×3, first 2 shown]
	v_mbcnt_lo_u32_b32 v3, v1, 0
	v_mbcnt_hi_u32_b32 v51, v2, v3
	v_cmp_ne_u64_e32 vcc, 0, v[1:2]
	v_cmp_eq_u32_e64 s[0:1], 0, v51
	s_and_b64 s[2:3], vcc, s[0:1]
	; wave barrier
	s_and_saveexec_b64 s[0:1], s[2:3]
	s_cbranch_execz .LBB72_173
; %bb.172:
	v_bcnt_u32_b32 v1, v1, 0
	v_bcnt_u32_b32 v1, v2, v1
	s_waitcnt lgkmcnt(0)
	v_add_u32_e32 v1, v49, v1
	ds_write_b32 v29, v1 offset:16
.LBB72_173:
	s_or_b64 exec, exec, s[0:1]
	v_xor_b32_e32 v50, 0xffff8000, v24
	v_lshrrev_b32_sdwa v1, s68, v50 dst_sel:DWORD dst_unused:UNUSED_PAD src0_sel:DWORD src1_sel:WORD_0
	v_and_b32_e32 v3, s9, v1
	v_and_b32_e32 v2, 1, v3
	v_add_co_u32_e32 v4, vcc, -1, v2
	v_addc_co_u32_e64 v53, s[0:1], 0, -1, vcc
	v_cmp_ne_u32_e32 vcc, 0, v2
	v_xor_b32_e32 v2, vcc_hi, v53
	v_mov_b32_e32 v1, 0
	v_and_b32_e32 v53, exec_hi, v2
	v_lshlrev_b32_e32 v2, 30, v3
	v_xor_b32_e32 v4, vcc_lo, v4
	v_cmp_gt_i64_e32 vcc, 0, v[1:2]
	v_not_b32_e32 v2, v2
	v_ashrrev_i32_e32 v2, 31, v2
	v_and_b32_e32 v4, exec_lo, v4
	v_xor_b32_e32 v54, vcc_hi, v2
	v_xor_b32_e32 v2, vcc_lo, v2
	v_and_b32_e32 v4, v4, v2
	v_lshlrev_b32_e32 v2, 29, v3
	v_cmp_gt_i64_e32 vcc, 0, v[1:2]
	v_not_b32_e32 v2, v2
	v_ashrrev_i32_e32 v2, 31, v2
	v_and_b32_e32 v53, v53, v54
	v_xor_b32_e32 v54, vcc_hi, v2
	v_xor_b32_e32 v2, vcc_lo, v2
	v_and_b32_e32 v4, v4, v2
	v_lshlrev_b32_e32 v2, 28, v3
	v_cmp_gt_i64_e32 vcc, 0, v[1:2]
	v_not_b32_e32 v2, v2
	v_ashrrev_i32_e32 v2, 31, v2
	v_and_b32_e32 v53, v53, v54
	;; [unrolled: 8-line block ×5, first 2 shown]
	v_xor_b32_e32 v54, vcc_hi, v2
	v_xor_b32_e32 v2, vcc_lo, v2
	v_and_b32_e32 v4, v4, v2
	v_lshlrev_b32_e32 v2, 24, v3
	v_cmp_gt_i64_e32 vcc, 0, v[1:2]
	v_not_b32_e32 v2, v2
	v_ashrrev_i32_e32 v2, 31, v2
	v_mad_u32_u24 v24, v3, 20, v20
	v_xor_b32_e32 v3, vcc_hi, v2
	v_xor_b32_e32 v2, vcc_lo, v2
	; wave barrier
	ds_read_b32 v52, v24 offset:16
	v_and_b32_e32 v53, v53, v54
	v_and_b32_e32 v2, v4, v2
	;; [unrolled: 1-line block ×3, first 2 shown]
	v_mbcnt_lo_u32_b32 v4, v2, 0
	v_mbcnt_hi_u32_b32 v54, v3, v4
	v_cmp_ne_u64_e32 vcc, 0, v[2:3]
	v_cmp_eq_u32_e64 s[0:1], 0, v54
	s_and_b64 s[2:3], vcc, s[0:1]
	; wave barrier
	s_and_saveexec_b64 s[0:1], s[2:3]
	s_cbranch_execz .LBB72_175
; %bb.174:
	v_bcnt_u32_b32 v2, v2, 0
	v_bcnt_u32_b32 v2, v3, v2
	s_waitcnt lgkmcnt(0)
	v_add_u32_e32 v2, v52, v2
	ds_write_b32 v24, v2 offset:16
.LBB72_175:
	s_or_b64 exec, exec, s[0:1]
	v_xor_b32_e32 v53, 0xffff8000, v18
	v_lshrrev_b32_sdwa v2, s68, v53 dst_sel:DWORD dst_unused:UNUSED_PAD src0_sel:DWORD src1_sel:WORD_0
	v_and_b32_e32 v3, s9, v2
	v_and_b32_e32 v2, 1, v3
	v_add_co_u32_e32 v4, vcc, -1, v2
	v_mad_u32_u24 v18, v3, 20, v20
	v_addc_co_u32_e64 v20, s[0:1], 0, -1, vcc
	v_cmp_ne_u32_e32 vcc, 0, v2
	v_xor_b32_e32 v2, vcc_hi, v20
	v_and_b32_e32 v20, exec_hi, v2
	v_lshlrev_b32_e32 v2, 30, v3
	v_xor_b32_e32 v4, vcc_lo, v4
	v_cmp_gt_i64_e32 vcc, 0, v[1:2]
	v_not_b32_e32 v2, v2
	v_ashrrev_i32_e32 v2, 31, v2
	v_and_b32_e32 v4, exec_lo, v4
	v_xor_b32_e32 v56, vcc_hi, v2
	v_xor_b32_e32 v2, vcc_lo, v2
	v_and_b32_e32 v4, v4, v2
	v_lshlrev_b32_e32 v2, 29, v3
	v_cmp_gt_i64_e32 vcc, 0, v[1:2]
	v_not_b32_e32 v2, v2
	v_ashrrev_i32_e32 v2, 31, v2
	v_and_b32_e32 v20, v20, v56
	v_xor_b32_e32 v56, vcc_hi, v2
	v_xor_b32_e32 v2, vcc_lo, v2
	v_and_b32_e32 v4, v4, v2
	v_lshlrev_b32_e32 v2, 28, v3
	v_cmp_gt_i64_e32 vcc, 0, v[1:2]
	v_not_b32_e32 v2, v2
	v_ashrrev_i32_e32 v2, 31, v2
	v_and_b32_e32 v20, v20, v56
	;; [unrolled: 8-line block ×5, first 2 shown]
	v_xor_b32_e32 v56, vcc_hi, v2
	v_xor_b32_e32 v2, vcc_lo, v2
	v_and_b32_e32 v4, v4, v2
	v_lshlrev_b32_e32 v2, 24, v3
	v_cmp_gt_i64_e32 vcc, 0, v[1:2]
	v_not_b32_e32 v1, v2
	v_ashrrev_i32_e32 v1, 31, v1
	v_xor_b32_e32 v2, vcc_hi, v1
	v_xor_b32_e32 v1, vcc_lo, v1
	; wave barrier
	ds_read_b32 v55, v18 offset:16
	v_and_b32_e32 v20, v20, v56
	v_and_b32_e32 v1, v4, v1
	v_and_b32_e32 v2, v20, v2
	v_mbcnt_lo_u32_b32 v3, v1, 0
	v_mbcnt_hi_u32_b32 v56, v2, v3
	v_cmp_ne_u64_e32 vcc, 0, v[1:2]
	v_cmp_eq_u32_e64 s[0:1], 0, v56
	s_and_b64 s[2:3], vcc, s[0:1]
	; wave barrier
	s_and_saveexec_b64 s[0:1], s[2:3]
	s_cbranch_execz .LBB72_177
; %bb.176:
	v_bcnt_u32_b32 v1, v1, 0
	v_bcnt_u32_b32 v1, v2, v1
	s_waitcnt lgkmcnt(0)
	v_add_u32_e32 v1, v55, v1
	ds_write_b32 v18, v1 offset:16
.LBB72_177:
	s_or_b64 exec, exec, s[0:1]
	; wave barrier
	s_waitcnt lgkmcnt(0)
	s_barrier
	ds_read2_b32 v[3:4], v6 offset0:4 offset1:5
	ds_read2_b32 v[1:2], v6 offset0:6 offset1:7
	ds_read_b32 v20, v6 offset:32
	v_min_u32_e32 v9, 0xc0, v9
	v_or_b32_e32 v9, 63, v9
	s_waitcnt lgkmcnt(1)
	v_add3_u32 v57, v4, v3, v1
	s_waitcnt lgkmcnt(0)
	v_add3_u32 v20, v57, v2, v20
	v_and_b32_e32 v57, 15, v8
	v_cmp_ne_u32_e32 vcc, 0, v57
	v_mov_b32_dpp v58, v20 row_shr:1 row_mask:0xf bank_mask:0xf
	v_cndmask_b32_e32 v58, 0, v58, vcc
	v_add_u32_e32 v20, v58, v20
	v_cmp_lt_u32_e32 vcc, 1, v57
	s_nop 0
	v_mov_b32_dpp v58, v20 row_shr:2 row_mask:0xf bank_mask:0xf
	v_cndmask_b32_e32 v58, 0, v58, vcc
	v_add_u32_e32 v20, v20, v58
	v_cmp_lt_u32_e32 vcc, 3, v57
	s_nop 0
	;; [unrolled: 5-line block ×3, first 2 shown]
	v_mov_b32_dpp v58, v20 row_shr:8 row_mask:0xf bank_mask:0xf
	v_cndmask_b32_e32 v57, 0, v58, vcc
	v_add_u32_e32 v20, v20, v57
	v_bfe_i32 v58, v8, 4, 1
	v_cmp_lt_u32_e32 vcc, 31, v8
	v_mov_b32_dpp v57, v20 row_bcast:15 row_mask:0xf bank_mask:0xf
	v_and_b32_e32 v57, v58, v57
	v_add_u32_e32 v20, v20, v57
	s_nop 1
	v_mov_b32_dpp v57, v20 row_bcast:31 row_mask:0xf bank_mask:0xf
	v_cndmask_b32_e32 v57, 0, v57, vcc
	v_add_u32_e32 v20, v20, v57
	v_lshrrev_b32_e32 v57, 6, v0
	v_cmp_eq_u32_e32 vcc, v0, v9
	s_and_saveexec_b64 s[0:1], vcc
; %bb.178:
	v_lshlrev_b32_e32 v9, 2, v57
	ds_write_b32 v9, v20
; %bb.179:
	s_or_b64 exec, exec, s[0:1]
	v_cmp_gt_u32_e32 vcc, 4, v0
	s_waitcnt lgkmcnt(0)
	s_barrier
	s_and_saveexec_b64 s[0:1], vcc
	s_cbranch_execz .LBB72_181
; %bb.180:
	v_lshlrev_b32_e32 v9, 2, v0
	ds_read_b32 v58, v9
	v_and_b32_e32 v59, 3, v8
	v_cmp_ne_u32_e32 vcc, 0, v59
	s_waitcnt lgkmcnt(0)
	v_mov_b32_dpp v60, v58 row_shr:1 row_mask:0xf bank_mask:0xf
	v_cndmask_b32_e32 v60, 0, v60, vcc
	v_add_u32_e32 v58, v60, v58
	v_cmp_lt_u32_e32 vcc, 1, v59
	s_nop 0
	v_mov_b32_dpp v60, v58 row_shr:2 row_mask:0xf bank_mask:0xf
	v_cndmask_b32_e32 v59, 0, v60, vcc
	v_add_u32_e32 v58, v58, v59
	ds_write_b32 v9, v58
.LBB72_181:
	s_or_b64 exec, exec, s[0:1]
	v_cmp_lt_u32_e32 vcc, 63, v0
	v_mov_b32_e32 v9, 0
	s_waitcnt lgkmcnt(0)
	s_barrier
	s_and_saveexec_b64 s[0:1], vcc
; %bb.182:
	v_lshl_add_u32 v9, v57, 2, -4
	ds_read_b32 v9, v9
; %bb.183:
	s_or_b64 exec, exec, s[0:1]
	v_add_u32_e32 v57, -1, v8
	v_and_b32_e32 v58, 64, v8
	v_cmp_lt_i32_e32 vcc, v57, v58
	v_cndmask_b32_e32 v57, v57, v8, vcc
	s_waitcnt lgkmcnt(0)
	v_add_u32_e32 v20, v9, v20
	v_lshlrev_b32_e32 v57, 2, v57
	ds_bpermute_b32 v20, v57, v20
	v_cmp_eq_u32_e32 vcc, 0, v8
	s_movk_i32 s0, 0x100
	s_waitcnt lgkmcnt(0)
	v_cndmask_b32_e32 v9, v20, v9, vcc
	v_cmp_ne_u32_e32 vcc, 0, v0
	v_cndmask_b32_e32 v9, 0, v9, vcc
	v_add_u32_e32 v3, v9, v3
	v_add_u32_e32 v4, v3, v4
	;; [unrolled: 1-line block ×4, first 2 shown]
	ds_write2_b32 v6, v9, v3 offset0:4 offset1:5
	ds_write2_b32 v6, v4, v1 offset0:6 offset1:7
	ds_write_b32 v6, v2 offset:32
	s_waitcnt lgkmcnt(0)
	s_barrier
	ds_read_b32 v2, v43 offset:16
	ds_read_b32 v3, v46 offset:16
	;; [unrolled: 1-line block ×13, first 2 shown]
	v_add_u32_e32 v6, 1, v0
	v_cmp_ne_u32_e32 vcc, s0, v6
	v_mov_b32_e32 v1, 0xc00
	s_and_saveexec_b64 s[0:1], vcc
; %bb.184:
	v_mul_u32_u24_e32 v1, 20, v6
	ds_read_b32 v1, v1 offset:16
; %bb.185:
	s_or_b64 exec, exec, s[0:1]
	s_waitcnt lgkmcnt(7)
	v_add_u32_e32 v29, v10, v12
	s_waitcnt lgkmcnt(6)
	v_add3_u32 v25, v16, v13, v14
	s_waitcnt lgkmcnt(5)
	v_add3_u32 v24, v22, v17, v18
	v_add3_u32 v17, v44, v42, v2
	v_lshlrev_b32_e32 v2, 1, v29
	s_waitcnt lgkmcnt(0)
	s_barrier
	ds_write_b16 v2, v5 offset:2048
	v_lshlrev_b32_e32 v2, 1, v25
	v_add3_u32 v22, v27, v23, v19
	ds_write_b16 v2, v11 offset:2048
	v_lshlrev_b32_e32 v2, 1, v24
	v_add3_u32 v20, v32, v28, v20
	;; [unrolled: 3-line block ×4, first 2 shown]
	ds_write_b16 v2, v26 offset:2048
	v_lshlrev_b32_e32 v2, 1, v19
	ds_write_b16 v2, v31 offset:2048
	v_lshlrev_b32_e32 v2, 1, v18
	v_add3_u32 v16, v48, v45, v3
	ds_write_b16 v2, v36 offset:2048
	v_lshlrev_b32_e32 v2, 1, v17
	v_add3_u32 v14, v51, v49, v4
	;; [unrolled: 3-line block ×4, first 2 shown]
	ds_write_b16 v2, v47 offset:2048
	v_lshlrev_b32_e32 v2, 1, v13
	ds_write_b16 v2, v50 offset:2048
	v_lshlrev_b32_e32 v2, 1, v12
	ds_write_b16 v2, v53 offset:2048
	v_sub_u32_e32 v10, v1, v9
	v_lshl_or_b32 v1, s6, 8, v0
	v_mov_b32_e32 v2, 0
	v_lshlrev_b64 v[3:4], 2, v[1:2]
	v_mov_b32_e32 v11, s73
	v_add_co_u32_e32 v3, vcc, s72, v3
	v_addc_co_u32_e32 v4, vcc, v11, v4, vcc
	v_or_b32_e32 v1, 2.0, v10
	s_mov_b64 s[0:1], 0
	s_brev_b32 s10, -4
	v_mov_b32_e32 v15, 0
	s_waitcnt lgkmcnt(0)
	s_barrier
	global_store_dword v[3:4], v1, off
                                        ; implicit-def: $sgpr2_sgpr3
	s_branch .LBB72_188
.LBB72_186:                             ;   in Loop: Header=BB72_188 Depth=1
	s_or_b64 exec, exec, s[4:5]
.LBB72_187:                             ;   in Loop: Header=BB72_188 Depth=1
	s_or_b64 exec, exec, s[2:3]
	v_and_b32_e32 v5, 0x3fffffff, v1
	v_add_u32_e32 v15, v5, v15
	v_cmp_gt_i32_e64 s[2:3], -2.0, v1
	s_and_b64 s[4:5], exec, s[2:3]
	s_or_b64 s[0:1], s[4:5], s[0:1]
	s_andn2_b64 exec, exec, s[0:1]
	s_cbranch_execz .LBB72_193
.LBB72_188:                             ; =>This Loop Header: Depth=1
                                        ;     Child Loop BB72_191 Depth 2
	s_or_b64 s[2:3], s[2:3], exec
	s_cmp_eq_u32 s7, 0
	s_cbranch_scc1 .LBB72_192
; %bb.189:                              ;   in Loop: Header=BB72_188 Depth=1
	s_add_i32 s7, s7, -1
	v_lshl_or_b32 v1, s7, 8, v0
	v_lshlrev_b64 v[5:6], 2, v[1:2]
	v_add_co_u32_e32 v5, vcc, s72, v5
	v_addc_co_u32_e32 v6, vcc, v11, v6, vcc
	global_load_dword v1, v[5:6], off glc
	s_waitcnt vmcnt(0)
	v_cmp_gt_u32_e32 vcc, 2.0, v1
	s_and_saveexec_b64 s[2:3], vcc
	s_cbranch_execz .LBB72_187
; %bb.190:                              ;   in Loop: Header=BB72_188 Depth=1
	s_mov_b64 s[4:5], 0
.LBB72_191:                             ;   Parent Loop BB72_188 Depth=1
                                        ; =>  This Inner Loop Header: Depth=2
	global_load_dword v1, v[5:6], off glc
	s_waitcnt vmcnt(0)
	v_cmp_lt_u32_e32 vcc, s10, v1
	s_or_b64 s[4:5], vcc, s[4:5]
	s_andn2_b64 exec, exec, s[4:5]
	s_cbranch_execnz .LBB72_191
	s_branch .LBB72_186
.LBB72_192:                             ;   in Loop: Header=BB72_188 Depth=1
                                        ; implicit-def: $sgpr7
	s_and_b64 s[4:5], exec, s[2:3]
	s_or_b64 s[0:1], s[4:5], s[0:1]
	s_andn2_b64 exec, exec, s[0:1]
	s_cbranch_execnz .LBB72_188
.LBB72_193:
	s_or_b64 exec, exec, s[0:1]
	v_add_u32_e32 v2, v15, v10
	v_or_b32_e32 v2, 0x80000000, v2
	v_lshlrev_b32_e32 v1, 3, v0
	global_store_dword v[3:4], v2, off
	global_load_dwordx2 v[2:3], v1, s[64:65]
	v_sub_co_u32_e32 v4, vcc, v15, v9
	v_subb_co_u32_e64 v5, s[0:1], 0, 0, vcc
	v_mad_i32_i24 v52, v0, -6, v1
	v_mov_b32_e32 v6, s59
	v_mov_b32_e32 v15, s59
	;; [unrolled: 1-line block ×4, first 2 shown]
	v_lshlrev_b32_e32 v11, 1, v0
	v_mov_b32_e32 v28, s59
	s_lshl_b64 s[0:1], s[54:55], 3
	s_add_u32 s0, s60, s0
	s_addc_u32 s1, s61, s1
	v_or_b32_e32 v61, 0x800, v0
	v_or_b32_e32 v65, 0xa00, v0
	s_add_i32 s8, s8, -1
	s_cmp_lg_u32 s6, s8
	s_waitcnt vmcnt(0)
	v_add_co_u32_e32 v2, vcc, v4, v2
	v_addc_co_u32_e32 v3, vcc, v5, v3, vcc
	ds_write_b64 v1, v[2:3]
	s_waitcnt lgkmcnt(0)
	s_barrier
	ds_read_u16 v2, v52 offset:2048
	ds_read_u16 v3, v52 offset:2560
	;; [unrolled: 1-line block ×8, first 2 shown]
	s_waitcnt lgkmcnt(7)
	v_lshrrev_b32_sdwa v27, s68, v2 dst_sel:DWORD dst_unused:UNUSED_PAD src0_sel:DWORD src1_sel:WORD_0
	v_xor_b32_e32 v37, 0xffff8000, v2
	s_waitcnt lgkmcnt(6)
	v_lshrrev_b32_sdwa v2, s68, v3 dst_sel:DWORD dst_unused:UNUSED_PAD src0_sel:DWORD src1_sel:WORD_0
	v_xor_b32_e32 v38, 0xffff8000, v3
	;; [unrolled: 3-line block ×4, first 2 shown]
	s_waitcnt lgkmcnt(3)
	v_lshrrev_b32_sdwa v5, s68, v26 dst_sel:DWORD dst_unused:UNUSED_PAD src0_sel:DWORD src1_sel:WORD_0
	v_and_b32_e32 v2, s9, v2
	v_xor_b32_e32 v41, 0xffff8000, v26
	v_and_b32_e32 v26, s9, v27
	v_and_b32_e32 v3, s9, v3
	;; [unrolled: 1-line block ×4, first 2 shown]
	v_lshlrev_b32_e32 v54, 3, v2
	v_lshlrev_b32_e32 v53, 3, v26
	;; [unrolled: 1-line block ×5, first 2 shown]
	ds_read_b64 v[2:3], v54
	ds_read_b64 v[4:5], v55
	;; [unrolled: 1-line block ×5, first 2 shown]
	ds_read_u16 v42, v52 offset:6144
	ds_read_u16 v46, v52 offset:6656
	;; [unrolled: 1-line block ×4, first 2 shown]
	s_waitcnt lgkmcnt(4)
	v_lshlrev_b64 v[32:33], 1, v[32:33]
	v_lshlrev_b64 v[2:3], 1, v[2:3]
	v_add_co_u32_e32 v32, vcc, s58, v32
	v_addc_co_u32_e32 v6, vcc, v6, v33, vcc
	v_lshlrev_b64 v[4:5], 1, v[4:5]
	v_add_co_u32_e32 v33, vcc, s58, v2
	v_addc_co_u32_e32 v15, vcc, v15, v3, vcc
	;; [unrolled: 3-line block ×3, first 2 shown]
	v_add_co_u32_e32 v44, vcc, s58, v26
	v_addc_co_u32_e32 v23, vcc, v23, v27, vcc
	v_add_co_u32_e32 v2, vcc, v32, v11
	v_addc_co_u32_e32 v3, vcc, 0, v6, vcc
	;; [unrolled: 2-line block ×4, first 2 shown]
	v_lshlrev_b64 v[30:31], 1, v[30:31]
	v_add_co_u32_e32 v32, vcc, v44, v11
	v_addc_co_u32_e32 v33, vcc, 0, v23, vcc
	global_store_short v[2:3], v37, off
	global_store_short v[4:5], v38, off offset:512
	global_store_short v[26:27], v39, off offset:1024
	;; [unrolled: 1-line block ×3, first 2 shown]
	v_add_co_u32_e32 v2, vcc, s58, v30
	v_addc_co_u32_e32 v3, vcc, v28, v31, vcc
	v_add_co_u32_e32 v2, vcc, v2, v11
	v_addc_co_u32_e32 v3, vcc, 0, v3, vcc
	global_store_short v[2:3], v41, off offset:2048
	v_lshrrev_b32_sdwa v2, s68, v34 dst_sel:DWORD dst_unused:UNUSED_PAD src0_sel:DWORD src1_sel:WORD_0
	v_and_b32_e32 v2, s9, v2
	v_lshlrev_b32_e32 v21, 3, v2
	ds_read_b64 v[2:3], v21
	v_lshrrev_b32_sdwa v4, s68, v35 dst_sel:DWORD dst_unused:UNUSED_PAD src0_sel:DWORD src1_sel:WORD_0
	v_and_b32_e32 v4, s9, v4
	v_lshlrev_b32_e32 v23, 3, v4
	v_lshrrev_b32_sdwa v4, s68, v36 dst_sel:DWORD dst_unused:UNUSED_PAD src0_sel:DWORD src1_sel:WORD_0
	v_and_b32_e32 v4, s9, v4
	s_waitcnt lgkmcnt(0)
	v_lshlrev_b64 v[2:3], 1, v[2:3]
	v_lshlrev_b32_e32 v28, 3, v4
	v_lshrrev_b32_sdwa v4, s68, v42 dst_sel:DWORD dst_unused:UNUSED_PAD src0_sel:DWORD src1_sel:WORD_0
	v_and_b32_e32 v4, s9, v4
	v_mov_b32_e32 v15, s59
	v_add_co_u32_e32 v2, vcc, s58, v2
	v_lshlrev_b32_e32 v60, 3, v4
	ds_read_b64 v[4:5], v23
	ds_read_b64 v[26:27], v28
	;; [unrolled: 1-line block ×3, first 2 shown]
	v_addc_co_u32_e32 v3, vcc, v15, v3, vcc
	v_add_co_u32_e32 v2, vcc, v2, v11
	v_xor_b32_e32 v6, 0xffff8000, v34
	v_addc_co_u32_e32 v3, vcc, 0, v3, vcc
	global_store_short v[2:3], v6, off offset:2560
	s_waitcnt lgkmcnt(2)
	v_lshlrev_b64 v[2:3], 1, v[4:5]
	v_mov_b32_e32 v4, s59
	v_add_co_u32_e32 v2, vcc, s58, v2
	v_addc_co_u32_e32 v3, vcc, v4, v3, vcc
	v_add_co_u32_e32 v2, vcc, v2, v11
	v_xor_b32_e32 v6, 0xffff8000, v35
	v_addc_co_u32_e32 v3, vcc, 0, v3, vcc
	global_store_short v[2:3], v6, off offset:3072
	s_waitcnt lgkmcnt(1)
	v_lshlrev_b64 v[2:3], 1, v[26:27]
	v_mov_b32_e32 v5, s59
	v_add_co_u32_e32 v2, vcc, s58, v2
	;; [unrolled: 9-line block ×3, first 2 shown]
	v_addc_co_u32_e32 v43, vcc, v4, v3, vcc
	v_lshlrev_b32_e32 v2, 3, v8
	v_mov_b32_e32 v3, s1
	v_add_co_u32_e32 v2, vcc, s0, v2
	v_addc_co_u32_e32 v3, vcc, 0, v3, vcc
	v_lshlrev_b32_e32 v4, 3, v7
	v_add_co_u32_e32 v2, vcc, v2, v4
	v_addc_co_u32_e32 v3, vcc, 0, v3, vcc
	s_movk_i32 s0, 0x1000
	global_load_dwordx2 v[4:5], v[2:3], off
	global_load_dwordx2 v[6:7], v[2:3], off offset:512
	global_load_dwordx2 v[26:27], v[2:3], off offset:1024
	;; [unrolled: 1-line block ×7, first 2 shown]
	v_add_co_u32_e32 v2, vcc, s0, v2
	v_xor_b32_e32 v11, 0xffff8000, v42
	v_lshlrev_b32_e32 v42, 1, v61
	v_addc_co_u32_e32 v3, vcc, 0, v3, vcc
	global_load_dwordx2 v[40:41], v[2:3], off
	global_load_dwordx2 v[44:45], v[2:3], off offset:512
	v_add_co_u32_e32 v42, vcc, v15, v42
	v_addc_co_u32_e32 v43, vcc, 0, v43, vcc
	global_store_short v[42:43], v11, off
	global_load_dwordx2 v[42:43], v[2:3], off offset:1024
	v_lshrrev_b32_sdwa v11, s68, v46 dst_sel:DWORD dst_unused:UNUSED_PAD src0_sel:DWORD src1_sel:WORD_0
	global_load_dwordx2 v[2:3], v[2:3], off offset:1536
	v_and_b32_e32 v11, s9, v11
	v_lshlrev_b32_e32 v62, 3, v11
	v_xor_b32_e32 v15, 0xffff8000, v46
	ds_read_b64 v[46:47], v62
	v_lshrrev_b32_sdwa v11, s68, v58 dst_sel:DWORD dst_unused:UNUSED_PAD src0_sel:DWORD src1_sel:WORD_0
	v_and_b32_e32 v11, s9, v11
	v_lshlrev_b32_e32 v63, 3, v11
	v_lshrrev_b32_sdwa v11, s68, v59 dst_sel:DWORD dst_unused:UNUSED_PAD src0_sel:DWORD src1_sel:WORD_0
	s_waitcnt lgkmcnt(0)
	v_lshlrev_b64 v[46:47], 1, v[46:47]
	v_and_b32_e32 v11, s9, v11
	v_or_b32_e32 v8, 0x900, v0
	v_lshlrev_b32_e32 v64, 3, v11
	ds_read_b64 v[48:49], v63
	ds_read_b64 v[50:51], v64
	v_mov_b32_e32 v11, s59
	v_add_co_u32_e32 v46, vcc, s58, v46
	v_addc_co_u32_e32 v11, vcc, v11, v47, vcc
	v_lshlrev_b32_e32 v47, 1, v8
	v_add_co_u32_e32 v46, vcc, v46, v47
	v_addc_co_u32_e32 v47, vcc, 0, v11, vcc
	global_store_short v[46:47], v15, off
	s_waitcnt lgkmcnt(1)
	v_lshlrev_b64 v[46:47], 1, v[48:49]
	v_mov_b32_e32 v15, s59
	v_add_co_u32_e32 v46, vcc, s58, v46
	v_addc_co_u32_e32 v15, vcc, v15, v47, vcc
	v_lshlrev_b32_e32 v47, 1, v65
	v_add_co_u32_e32 v46, vcc, v46, v47
	v_xor_b32_e32 v11, 0xffff8000, v58
	v_addc_co_u32_e32 v47, vcc, 0, v15, vcc
	global_store_short v[46:47], v11, off
	s_waitcnt lgkmcnt(0)
	v_lshlrev_b64 v[46:47], 1, v[50:51]
	v_or_b32_e32 v48, 0xb00, v0
	v_mov_b32_e32 v15, s59
	v_add_co_u32_e32 v46, vcc, s58, v46
	v_addc_co_u32_e32 v15, vcc, v15, v47, vcc
	v_lshlrev_b32_e32 v47, 1, v48
	v_add_co_u32_e32 v46, vcc, v46, v47
	v_xor_b32_e32 v11, 0xffff8000, v59
	v_addc_co_u32_e32 v47, vcc, 0, v15, vcc
	global_store_short v[46:47], v11, off
	v_lshlrev_b32_e32 v11, 3, v29
	s_waitcnt vmcnt(0)
	s_barrier
	v_mad_u32_u24 v0, v0, 6, v52
	ds_write_b64 v11, v[4:5] offset:2048
	v_lshlrev_b32_e32 v4, 3, v25
	ds_write_b64 v4, v[6:7] offset:2048
	v_lshlrev_b32_e32 v4, 3, v24
	;; [unrolled: 2-line block ×10, first 2 shown]
	v_mov_b32_e32 v17, s63
	ds_write_b64 v4, v[42:43] offset:2048
	v_lshlrev_b32_e32 v4, 3, v12
	ds_write_b64 v4, v[2:3] offset:2048
	s_waitcnt lgkmcnt(0)
	s_barrier
	ds_read_b64 v[6:7], v53
	ds_read2st64_b64 v[2:5], v0 offset0:4 offset1:8
	ds_read_b64 v[11:12], v54
	ds_read_b64 v[13:14], v55
	;; [unrolled: 1-line block ×3, first 2 shown]
	s_waitcnt lgkmcnt(4)
	v_lshlrev_b64 v[6:7], 3, v[6:7]
	v_add_co_u32_e32 v6, vcc, s62, v6
	v_addc_co_u32_e32 v7, vcc, v17, v7, vcc
	v_add_co_u32_e32 v6, vcc, v6, v1
	v_addc_co_u32_e32 v7, vcc, 0, v7, vcc
	s_waitcnt lgkmcnt(3)
	global_store_dwordx2 v[6:7], v[2:3], off
	s_waitcnt lgkmcnt(2)
	v_lshlrev_b64 v[2:3], 3, v[11:12]
	v_mov_b32_e32 v6, s63
	v_add_co_u32_e32 v2, vcc, s62, v2
	v_addc_co_u32_e32 v3, vcc, v6, v3, vcc
	v_add_co_u32_e32 v2, vcc, v2, v1
	v_addc_co_u32_e32 v3, vcc, 0, v3, vcc
	s_waitcnt lgkmcnt(1)
	v_lshlrev_b64 v[6:7], 3, v[13:14]
	global_store_dwordx2 v[2:3], v[4:5], off offset:2048
	ds_read2st64_b64 v[2:5], v0 offset0:12 offset1:16
	v_mov_b32_e32 v11, s63
	v_add_co_u32_e32 v6, vcc, s62, v6
	v_addc_co_u32_e32 v7, vcc, v11, v7, vcc
	v_or_b32_e32 v11, 0x1000, v1
	v_add_co_u32_e32 v6, vcc, v6, v11
	v_addc_co_u32_e32 v7, vcc, 0, v7, vcc
	s_waitcnt lgkmcnt(0)
	global_store_dwordx2 v[6:7], v[2:3], off
	v_lshlrev_b64 v[2:3], 3, v[15:16]
	v_mov_b32_e32 v6, s63
	v_add_co_u32_e32 v2, vcc, s62, v2
	v_addc_co_u32_e32 v3, vcc, v6, v3, vcc
	v_or_b32_e32 v6, 0x1800, v1
	v_add_co_u32_e32 v2, vcc, v2, v6
	v_addc_co_u32_e32 v3, vcc, 0, v3, vcc
	global_store_dwordx2 v[2:3], v[4:5], off
	ds_read_b64 v[6:7], v57
	ds_read2st64_b64 v[2:5], v0 offset0:20 offset1:24
	ds_read_b64 v[11:12], v21
	ds_read_b64 v[13:14], v23
	;; [unrolled: 1-line block ×3, first 2 shown]
	s_waitcnt lgkmcnt(4)
	v_lshlrev_b64 v[6:7], 3, v[6:7]
	v_add_co_u32_e32 v6, vcc, s62, v6
	v_addc_co_u32_e32 v7, vcc, v17, v7, vcc
	v_or_b32_e32 v17, 0x2000, v1
	v_add_co_u32_e32 v6, vcc, v6, v17
	v_addc_co_u32_e32 v7, vcc, 0, v7, vcc
	s_waitcnt lgkmcnt(3)
	global_store_dwordx2 v[6:7], v[2:3], off
	s_waitcnt lgkmcnt(2)
	v_lshlrev_b64 v[2:3], 3, v[11:12]
	v_mov_b32_e32 v6, s63
	v_add_co_u32_e32 v2, vcc, s62, v2
	v_addc_co_u32_e32 v3, vcc, v6, v3, vcc
	v_or_b32_e32 v6, 0x2800, v1
	v_add_co_u32_e32 v2, vcc, v2, v6
	v_addc_co_u32_e32 v3, vcc, 0, v3, vcc
	s_waitcnt lgkmcnt(1)
	v_lshlrev_b64 v[6:7], 3, v[13:14]
	global_store_dwordx2 v[2:3], v[4:5], off
	ds_read2st64_b64 v[2:5], v0 offset0:28 offset1:32
	v_mov_b32_e32 v11, s63
	v_add_co_u32_e32 v6, vcc, s62, v6
	v_addc_co_u32_e32 v7, vcc, v11, v7, vcc
	v_or_b32_e32 v11, 0x3000, v1
	v_add_co_u32_e32 v6, vcc, v6, v11
	v_addc_co_u32_e32 v7, vcc, 0, v7, vcc
	s_waitcnt lgkmcnt(0)
	global_store_dwordx2 v[6:7], v[2:3], off
	v_lshlrev_b64 v[2:3], 3, v[15:16]
	v_mov_b32_e32 v6, s63
	v_add_co_u32_e32 v2, vcc, s62, v2
	v_addc_co_u32_e32 v3, vcc, v6, v3, vcc
	v_or_b32_e32 v6, 0x3800, v1
	v_add_co_u32_e32 v2, vcc, v2, v6
	v_addc_co_u32_e32 v3, vcc, 0, v3, vcc
	global_store_dwordx2 v[2:3], v[4:5], off
	ds_read_b64 v[6:7], v60
	ds_read2st64_b64 v[2:5], v0 offset0:36 offset1:40
	ds_read_b64 v[11:12], v62
	ds_read_b64 v[13:14], v63
	;; [unrolled: 1-line block ×3, first 2 shown]
	s_waitcnt lgkmcnt(4)
	v_lshlrev_b64 v[6:7], 3, v[6:7]
	v_mov_b32_e32 v17, s63
	v_add_co_u32_e32 v6, vcc, s62, v6
	v_addc_co_u32_e32 v7, vcc, v17, v7, vcc
	v_lshlrev_b32_e32 v17, 3, v61
	v_add_co_u32_e32 v6, vcc, v6, v17
	v_addc_co_u32_e32 v7, vcc, 0, v7, vcc
	s_waitcnt lgkmcnt(3)
	global_store_dwordx2 v[6:7], v[2:3], off
	s_waitcnt lgkmcnt(2)
	v_lshlrev_b64 v[2:3], 3, v[11:12]
	v_mov_b32_e32 v6, s63
	v_add_co_u32_e32 v2, vcc, s62, v2
	v_addc_co_u32_e32 v3, vcc, v6, v3, vcc
	v_lshlrev_b32_e32 v6, 3, v8
	v_add_co_u32_e32 v2, vcc, v2, v6
	v_addc_co_u32_e32 v3, vcc, 0, v3, vcc
	s_waitcnt lgkmcnt(1)
	v_lshlrev_b64 v[6:7], 3, v[13:14]
	global_store_dwordx2 v[2:3], v[4:5], off
	ds_read2st64_b64 v[2:5], v0 offset0:44 offset1:48
	v_mov_b32_e32 v0, s63
	v_add_co_u32_e32 v6, vcc, s62, v6
	v_addc_co_u32_e32 v0, vcc, v0, v7, vcc
	v_lshlrev_b32_e32 v7, 3, v65
	v_add_co_u32_e32 v6, vcc, v6, v7
	v_addc_co_u32_e32 v7, vcc, 0, v0, vcc
	s_waitcnt lgkmcnt(0)
	global_store_dwordx2 v[6:7], v[2:3], off
	v_lshlrev_b64 v[2:3], 3, v[15:16]
	v_mov_b32_e32 v0, s63
	v_add_co_u32_e32 v2, vcc, s62, v2
	v_addc_co_u32_e32 v0, vcc, v0, v3, vcc
	v_lshlrev_b32_e32 v3, 3, v48
	v_add_co_u32_e32 v2, vcc, v2, v3
	v_addc_co_u32_e32 v3, vcc, 0, v0, vcc
	global_store_dwordx2 v[2:3], v[4:5], off
	s_cbranch_scc1 .LBB72_195
; %bb.194:
	ds_read_b64 v[2:3], v1
	v_add_co_u32_e32 v0, vcc, v10, v9
	v_addc_co_u32_e64 v4, s[0:1], 0, 0, vcc
	s_waitcnt lgkmcnt(0)
	v_add_co_u32_e32 v2, vcc, v0, v2
	v_addc_co_u32_e32 v3, vcc, v4, v3, vcc
	global_store_dwordx2 v1, v[2:3], s[66:67]
.LBB72_195:
	s_endpgm
.LBB72_196:
	s_or_b64 exec, exec, s[0:1]
	s_and_saveexec_b64 s[0:1], s[26:27]
	s_cbranch_execz .LBB72_139
.LBB72_197:
	v_lshlrev_b32_e32 v3, 3, v62
	ds_read_b64 v[3:4], v3
	ds_read_b64 v[5:6], v32 offset:4096
	v_mov_b32_e32 v7, s63
	s_waitcnt lgkmcnt(1)
	v_lshlrev_b64 v[3:4], 3, v[3:4]
	v_add_co_u32_e32 v3, vcc, s62, v3
	v_addc_co_u32_e32 v4, vcc, v7, v4, vcc
	v_add_co_u32_e32 v3, vcc, v3, v32
	v_addc_co_u32_e32 v4, vcc, 0, v4, vcc
	s_waitcnt lgkmcnt(0)
	global_store_dwordx2 v[3:4], v[5:6], off offset:2048
	s_or_b64 exec, exec, s[0:1]
	s_and_saveexec_b64 s[0:1], s[28:29]
	s_cbranch_execnz .LBB72_140
.LBB72_198:
	s_or_b64 exec, exec, s[0:1]
	s_and_saveexec_b64 s[0:1], s[30:31]
	s_cbranch_execz .LBB72_141
.LBB72_199:
	v_lshlrev_b32_e32 v3, 3, v60
	ds_read_b64 v[3:4], v3
	ds_read_b64 v[5:6], v32 offset:8192
	v_mov_b32_e32 v7, s63
	s_waitcnt lgkmcnt(1)
	v_lshlrev_b64 v[3:4], 3, v[3:4]
	v_add_co_u32_e32 v3, vcc, s62, v3
	v_addc_co_u32_e32 v4, vcc, v7, v4, vcc
	v_lshlrev_b32_e32 v7, 3, v46
	v_add_co_u32_e32 v3, vcc, v3, v7
	v_addc_co_u32_e32 v4, vcc, 0, v4, vcc
	s_waitcnt lgkmcnt(0)
	global_store_dwordx2 v[3:4], v[5:6], off
	s_or_b64 exec, exec, s[0:1]
	s_and_saveexec_b64 s[0:1], s[34:35]
	s_cbranch_execnz .LBB72_142
.LBB72_200:
	s_or_b64 exec, exec, s[0:1]
	s_and_saveexec_b64 s[0:1], s[36:37]
	s_cbranch_execz .LBB72_143
.LBB72_201:
	v_lshlrev_b32_e32 v3, 3, v58
	ds_read_b64 v[3:4], v3
	ds_read_b64 v[5:6], v32 offset:12288
	v_mov_b32_e32 v7, s63
	s_waitcnt lgkmcnt(1)
	v_lshlrev_b64 v[3:4], 3, v[3:4]
	v_add_co_u32_e32 v3, vcc, s62, v3
	v_addc_co_u32_e32 v4, vcc, v7, v4, vcc
	v_lshlrev_b32_e32 v7, 3, v48
	v_add_co_u32_e32 v3, vcc, v3, v7
	v_addc_co_u32_e32 v4, vcc, 0, v4, vcc
	s_waitcnt lgkmcnt(0)
	global_store_dwordx2 v[3:4], v[5:6], off
	s_or_b64 exec, exec, s[0:1]
	s_and_saveexec_b64 s[0:1], s[38:39]
	s_cbranch_execnz .LBB72_144
.LBB72_202:
	s_or_b64 exec, exec, s[0:1]
	s_and_saveexec_b64 s[0:1], s[40:41]
	s_cbranch_execz .LBB72_145
.LBB72_203:
	v_lshlrev_b32_e32 v3, 3, v56
	ds_read_b64 v[3:4], v3
	ds_read_b64 v[5:6], v32 offset:16384
	v_mov_b32_e32 v7, s63
	s_waitcnt lgkmcnt(1)
	v_lshlrev_b64 v[3:4], 3, v[3:4]
	v_add_co_u32_e32 v3, vcc, s62, v3
	v_addc_co_u32_e32 v4, vcc, v7, v4, vcc
	v_lshlrev_b32_e32 v7, 3, v50
	v_add_co_u32_e32 v3, vcc, v3, v7
	v_addc_co_u32_e32 v4, vcc, 0, v4, vcc
	s_waitcnt lgkmcnt(0)
	global_store_dwordx2 v[3:4], v[5:6], off
	s_or_b64 exec, exec, s[0:1]
	s_and_saveexec_b64 s[0:1], s[42:43]
	s_cbranch_execnz .LBB72_146
.LBB72_204:
	s_or_b64 exec, exec, s[0:1]
	s_and_saveexec_b64 s[0:1], s[44:45]
	s_cbranch_execz .LBB72_147
.LBB72_205:
	v_lshlrev_b32_e32 v3, 3, v28
	ds_read_b64 v[3:4], v3
	ds_read_b64 v[5:6], v32 offset:20480
	v_mov_b32_e32 v7, s63
	s_waitcnt lgkmcnt(1)
	v_lshlrev_b64 v[3:4], 3, v[3:4]
	v_add_co_u32_e32 v3, vcc, s62, v3
	v_addc_co_u32_e32 v4, vcc, v7, v4, vcc
	v_lshlrev_b32_e32 v7, 3, v52
	v_add_co_u32_e32 v3, vcc, v3, v7
	v_addc_co_u32_e32 v4, vcc, 0, v4, vcc
	s_waitcnt lgkmcnt(0)
	global_store_dwordx2 v[3:4], v[5:6], off
	s_or_b64 exec, exec, s[0:1]
	s_and_saveexec_b64 s[0:1], s[46:47]
	s_cbranch_execnz .LBB72_148
.LBB72_206:
	s_or_b64 exec, exec, s[0:1]
	s_and_saveexec_b64 s[0:1], s[48:49]
	s_cbranch_execz .LBB72_149
.LBB72_207:
	v_lshlrev_b32_e32 v3, 3, v27
	ds_read_b64 v[3:4], v3
	ds_read_b64 v[5:6], v32 offset:24576
	v_mov_b32_e32 v7, s63
	s_waitcnt lgkmcnt(1)
	v_lshlrev_b64 v[3:4], 3, v[3:4]
	v_add_co_u32_e32 v3, vcc, s62, v3
	v_addc_co_u32_e32 v4, vcc, v7, v4, vcc
	v_lshlrev_b32_e32 v7, 3, v54
	v_add_co_u32_e32 v3, vcc, v3, v7
	v_addc_co_u32_e32 v4, vcc, 0, v4, vcc
	s_waitcnt lgkmcnt(0)
	global_store_dwordx2 v[3:4], v[5:6], off
	s_or_b64 exec, exec, s[0:1]
	s_add_i32 s33, s33, -1
	s_cmp_eq_u32 s6, s33
	s_cbranch_scc1 .LBB72_150
	s_branch .LBB72_151
	.section	.rodata,"a",@progbits
	.p2align	6, 0x0
	.amdhsa_kernel _ZN7rocprim17ROCPRIM_304000_NS6detail25onesweep_iteration_kernelINS1_34wrapped_radix_sort_onesweep_configINS0_14default_configEsN2at4cuda3cub6detail10OpaqueTypeILi8EEEEELb0EPKsPsPKSA_PSA_mNS0_19identity_decomposerEEEvT1_T2_T3_T4_jPT5_SO_PNS1_23onesweep_lookback_stateET6_jjj
		.amdhsa_group_segment_fixed_size 26624
		.amdhsa_private_segment_fixed_size 0
		.amdhsa_kernarg_size 336
		.amdhsa_user_sgpr_count 6
		.amdhsa_user_sgpr_private_segment_buffer 1
		.amdhsa_user_sgpr_dispatch_ptr 0
		.amdhsa_user_sgpr_queue_ptr 0
		.amdhsa_user_sgpr_kernarg_segment_ptr 1
		.amdhsa_user_sgpr_dispatch_id 0
		.amdhsa_user_sgpr_flat_scratch_init 0
		.amdhsa_user_sgpr_private_segment_size 0
		.amdhsa_uses_dynamic_stack 0
		.amdhsa_system_sgpr_private_segment_wavefront_offset 0
		.amdhsa_system_sgpr_workgroup_id_x 1
		.amdhsa_system_sgpr_workgroup_id_y 0
		.amdhsa_system_sgpr_workgroup_id_z 0
		.amdhsa_system_sgpr_workgroup_info 0
		.amdhsa_system_vgpr_workitem_id 2
		.amdhsa_next_free_vgpr 85
		.amdhsa_next_free_sgpr 98
		.amdhsa_reserve_vcc 1
		.amdhsa_reserve_flat_scratch 0
		.amdhsa_float_round_mode_32 0
		.amdhsa_float_round_mode_16_64 0
		.amdhsa_float_denorm_mode_32 3
		.amdhsa_float_denorm_mode_16_64 3
		.amdhsa_dx10_clamp 1
		.amdhsa_ieee_mode 1
		.amdhsa_fp16_overflow 0
		.amdhsa_exception_fp_ieee_invalid_op 0
		.amdhsa_exception_fp_denorm_src 0
		.amdhsa_exception_fp_ieee_div_zero 0
		.amdhsa_exception_fp_ieee_overflow 0
		.amdhsa_exception_fp_ieee_underflow 0
		.amdhsa_exception_fp_ieee_inexact 0
		.amdhsa_exception_int_div_zero 0
	.end_amdhsa_kernel
	.section	.text._ZN7rocprim17ROCPRIM_304000_NS6detail25onesweep_iteration_kernelINS1_34wrapped_radix_sort_onesweep_configINS0_14default_configEsN2at4cuda3cub6detail10OpaqueTypeILi8EEEEELb0EPKsPsPKSA_PSA_mNS0_19identity_decomposerEEEvT1_T2_T3_T4_jPT5_SO_PNS1_23onesweep_lookback_stateET6_jjj,"axG",@progbits,_ZN7rocprim17ROCPRIM_304000_NS6detail25onesweep_iteration_kernelINS1_34wrapped_radix_sort_onesweep_configINS0_14default_configEsN2at4cuda3cub6detail10OpaqueTypeILi8EEEEELb0EPKsPsPKSA_PSA_mNS0_19identity_decomposerEEEvT1_T2_T3_T4_jPT5_SO_PNS1_23onesweep_lookback_stateET6_jjj,comdat
.Lfunc_end72:
	.size	_ZN7rocprim17ROCPRIM_304000_NS6detail25onesweep_iteration_kernelINS1_34wrapped_radix_sort_onesweep_configINS0_14default_configEsN2at4cuda3cub6detail10OpaqueTypeILi8EEEEELb0EPKsPsPKSA_PSA_mNS0_19identity_decomposerEEEvT1_T2_T3_T4_jPT5_SO_PNS1_23onesweep_lookback_stateET6_jjj, .Lfunc_end72-_ZN7rocprim17ROCPRIM_304000_NS6detail25onesweep_iteration_kernelINS1_34wrapped_radix_sort_onesweep_configINS0_14default_configEsN2at4cuda3cub6detail10OpaqueTypeILi8EEEEELb0EPKsPsPKSA_PSA_mNS0_19identity_decomposerEEEvT1_T2_T3_T4_jPT5_SO_PNS1_23onesweep_lookback_stateET6_jjj
                                        ; -- End function
	.set _ZN7rocprim17ROCPRIM_304000_NS6detail25onesweep_iteration_kernelINS1_34wrapped_radix_sort_onesweep_configINS0_14default_configEsN2at4cuda3cub6detail10OpaqueTypeILi8EEEEELb0EPKsPsPKSA_PSA_mNS0_19identity_decomposerEEEvT1_T2_T3_T4_jPT5_SO_PNS1_23onesweep_lookback_stateET6_jjj.num_vgpr, 66
	.set _ZN7rocprim17ROCPRIM_304000_NS6detail25onesweep_iteration_kernelINS1_34wrapped_radix_sort_onesweep_configINS0_14default_configEsN2at4cuda3cub6detail10OpaqueTypeILi8EEEEELb0EPKsPsPKSA_PSA_mNS0_19identity_decomposerEEEvT1_T2_T3_T4_jPT5_SO_PNS1_23onesweep_lookback_stateET6_jjj.num_agpr, 0
	.set _ZN7rocprim17ROCPRIM_304000_NS6detail25onesweep_iteration_kernelINS1_34wrapped_radix_sort_onesweep_configINS0_14default_configEsN2at4cuda3cub6detail10OpaqueTypeILi8EEEEELb0EPKsPsPKSA_PSA_mNS0_19identity_decomposerEEEvT1_T2_T3_T4_jPT5_SO_PNS1_23onesweep_lookback_stateET6_jjj.numbered_sgpr, 75
	.set _ZN7rocprim17ROCPRIM_304000_NS6detail25onesweep_iteration_kernelINS1_34wrapped_radix_sort_onesweep_configINS0_14default_configEsN2at4cuda3cub6detail10OpaqueTypeILi8EEEEELb0EPKsPsPKSA_PSA_mNS0_19identity_decomposerEEEvT1_T2_T3_T4_jPT5_SO_PNS1_23onesweep_lookback_stateET6_jjj.num_named_barrier, 0
	.set _ZN7rocprim17ROCPRIM_304000_NS6detail25onesweep_iteration_kernelINS1_34wrapped_radix_sort_onesweep_configINS0_14default_configEsN2at4cuda3cub6detail10OpaqueTypeILi8EEEEELb0EPKsPsPKSA_PSA_mNS0_19identity_decomposerEEEvT1_T2_T3_T4_jPT5_SO_PNS1_23onesweep_lookback_stateET6_jjj.private_seg_size, 0
	.set _ZN7rocprim17ROCPRIM_304000_NS6detail25onesweep_iteration_kernelINS1_34wrapped_radix_sort_onesweep_configINS0_14default_configEsN2at4cuda3cub6detail10OpaqueTypeILi8EEEEELb0EPKsPsPKSA_PSA_mNS0_19identity_decomposerEEEvT1_T2_T3_T4_jPT5_SO_PNS1_23onesweep_lookback_stateET6_jjj.uses_vcc, 1
	.set _ZN7rocprim17ROCPRIM_304000_NS6detail25onesweep_iteration_kernelINS1_34wrapped_radix_sort_onesweep_configINS0_14default_configEsN2at4cuda3cub6detail10OpaqueTypeILi8EEEEELb0EPKsPsPKSA_PSA_mNS0_19identity_decomposerEEEvT1_T2_T3_T4_jPT5_SO_PNS1_23onesweep_lookback_stateET6_jjj.uses_flat_scratch, 0
	.set _ZN7rocprim17ROCPRIM_304000_NS6detail25onesweep_iteration_kernelINS1_34wrapped_radix_sort_onesweep_configINS0_14default_configEsN2at4cuda3cub6detail10OpaqueTypeILi8EEEEELb0EPKsPsPKSA_PSA_mNS0_19identity_decomposerEEEvT1_T2_T3_T4_jPT5_SO_PNS1_23onesweep_lookback_stateET6_jjj.has_dyn_sized_stack, 0
	.set _ZN7rocprim17ROCPRIM_304000_NS6detail25onesweep_iteration_kernelINS1_34wrapped_radix_sort_onesweep_configINS0_14default_configEsN2at4cuda3cub6detail10OpaqueTypeILi8EEEEELb0EPKsPsPKSA_PSA_mNS0_19identity_decomposerEEEvT1_T2_T3_T4_jPT5_SO_PNS1_23onesweep_lookback_stateET6_jjj.has_recursion, 0
	.set _ZN7rocprim17ROCPRIM_304000_NS6detail25onesweep_iteration_kernelINS1_34wrapped_radix_sort_onesweep_configINS0_14default_configEsN2at4cuda3cub6detail10OpaqueTypeILi8EEEEELb0EPKsPsPKSA_PSA_mNS0_19identity_decomposerEEEvT1_T2_T3_T4_jPT5_SO_PNS1_23onesweep_lookback_stateET6_jjj.has_indirect_call, 0
	.section	.AMDGPU.csdata,"",@progbits
; Kernel info:
; codeLenInByte = 19376
; TotalNumSgprs: 79
; NumVgprs: 66
; ScratchSize: 0
; MemoryBound: 0
; FloatMode: 240
; IeeeMode: 1
; LDSByteSize: 26624 bytes/workgroup (compile time only)
; SGPRBlocks: 12
; VGPRBlocks: 21
; NumSGPRsForWavesPerEU: 102
; NumVGPRsForWavesPerEU: 85
; Occupancy: 2
; WaveLimiterHint : 1
; COMPUTE_PGM_RSRC2:SCRATCH_EN: 0
; COMPUTE_PGM_RSRC2:USER_SGPR: 6
; COMPUTE_PGM_RSRC2:TRAP_HANDLER: 0
; COMPUTE_PGM_RSRC2:TGID_X_EN: 1
; COMPUTE_PGM_RSRC2:TGID_Y_EN: 0
; COMPUTE_PGM_RSRC2:TGID_Z_EN: 0
; COMPUTE_PGM_RSRC2:TIDIG_COMP_CNT: 2
	.section	.text._ZN7rocprim17ROCPRIM_304000_NS6detail25onesweep_iteration_kernelINS1_34wrapped_radix_sort_onesweep_configINS0_14default_configEsN2at4cuda3cub6detail10OpaqueTypeILi8EEEEELb0EPsSC_PSA_SD_mNS0_19identity_decomposerEEEvT1_T2_T3_T4_jPT5_SK_PNS1_23onesweep_lookback_stateET6_jjj,"axG",@progbits,_ZN7rocprim17ROCPRIM_304000_NS6detail25onesweep_iteration_kernelINS1_34wrapped_radix_sort_onesweep_configINS0_14default_configEsN2at4cuda3cub6detail10OpaqueTypeILi8EEEEELb0EPsSC_PSA_SD_mNS0_19identity_decomposerEEEvT1_T2_T3_T4_jPT5_SK_PNS1_23onesweep_lookback_stateET6_jjj,comdat
	.protected	_ZN7rocprim17ROCPRIM_304000_NS6detail25onesweep_iteration_kernelINS1_34wrapped_radix_sort_onesweep_configINS0_14default_configEsN2at4cuda3cub6detail10OpaqueTypeILi8EEEEELb0EPsSC_PSA_SD_mNS0_19identity_decomposerEEEvT1_T2_T3_T4_jPT5_SK_PNS1_23onesweep_lookback_stateET6_jjj ; -- Begin function _ZN7rocprim17ROCPRIM_304000_NS6detail25onesweep_iteration_kernelINS1_34wrapped_radix_sort_onesweep_configINS0_14default_configEsN2at4cuda3cub6detail10OpaqueTypeILi8EEEEELb0EPsSC_PSA_SD_mNS0_19identity_decomposerEEEvT1_T2_T3_T4_jPT5_SK_PNS1_23onesweep_lookback_stateET6_jjj
	.globl	_ZN7rocprim17ROCPRIM_304000_NS6detail25onesweep_iteration_kernelINS1_34wrapped_radix_sort_onesweep_configINS0_14default_configEsN2at4cuda3cub6detail10OpaqueTypeILi8EEEEELb0EPsSC_PSA_SD_mNS0_19identity_decomposerEEEvT1_T2_T3_T4_jPT5_SK_PNS1_23onesweep_lookback_stateET6_jjj
	.p2align	8
	.type	_ZN7rocprim17ROCPRIM_304000_NS6detail25onesweep_iteration_kernelINS1_34wrapped_radix_sort_onesweep_configINS0_14default_configEsN2at4cuda3cub6detail10OpaqueTypeILi8EEEEELb0EPsSC_PSA_SD_mNS0_19identity_decomposerEEEvT1_T2_T3_T4_jPT5_SK_PNS1_23onesweep_lookback_stateET6_jjj,@function
_ZN7rocprim17ROCPRIM_304000_NS6detail25onesweep_iteration_kernelINS1_34wrapped_radix_sort_onesweep_configINS0_14default_configEsN2at4cuda3cub6detail10OpaqueTypeILi8EEEEELb0EPsSC_PSA_SD_mNS0_19identity_decomposerEEEvT1_T2_T3_T4_jPT5_SK_PNS1_23onesweep_lookback_stateET6_jjj: ; @_ZN7rocprim17ROCPRIM_304000_NS6detail25onesweep_iteration_kernelINS1_34wrapped_radix_sort_onesweep_configINS0_14default_configEsN2at4cuda3cub6detail10OpaqueTypeILi8EEEEELb0EPsSC_PSA_SD_mNS0_19identity_decomposerEEEvT1_T2_T3_T4_jPT5_SK_PNS1_23onesweep_lookback_stateET6_jjj
; %bb.0:
	s_load_dwordx8 s[56:63], s[4:5], 0x0
	s_load_dwordx4 s[68:71], s[4:5], 0x44
	s_load_dwordx4 s[64:67], s[4:5], 0x28
	s_load_dwordx2 s[72:73], s[4:5], 0x38
	s_mov_b32 s7, s6
	s_mov_b64 s[0:1], -1
	s_waitcnt lgkmcnt(0)
	s_cmp_ge_u32 s6, s70
	s_mul_i32 s54, s6, 0xc00
	v_mbcnt_lo_u32_b32 v29, -1, 0
	s_cbranch_scc0 .LBB73_152
; %bb.1:
	s_load_dword s2, s[4:5], 0x20
	s_mulk_i32 s70, 0xf400
	s_mov_b32 s55, 0
	s_lshl_b64 s[0:1], s[54:55], 1
	v_mbcnt_hi_u32_b32 v13, -1, v29
	s_waitcnt lgkmcnt(0)
	s_add_i32 s70, s70, s2
	s_add_u32 s0, s56, s0
	s_addc_u32 s1, s57, s1
	v_and_b32_e32 v15, 0xc0, v0
	v_lshlrev_b32_e32 v3, 1, v13
	v_mul_u32_u24_e32 v14, 12, v15
	v_mov_b32_e32 v4, s1
	v_add_co_u32_e32 v3, vcc, s0, v3
	v_addc_co_u32_e32 v4, vcc, 0, v4, vcc
	v_lshlrev_b32_e32 v5, 1, v14
	v_add_co_u32_e32 v11, vcc, v3, v5
	v_addc_co_u32_e32 v12, vcc, 0, v4, vcc
	v_or_b32_e32 v16, v13, v14
	v_mov_b32_e32 v3, 0x7fff7fff
	v_cmp_gt_u32_e32 vcc, s70, v16
	v_mov_b32_e32 v4, v3
	v_mov_b32_e32 v5, v3
	;; [unrolled: 1-line block ×5, first 2 shown]
	s_and_saveexec_b64 s[0:1], vcc
	s_cbranch_execz .LBB73_3
; %bb.2:
	global_load_ushort v4, v[11:12], off
	s_movk_i32 s2, 0x7fff
	v_mov_b32_e32 v9, 0x5040100
	v_mov_b32_e32 v5, v3
	;; [unrolled: 1-line block ×5, first 2 shown]
	s_waitcnt vmcnt(0)
	v_perm_b32 v4, s2, v4, v9
	v_mov_b32_e32 v9, v3
	v_mov_b32_e32 v3, v4
	;; [unrolled: 1-line block ×9, first 2 shown]
.LBB73_3:
	s_or_b64 exec, exec, s[0:1]
	v_add_u32_e32 v9, 64, v16
	v_cmp_gt_u32_e64 s[0:1], s70, v9
	s_and_saveexec_b64 s[2:3], s[0:1]
	s_cbranch_execz .LBB73_5
; %bb.4:
	global_load_ushort v9, v[11:12], off offset:128
	s_mov_b32 s8, 0x5040100
	s_waitcnt vmcnt(0)
	v_perm_b32 v3, v9, v3, s8
.LBB73_5:
	s_or_b64 exec, exec, s[2:3]
	v_add_u32_e32 v9, 0x80, v16
	v_cmp_gt_u32_e64 s[2:3], s70, v9
	s_and_saveexec_b64 s[8:9], s[2:3]
	s_cbranch_execz .LBB73_7
; %bb.6:
	global_load_ushort v9, v[11:12], off offset:256
	s_mov_b32 s10, 0xffff
	s_waitcnt vmcnt(0)
	v_bfi_b32 v4, s10, v9, v4
.LBB73_7:
	s_or_b64 exec, exec, s[8:9]
	v_add_u32_e32 v9, 0xc0, v16
	v_cmp_gt_u32_e64 s[50:51], s70, v9
	s_and_saveexec_b64 s[8:9], s[50:51]
	s_cbranch_execz .LBB73_9
; %bb.8:
	global_load_ushort v9, v[11:12], off offset:384
	s_mov_b32 s10, 0x5040100
	s_waitcnt vmcnt(0)
	v_perm_b32 v4, v9, v4, s10
.LBB73_9:
	s_or_b64 exec, exec, s[8:9]
	v_add_u32_e32 v9, 0x100, v16
	v_cmp_gt_u32_e64 s[8:9], s70, v9
	s_and_saveexec_b64 s[10:11], s[8:9]
	s_cbranch_execz .LBB73_11
; %bb.10:
	global_load_ushort v9, v[11:12], off offset:512
	s_mov_b32 s12, 0xffff
	s_waitcnt vmcnt(0)
	v_bfi_b32 v5, s12, v9, v5
.LBB73_11:
	;; [unrolled: 22-line block ×5, first 2 shown]
	s_or_b64 exec, exec, s[22:23]
	v_add_u32_e32 v9, 0x2c0, v16
	v_cmp_gt_u32_e64 s[22:23], s70, v9
	s_and_saveexec_b64 s[24:25], s[22:23]
	s_cbranch_execz .LBB73_25
; %bb.24:
	global_load_ushort v9, v[11:12], off offset:1408
	s_mov_b32 s26, 0x5040100
	s_waitcnt vmcnt(0)
	v_perm_b32 v8, v9, v8, s26
.LBB73_25:
	s_or_b64 exec, exec, s[24:25]
	s_load_dword s24, s[4:5], 0x5c
	s_load_dword s33, s[4:5], 0x50
	s_add_u32 s25, s4, 0x50
	s_addc_u32 s26, s5, 0
	v_mov_b32_e32 v9, 0
	s_waitcnt lgkmcnt(0)
	s_lshr_b32 s27, s24, 16
	s_cmp_lt_u32 s6, s33
	s_cselect_b32 s24, 12, 18
	s_add_u32 s24, s25, s24
	s_addc_u32 s25, s26, 0
	global_load_ushort v11, v9, s[24:25]
	v_xor_b32_e32 v12, 0xffff8000, v3
	s_lshl_b32 s24, -1, s69
	v_lshrrev_b32_sdwa v10, s68, v12 dst_sel:DWORD dst_unused:UNUSED_PAD src0_sel:DWORD src1_sel:WORD_0
	s_not_b32 s74, s24
	v_and_b32_e32 v18, s74, v10
	v_and_b32_e32 v20, 1, v18
	v_add_co_u32_e64 v21, s[24:25], -1, v20
	v_lshlrev_b32_e32 v10, 30, v18
	v_addc_co_u32_e64 v22, s[24:25], 0, -1, s[24:25]
	v_mad_u32_u24 v17, v2, s27, v1
	v_cmp_ne_u32_e64 s[24:25], 0, v20
	v_cmp_gt_i64_e64 s[26:27], 0, v[9:10]
	v_not_b32_e32 v20, v10
	v_lshlrev_b32_e32 v10, 29, v18
	v_xor_b32_e32 v22, s25, v22
	v_xor_b32_e32 v21, s24, v21
	v_ashrrev_i32_e32 v20, 31, v20
	v_cmp_gt_i64_e64 s[24:25], 0, v[9:10]
	v_not_b32_e32 v23, v10
	v_lshlrev_b32_e32 v10, 28, v18
	v_and_b32_e32 v22, exec_hi, v22
	v_and_b32_e32 v21, exec_lo, v21
	v_xor_b32_e32 v24, s27, v20
	v_xor_b32_e32 v20, s26, v20
	v_ashrrev_i32_e32 v23, 31, v23
	v_cmp_gt_i64_e64 s[26:27], 0, v[9:10]
	v_not_b32_e32 v25, v10
	v_lshlrev_b32_e32 v10, 27, v18
	v_and_b32_e32 v22, v22, v24
	v_and_b32_e32 v20, v21, v20
	v_xor_b32_e32 v21, s25, v23
	v_xor_b32_e32 v23, s24, v23
	v_ashrrev_i32_e32 v24, 31, v25
	v_cmp_gt_i64_e64 s[24:25], 0, v[9:10]
	v_not_b32_e32 v25, v10
	v_lshlrev_b32_e32 v10, 26, v18
	v_and_b32_e32 v21, v22, v21
	v_and_b32_e32 v20, v20, v23
	;; [unrolled: 8-line block ×3, first 2 shown]
	v_xor_b32_e32 v22, s25, v24
	v_xor_b32_e32 v23, s24, v24
	v_ashrrev_i32_e32 v24, 31, v25
	v_cmp_gt_i64_e64 s[24:25], 0, v[9:10]
	v_not_b32_e32 v25, v10
	v_mul_u32_u24_e32 v19, 20, v18
	v_lshlrev_b32_e32 v10, 24, v18
	v_and_b32_e32 v18, v21, v22
	v_and_b32_e32 v20, v20, v23
	v_xor_b32_e32 v21, s27, v24
	v_ashrrev_i32_e32 v23, 31, v25
	v_xor_b32_e32 v22, s26, v24
	v_and_b32_e32 v18, v18, v21
	v_xor_b32_e32 v21, s25, v23
	v_and_b32_e32 v20, v20, v22
	;; [unrolled: 2-line block ×3, first 2 shown]
	v_cmp_gt_i64_e64 s[26:27], 0, v[9:10]
	v_not_b32_e32 v10, v10
	v_ashrrev_i32_e32 v10, 31, v10
	v_and_b32_e32 v20, v20, v22
	v_xor_b32_e32 v22, s27, v10
	v_xor_b32_e32 v10, s26, v10
	v_and_b32_e32 v10, v20, v10
	s_movk_i32 s28, 0x8000
	v_mul_u32_u24_e32 v16, 20, v0
	ds_write2_b32 v16, v9, v9 offset0:4 offset1:5
	ds_write2_b32 v16, v9, v9 offset0:6 offset1:7
	ds_write_b32 v16, v9 offset:32
	s_waitcnt vmcnt(0) lgkmcnt(0)
	s_barrier
	v_mad_u64_u32 v[17:18], s[24:25], v17, v11, v[0:1]
	v_and_b32_e32 v11, v21, v22
	v_cmp_ne_u64_e64 s[24:25], 0, v[10:11]
	v_lshrrev_b32_e32 v17, 4, v17
	v_and_b32_e32 v25, 0xffffffc, v17
	v_mbcnt_lo_u32_b32 v17, v10, 0
	v_mbcnt_hi_u32_b32 v18, v11, v17
	v_cmp_eq_u32_e64 s[26:27], 0, v18
	s_and_b64 s[26:27], s[24:25], s[26:27]
	v_add_u32_e32 v20, v25, v19
	; wave barrier
	s_and_saveexec_b64 s[24:25], s[26:27]
; %bb.26:
	v_bcnt_u32_b32 v10, v10, 0
	v_bcnt_u32_b32 v10, v11, v10
	ds_write_b32 v20, v10 offset:16
; %bb.27:
	s_or_b64 exec, exec, s[24:25]
	v_xor_b32_sdwa v17, v3, s28 dst_sel:DWORD dst_unused:UNUSED_PAD src0_sel:WORD_1 src1_sel:DWORD
	v_lshrrev_b32_sdwa v3, s68, v17 dst_sel:DWORD dst_unused:UNUSED_PAD src0_sel:DWORD src1_sel:WORD_0
	v_and_b32_e32 v3, s74, v3
	v_mad_u32_u24 v10, v3, 20, v25
	; wave barrier
	ds_read_b32 v19, v10 offset:16
	v_and_b32_e32 v10, 1, v3
	v_add_co_u32_e64 v21, s[24:25], -1, v10
	v_addc_co_u32_e64 v22, s[24:25], 0, -1, s[24:25]
	v_cmp_ne_u32_e64 s[24:25], 0, v10
	v_xor_b32_e32 v10, s25, v22
	v_and_b32_e32 v22, exec_hi, v10
	v_lshlrev_b32_e32 v10, 30, v3
	v_xor_b32_e32 v21, s24, v21
	v_cmp_gt_i64_e64 s[24:25], 0, v[9:10]
	v_not_b32_e32 v10, v10
	v_ashrrev_i32_e32 v10, 31, v10
	v_and_b32_e32 v21, exec_lo, v21
	v_xor_b32_e32 v23, s25, v10
	v_xor_b32_e32 v10, s24, v10
	v_and_b32_e32 v21, v21, v10
	v_lshlrev_b32_e32 v10, 29, v3
	v_cmp_gt_i64_e64 s[24:25], 0, v[9:10]
	v_not_b32_e32 v10, v10
	v_ashrrev_i32_e32 v10, 31, v10
	v_and_b32_e32 v22, v22, v23
	v_xor_b32_e32 v23, s25, v10
	v_xor_b32_e32 v10, s24, v10
	v_and_b32_e32 v21, v21, v10
	v_lshlrev_b32_e32 v10, 28, v3
	v_cmp_gt_i64_e64 s[24:25], 0, v[9:10]
	v_not_b32_e32 v10, v10
	v_ashrrev_i32_e32 v10, 31, v10
	v_and_b32_e32 v22, v22, v23
	;; [unrolled: 8-line block ×5, first 2 shown]
	v_xor_b32_e32 v23, s25, v10
	v_xor_b32_e32 v10, s24, v10
	v_and_b32_e32 v21, v21, v10
	v_lshlrev_b32_e32 v10, 24, v3
	v_mul_u32_u24_e32 v11, 20, v3
	v_cmp_gt_i64_e64 s[24:25], 0, v[9:10]
	v_not_b32_e32 v3, v10
	v_ashrrev_i32_e32 v3, 31, v3
	v_and_b32_e32 v22, v22, v23
	v_xor_b32_e32 v9, s25, v3
	v_xor_b32_e32 v3, s24, v3
	v_and_b32_e32 v10, v22, v9
	v_and_b32_e32 v9, v21, v3
	v_mbcnt_lo_u32_b32 v3, v9, 0
	v_mbcnt_hi_u32_b32 v21, v10, v3
	v_cmp_ne_u64_e64 s[24:25], 0, v[9:10]
	v_cmp_eq_u32_e64 s[26:27], 0, v21
	s_and_b64 s[26:27], s[24:25], s[26:27]
	v_add_u32_e32 v24, v25, v11
	; wave barrier
	s_and_saveexec_b64 s[24:25], s[26:27]
	s_cbranch_execz .LBB73_29
; %bb.28:
	v_bcnt_u32_b32 v3, v9, 0
	v_bcnt_u32_b32 v3, v10, v3
	s_waitcnt lgkmcnt(0)
	v_add_u32_e32 v3, v19, v3
	ds_write_b32 v24, v3 offset:16
.LBB73_29:
	s_or_b64 exec, exec, s[24:25]
	v_xor_b32_e32 v22, 0xffff8000, v4
	v_lshrrev_b32_sdwa v3, s68, v22 dst_sel:DWORD dst_unused:UNUSED_PAD src0_sel:DWORD src1_sel:WORD_0
	v_and_b32_e32 v3, s74, v3
	v_and_b32_e32 v10, 1, v3
	v_add_co_u32_e64 v11, s[24:25], -1, v10
	v_addc_co_u32_e64 v26, s[24:25], 0, -1, s[24:25]
	v_cmp_ne_u32_e64 s[24:25], 0, v10
	v_mad_u32_u24 v9, v3, 20, v25
	v_xor_b32_e32 v10, s25, v26
	; wave barrier
	ds_read_b32 v23, v9 offset:16
	v_mov_b32_e32 v9, 0
	v_and_b32_e32 v26, exec_hi, v10
	v_lshlrev_b32_e32 v10, 30, v3
	v_xor_b32_e32 v11, s24, v11
	v_cmp_gt_i64_e64 s[24:25], 0, v[9:10]
	v_not_b32_e32 v10, v10
	v_ashrrev_i32_e32 v10, 31, v10
	v_and_b32_e32 v11, exec_lo, v11
	v_xor_b32_e32 v28, s25, v10
	v_xor_b32_e32 v10, s24, v10
	v_and_b32_e32 v11, v11, v10
	v_lshlrev_b32_e32 v10, 29, v3
	v_cmp_gt_i64_e64 s[24:25], 0, v[9:10]
	v_not_b32_e32 v10, v10
	v_ashrrev_i32_e32 v10, 31, v10
	v_and_b32_e32 v26, v26, v28
	v_xor_b32_e32 v28, s25, v10
	v_xor_b32_e32 v10, s24, v10
	v_and_b32_e32 v11, v11, v10
	v_lshlrev_b32_e32 v10, 28, v3
	v_cmp_gt_i64_e64 s[24:25], 0, v[9:10]
	v_not_b32_e32 v10, v10
	v_ashrrev_i32_e32 v10, 31, v10
	v_and_b32_e32 v26, v26, v28
	;; [unrolled: 8-line block ×5, first 2 shown]
	v_xor_b32_e32 v28, s25, v10
	v_xor_b32_e32 v10, s24, v10
	v_and_b32_e32 v26, v26, v28
	v_and_b32_e32 v28, v11, v10
	v_lshlrev_b32_e32 v10, 24, v3
	v_mul_u32_u24_e32 v27, 20, v3
	v_cmp_gt_i64_e64 s[24:25], 0, v[9:10]
	v_not_b32_e32 v3, v10
	v_ashrrev_i32_e32 v3, 31, v3
	v_xor_b32_e32 v10, s25, v3
	v_xor_b32_e32 v3, s24, v3
	v_and_b32_e32 v11, v26, v10
	v_and_b32_e32 v10, v28, v3
	v_mbcnt_lo_u32_b32 v3, v10, 0
	v_mbcnt_hi_u32_b32 v26, v11, v3
	v_cmp_ne_u64_e64 s[24:25], 0, v[10:11]
	v_cmp_eq_u32_e64 s[26:27], 0, v26
	s_and_b64 s[26:27], s[24:25], s[26:27]
	v_add_u32_e32 v28, v25, v27
	; wave barrier
	s_and_saveexec_b64 s[24:25], s[26:27]
	s_cbranch_execz .LBB73_31
; %bb.30:
	v_bcnt_u32_b32 v3, v10, 0
	v_bcnt_u32_b32 v3, v11, v3
	s_waitcnt lgkmcnt(0)
	v_add_u32_e32 v3, v23, v3
	ds_write_b32 v28, v3 offset:16
.LBB73_31:
	s_or_b64 exec, exec, s[24:25]
	v_xor_b32_sdwa v11, v4, s28 dst_sel:DWORD dst_unused:UNUSED_PAD src0_sel:WORD_1 src1_sel:DWORD
	v_lshrrev_b32_sdwa v3, s68, v11 dst_sel:DWORD dst_unused:UNUSED_PAD src0_sel:DWORD src1_sel:WORD_0
	v_and_b32_e32 v3, s74, v3
	v_mad_u32_u24 v4, v3, 20, v25
	; wave barrier
	ds_read_b32 v27, v4 offset:16
	v_and_b32_e32 v4, 1, v3
	v_add_co_u32_e64 v10, s[24:25], -1, v4
	v_addc_co_u32_e64 v31, s[24:25], 0, -1, s[24:25]
	v_cmp_ne_u32_e64 s[24:25], 0, v4
	v_xor_b32_e32 v10, s24, v10
	v_xor_b32_e32 v4, s25, v31
	v_and_b32_e32 v31, exec_lo, v10
	v_lshlrev_b32_e32 v10, 30, v3
	v_cmp_gt_i64_e64 s[24:25], 0, v[9:10]
	v_not_b32_e32 v10, v10
	v_ashrrev_i32_e32 v10, 31, v10
	v_xor_b32_e32 v32, s25, v10
	v_xor_b32_e32 v10, s24, v10
	v_and_b32_e32 v31, v31, v10
	v_lshlrev_b32_e32 v10, 29, v3
	v_cmp_gt_i64_e64 s[24:25], 0, v[9:10]
	v_not_b32_e32 v10, v10
	v_and_b32_e32 v4, exec_hi, v4
	v_ashrrev_i32_e32 v10, 31, v10
	v_and_b32_e32 v4, v4, v32
	v_xor_b32_e32 v32, s25, v10
	v_xor_b32_e32 v10, s24, v10
	v_and_b32_e32 v31, v31, v10
	v_lshlrev_b32_e32 v10, 28, v3
	v_cmp_gt_i64_e64 s[24:25], 0, v[9:10]
	v_not_b32_e32 v10, v10
	v_ashrrev_i32_e32 v10, 31, v10
	v_and_b32_e32 v4, v4, v32
	v_xor_b32_e32 v32, s25, v10
	v_xor_b32_e32 v10, s24, v10
	v_and_b32_e32 v31, v31, v10
	v_lshlrev_b32_e32 v10, 27, v3
	v_cmp_gt_i64_e64 s[24:25], 0, v[9:10]
	v_not_b32_e32 v10, v10
	;; [unrolled: 8-line block ×4, first 2 shown]
	v_ashrrev_i32_e32 v10, 31, v10
	v_and_b32_e32 v4, v4, v32
	v_xor_b32_e32 v32, s25, v10
	v_xor_b32_e32 v10, s24, v10
	v_and_b32_e32 v31, v31, v10
	v_lshlrev_b32_e32 v10, 24, v3
	v_mul_u32_u24_e32 v30, 20, v3
	v_cmp_gt_i64_e64 s[24:25], 0, v[9:10]
	v_not_b32_e32 v3, v10
	v_ashrrev_i32_e32 v3, 31, v3
	v_xor_b32_e32 v9, s25, v3
	v_xor_b32_e32 v3, s24, v3
	v_and_b32_e32 v4, v4, v32
	v_and_b32_e32 v3, v31, v3
	;; [unrolled: 1-line block ×3, first 2 shown]
	v_mbcnt_lo_u32_b32 v9, v3, 0
	v_mbcnt_hi_u32_b32 v32, v4, v9
	v_cmp_ne_u64_e64 s[24:25], 0, v[3:4]
	v_cmp_eq_u32_e64 s[26:27], 0, v32
	s_and_b64 s[26:27], s[24:25], s[26:27]
	v_add_u32_e32 v30, v25, v30
	; wave barrier
	s_and_saveexec_b64 s[24:25], s[26:27]
	s_cbranch_execz .LBB73_33
; %bb.32:
	v_bcnt_u32_b32 v3, v3, 0
	v_bcnt_u32_b32 v3, v4, v3
	s_waitcnt lgkmcnt(0)
	v_add_u32_e32 v3, v27, v3
	ds_write_b32 v30, v3 offset:16
.LBB73_33:
	s_or_b64 exec, exec, s[24:25]
	v_xor_b32_e32 v31, 0xffff8000, v5
	v_lshrrev_b32_sdwa v3, s68, v31 dst_sel:DWORD dst_unused:UNUSED_PAD src0_sel:DWORD src1_sel:WORD_0
	v_and_b32_e32 v9, s74, v3
	v_and_b32_e32 v4, 1, v9
	v_add_co_u32_e64 v10, s[24:25], -1, v4
	v_addc_co_u32_e64 v34, s[24:25], 0, -1, s[24:25]
	v_cmp_ne_u32_e64 s[24:25], 0, v4
	v_mad_u32_u24 v3, v9, 20, v25
	v_xor_b32_e32 v4, s25, v34
	; wave barrier
	ds_read_b32 v33, v3 offset:16
	v_mov_b32_e32 v3, 0
	v_and_b32_e32 v34, exec_hi, v4
	v_lshlrev_b32_e32 v4, 30, v9
	v_xor_b32_e32 v10, s24, v10
	v_cmp_gt_i64_e64 s[24:25], 0, v[3:4]
	v_not_b32_e32 v4, v4
	v_ashrrev_i32_e32 v4, 31, v4
	v_and_b32_e32 v10, exec_lo, v10
	v_xor_b32_e32 v36, s25, v4
	v_xor_b32_e32 v4, s24, v4
	v_and_b32_e32 v10, v10, v4
	v_lshlrev_b32_e32 v4, 29, v9
	v_cmp_gt_i64_e64 s[24:25], 0, v[3:4]
	v_not_b32_e32 v4, v4
	v_ashrrev_i32_e32 v4, 31, v4
	v_and_b32_e32 v34, v34, v36
	v_xor_b32_e32 v36, s25, v4
	v_xor_b32_e32 v4, s24, v4
	v_and_b32_e32 v10, v10, v4
	v_lshlrev_b32_e32 v4, 28, v9
	v_cmp_gt_i64_e64 s[24:25], 0, v[3:4]
	v_not_b32_e32 v4, v4
	v_ashrrev_i32_e32 v4, 31, v4
	v_and_b32_e32 v34, v34, v36
	;; [unrolled: 8-line block ×5, first 2 shown]
	v_xor_b32_e32 v36, s25, v4
	v_xor_b32_e32 v4, s24, v4
	v_and_b32_e32 v34, v34, v36
	v_and_b32_e32 v36, v10, v4
	v_lshlrev_b32_e32 v4, 24, v9
	v_cmp_gt_i64_e64 s[24:25], 0, v[3:4]
	v_not_b32_e32 v4, v4
	v_ashrrev_i32_e32 v4, 31, v4
	v_mul_u32_u24_e32 v35, 20, v9
	v_xor_b32_e32 v9, s25, v4
	v_xor_b32_e32 v4, s24, v4
	v_and_b32_e32 v10, v34, v9
	v_and_b32_e32 v9, v36, v4
	v_mbcnt_lo_u32_b32 v4, v9, 0
	v_mbcnt_hi_u32_b32 v34, v10, v4
	v_cmp_ne_u64_e64 s[24:25], 0, v[9:10]
	v_cmp_eq_u32_e64 s[26:27], 0, v34
	s_and_b64 s[26:27], s[24:25], s[26:27]
	v_add_u32_e32 v35, v25, v35
	; wave barrier
	s_and_saveexec_b64 s[24:25], s[26:27]
	s_cbranch_execz .LBB73_35
; %bb.34:
	v_bcnt_u32_b32 v4, v9, 0
	v_bcnt_u32_b32 v4, v10, v4
	s_waitcnt lgkmcnt(0)
	v_add_u32_e32 v4, v33, v4
	ds_write_b32 v35, v4 offset:16
.LBB73_35:
	s_or_b64 exec, exec, s[24:25]
	v_xor_b32_sdwa v9, v5, s28 dst_sel:DWORD dst_unused:UNUSED_PAD src0_sel:WORD_1 src1_sel:DWORD
	v_lshrrev_b32_sdwa v4, s68, v9 dst_sel:DWORD dst_unused:UNUSED_PAD src0_sel:DWORD src1_sel:WORD_0
	v_and_b32_e32 v5, s74, v4
	v_mad_u32_u24 v4, v5, 20, v25
	; wave barrier
	ds_read_b32 v10, v4 offset:16
	v_and_b32_e32 v4, 1, v5
	v_add_co_u32_e64 v36, s[24:25], -1, v4
	v_addc_co_u32_e64 v38, s[24:25], 0, -1, s[24:25]
	v_cmp_ne_u32_e64 s[24:25], 0, v4
	v_xor_b32_e32 v4, s25, v38
	v_and_b32_e32 v38, exec_hi, v4
	v_lshlrev_b32_e32 v4, 30, v5
	v_xor_b32_e32 v36, s24, v36
	v_cmp_gt_i64_e64 s[24:25], 0, v[3:4]
	v_not_b32_e32 v4, v4
	v_ashrrev_i32_e32 v4, 31, v4
	v_and_b32_e32 v36, exec_lo, v36
	v_xor_b32_e32 v39, s25, v4
	v_xor_b32_e32 v4, s24, v4
	v_and_b32_e32 v36, v36, v4
	v_lshlrev_b32_e32 v4, 29, v5
	v_cmp_gt_i64_e64 s[24:25], 0, v[3:4]
	v_not_b32_e32 v4, v4
	v_ashrrev_i32_e32 v4, 31, v4
	v_and_b32_e32 v38, v38, v39
	v_xor_b32_e32 v39, s25, v4
	v_xor_b32_e32 v4, s24, v4
	v_and_b32_e32 v36, v36, v4
	v_lshlrev_b32_e32 v4, 28, v5
	v_cmp_gt_i64_e64 s[24:25], 0, v[3:4]
	v_not_b32_e32 v4, v4
	v_ashrrev_i32_e32 v4, 31, v4
	v_and_b32_e32 v38, v38, v39
	;; [unrolled: 8-line block ×5, first 2 shown]
	v_xor_b32_e32 v39, s25, v4
	v_xor_b32_e32 v4, s24, v4
	v_and_b32_e32 v36, v36, v4
	v_lshlrev_b32_e32 v4, 24, v5
	v_cmp_gt_i64_e64 s[24:25], 0, v[3:4]
	v_not_b32_e32 v3, v4
	v_ashrrev_i32_e32 v3, 31, v3
	v_xor_b32_e32 v4, s25, v3
	v_xor_b32_e32 v3, s24, v3
	v_and_b32_e32 v38, v38, v39
	v_and_b32_e32 v3, v36, v3
	v_mul_u32_u24_e32 v37, 20, v5
	v_and_b32_e32 v4, v38, v4
	v_mbcnt_lo_u32_b32 v5, v3, 0
	v_mbcnt_hi_u32_b32 v36, v4, v5
	v_cmp_ne_u64_e64 s[24:25], 0, v[3:4]
	v_cmp_eq_u32_e64 s[26:27], 0, v36
	s_and_b64 s[26:27], s[24:25], s[26:27]
	v_add_u32_e32 v38, v25, v37
	; wave barrier
	s_and_saveexec_b64 s[24:25], s[26:27]
	s_cbranch_execz .LBB73_37
; %bb.36:
	v_bcnt_u32_b32 v3, v3, 0
	v_bcnt_u32_b32 v3, v4, v3
	s_waitcnt lgkmcnt(0)
	v_add_u32_e32 v3, v10, v3
	ds_write_b32 v38, v3 offset:16
.LBB73_37:
	s_or_b64 exec, exec, s[24:25]
	v_xor_b32_e32 v45, 0xffff8000, v6
	v_lshrrev_b32_sdwa v3, s68, v45 dst_sel:DWORD dst_unused:UNUSED_PAD src0_sel:DWORD src1_sel:WORD_0
	v_and_b32_e32 v5, s74, v3
	v_and_b32_e32 v4, 1, v5
	v_add_co_u32_e64 v40, s[24:25], -1, v4
	v_addc_co_u32_e64 v41, s[24:25], 0, -1, s[24:25]
	v_cmp_ne_u32_e64 s[24:25], 0, v4
	v_mad_u32_u24 v3, v5, 20, v25
	v_xor_b32_e32 v4, s25, v41
	; wave barrier
	ds_read_b32 v37, v3 offset:16
	v_mov_b32_e32 v3, 0
	v_and_b32_e32 v41, exec_hi, v4
	v_lshlrev_b32_e32 v4, 30, v5
	v_xor_b32_e32 v40, s24, v40
	v_cmp_gt_i64_e64 s[24:25], 0, v[3:4]
	v_not_b32_e32 v4, v4
	v_ashrrev_i32_e32 v4, 31, v4
	v_and_b32_e32 v40, exec_lo, v40
	v_xor_b32_e32 v42, s25, v4
	v_xor_b32_e32 v4, s24, v4
	v_and_b32_e32 v40, v40, v4
	v_lshlrev_b32_e32 v4, 29, v5
	v_cmp_gt_i64_e64 s[24:25], 0, v[3:4]
	v_not_b32_e32 v4, v4
	v_ashrrev_i32_e32 v4, 31, v4
	v_and_b32_e32 v41, v41, v42
	v_xor_b32_e32 v42, s25, v4
	v_xor_b32_e32 v4, s24, v4
	v_and_b32_e32 v40, v40, v4
	v_lshlrev_b32_e32 v4, 28, v5
	v_cmp_gt_i64_e64 s[24:25], 0, v[3:4]
	v_not_b32_e32 v4, v4
	v_ashrrev_i32_e32 v4, 31, v4
	v_and_b32_e32 v41, v41, v42
	;; [unrolled: 8-line block ×5, first 2 shown]
	v_xor_b32_e32 v42, s25, v4
	v_xor_b32_e32 v4, s24, v4
	v_and_b32_e32 v40, v40, v4
	v_lshlrev_b32_e32 v4, 24, v5
	v_cmp_gt_i64_e64 s[24:25], 0, v[3:4]
	v_not_b32_e32 v4, v4
	v_ashrrev_i32_e32 v4, 31, v4
	v_mul_u32_u24_e32 v39, 20, v5
	v_xor_b32_e32 v5, s25, v4
	v_xor_b32_e32 v4, s24, v4
	v_and_b32_e32 v41, v41, v42
	v_and_b32_e32 v4, v40, v4
	;; [unrolled: 1-line block ×3, first 2 shown]
	v_mbcnt_lo_u32_b32 v40, v4, 0
	v_mbcnt_hi_u32_b32 v47, v5, v40
	v_cmp_ne_u64_e64 s[24:25], 0, v[4:5]
	v_cmp_eq_u32_e64 s[26:27], 0, v47
	s_and_b64 s[26:27], s[24:25], s[26:27]
	v_add_u32_e32 v39, v25, v39
	; wave barrier
	s_and_saveexec_b64 s[24:25], s[26:27]
	s_cbranch_execz .LBB73_39
; %bb.38:
	v_bcnt_u32_b32 v4, v4, 0
	v_bcnt_u32_b32 v4, v5, v4
	s_waitcnt lgkmcnt(0)
	v_add_u32_e32 v4, v37, v4
	ds_write_b32 v39, v4 offset:16
.LBB73_39:
	s_or_b64 exec, exec, s[24:25]
	v_xor_b32_sdwa v46, v6, s28 dst_sel:DWORD dst_unused:UNUSED_PAD src0_sel:WORD_1 src1_sel:DWORD
	v_lshrrev_b32_sdwa v4, s68, v46 dst_sel:DWORD dst_unused:UNUSED_PAD src0_sel:DWORD src1_sel:WORD_0
	v_and_b32_e32 v5, s74, v4
	v_mad_u32_u24 v4, v5, 20, v25
	; wave barrier
	ds_read_b32 v48, v4 offset:16
	v_and_b32_e32 v4, 1, v5
	v_add_co_u32_e64 v40, s[24:25], -1, v4
	v_addc_co_u32_e64 v41, s[24:25], 0, -1, s[24:25]
	v_cmp_ne_u32_e64 s[24:25], 0, v4
	v_xor_b32_e32 v4, s25, v41
	v_and_b32_e32 v41, exec_hi, v4
	v_lshlrev_b32_e32 v4, 30, v5
	v_xor_b32_e32 v40, s24, v40
	v_cmp_gt_i64_e64 s[24:25], 0, v[3:4]
	v_not_b32_e32 v4, v4
	v_ashrrev_i32_e32 v4, 31, v4
	v_and_b32_e32 v40, exec_lo, v40
	v_xor_b32_e32 v42, s25, v4
	v_xor_b32_e32 v4, s24, v4
	v_and_b32_e32 v40, v40, v4
	v_lshlrev_b32_e32 v4, 29, v5
	v_cmp_gt_i64_e64 s[24:25], 0, v[3:4]
	v_not_b32_e32 v4, v4
	v_ashrrev_i32_e32 v4, 31, v4
	v_and_b32_e32 v41, v41, v42
	v_xor_b32_e32 v42, s25, v4
	v_xor_b32_e32 v4, s24, v4
	v_and_b32_e32 v40, v40, v4
	v_lshlrev_b32_e32 v4, 28, v5
	v_cmp_gt_i64_e64 s[24:25], 0, v[3:4]
	v_not_b32_e32 v4, v4
	v_ashrrev_i32_e32 v4, 31, v4
	v_and_b32_e32 v41, v41, v42
	;; [unrolled: 8-line block ×5, first 2 shown]
	v_xor_b32_e32 v42, s25, v4
	v_xor_b32_e32 v4, s24, v4
	v_and_b32_e32 v40, v40, v4
	v_lshlrev_b32_e32 v4, 24, v5
	v_cmp_gt_i64_e64 s[24:25], 0, v[3:4]
	v_not_b32_e32 v3, v4
	v_ashrrev_i32_e32 v3, 31, v3
	v_xor_b32_e32 v4, s25, v3
	v_xor_b32_e32 v3, s24, v3
	v_and_b32_e32 v41, v41, v42
	v_and_b32_e32 v3, v40, v3
	v_mul_u32_u24_e32 v6, 20, v5
	v_and_b32_e32 v4, v41, v4
	v_mbcnt_lo_u32_b32 v5, v3, 0
	v_mbcnt_hi_u32_b32 v50, v4, v5
	v_cmp_ne_u64_e64 s[24:25], 0, v[3:4]
	v_cmp_eq_u32_e64 s[26:27], 0, v50
	s_and_b64 s[26:27], s[24:25], s[26:27]
	v_add_u32_e32 v40, v25, v6
	; wave barrier
	s_and_saveexec_b64 s[24:25], s[26:27]
	s_cbranch_execz .LBB73_41
; %bb.40:
	v_bcnt_u32_b32 v3, v3, 0
	v_bcnt_u32_b32 v3, v4, v3
	s_waitcnt lgkmcnt(0)
	v_add_u32_e32 v3, v48, v3
	ds_write_b32 v40, v3 offset:16
.LBB73_41:
	s_or_b64 exec, exec, s[24:25]
	v_xor_b32_e32 v49, 0xffff8000, v7
	v_lshrrev_b32_sdwa v3, s68, v49 dst_sel:DWORD dst_unused:UNUSED_PAD src0_sel:DWORD src1_sel:WORD_0
	v_and_b32_e32 v5, s74, v3
	v_and_b32_e32 v4, 1, v5
	v_add_co_u32_e64 v41, s[24:25], -1, v4
	v_addc_co_u32_e64 v42, s[24:25], 0, -1, s[24:25]
	v_cmp_ne_u32_e64 s[24:25], 0, v4
	v_mad_u32_u24 v3, v5, 20, v25
	v_xor_b32_e32 v4, s25, v42
	; wave barrier
	ds_read_b32 v51, v3 offset:16
	v_mov_b32_e32 v3, 0
	v_and_b32_e32 v42, exec_hi, v4
	v_lshlrev_b32_e32 v4, 30, v5
	v_xor_b32_e32 v41, s24, v41
	v_cmp_gt_i64_e64 s[24:25], 0, v[3:4]
	v_not_b32_e32 v4, v4
	v_ashrrev_i32_e32 v4, 31, v4
	v_and_b32_e32 v41, exec_lo, v41
	v_xor_b32_e32 v43, s25, v4
	v_xor_b32_e32 v4, s24, v4
	v_and_b32_e32 v41, v41, v4
	v_lshlrev_b32_e32 v4, 29, v5
	v_cmp_gt_i64_e64 s[24:25], 0, v[3:4]
	v_not_b32_e32 v4, v4
	v_ashrrev_i32_e32 v4, 31, v4
	v_and_b32_e32 v42, v42, v43
	v_xor_b32_e32 v43, s25, v4
	v_xor_b32_e32 v4, s24, v4
	v_and_b32_e32 v41, v41, v4
	v_lshlrev_b32_e32 v4, 28, v5
	v_cmp_gt_i64_e64 s[24:25], 0, v[3:4]
	v_not_b32_e32 v4, v4
	v_ashrrev_i32_e32 v4, 31, v4
	v_and_b32_e32 v42, v42, v43
	;; [unrolled: 8-line block ×5, first 2 shown]
	v_xor_b32_e32 v43, s25, v4
	v_xor_b32_e32 v4, s24, v4
	v_and_b32_e32 v41, v41, v4
	v_lshlrev_b32_e32 v4, 24, v5
	v_cmp_gt_i64_e64 s[24:25], 0, v[3:4]
	v_not_b32_e32 v4, v4
	v_ashrrev_i32_e32 v4, 31, v4
	v_mul_u32_u24_e32 v6, 20, v5
	v_xor_b32_e32 v5, s25, v4
	v_xor_b32_e32 v4, s24, v4
	v_and_b32_e32 v42, v42, v43
	v_and_b32_e32 v4, v41, v4
	;; [unrolled: 1-line block ×3, first 2 shown]
	v_mbcnt_lo_u32_b32 v41, v4, 0
	v_mbcnt_hi_u32_b32 v52, v5, v41
	v_cmp_ne_u64_e64 s[24:25], 0, v[4:5]
	v_cmp_eq_u32_e64 s[26:27], 0, v52
	s_and_b64 s[26:27], s[24:25], s[26:27]
	v_add_u32_e32 v41, v25, v6
	; wave barrier
	s_and_saveexec_b64 s[24:25], s[26:27]
	s_cbranch_execz .LBB73_43
; %bb.42:
	v_bcnt_u32_b32 v4, v4, 0
	v_bcnt_u32_b32 v4, v5, v4
	s_waitcnt lgkmcnt(0)
	v_add_u32_e32 v4, v51, v4
	ds_write_b32 v41, v4 offset:16
.LBB73_43:
	s_or_b64 exec, exec, s[24:25]
	v_xor_b32_sdwa v7, v7, s28 dst_sel:DWORD dst_unused:UNUSED_PAD src0_sel:WORD_1 src1_sel:DWORD
	v_lshrrev_b32_sdwa v4, s68, v7 dst_sel:DWORD dst_unused:UNUSED_PAD src0_sel:DWORD src1_sel:WORD_0
	v_and_b32_e32 v5, s74, v4
	v_mad_u32_u24 v4, v5, 20, v25
	; wave barrier
	ds_read_b32 v53, v4 offset:16
	v_and_b32_e32 v4, 1, v5
	v_add_co_u32_e64 v42, s[24:25], -1, v4
	v_addc_co_u32_e64 v43, s[24:25], 0, -1, s[24:25]
	v_cmp_ne_u32_e64 s[24:25], 0, v4
	v_xor_b32_e32 v4, s25, v43
	v_and_b32_e32 v43, exec_hi, v4
	v_lshlrev_b32_e32 v4, 30, v5
	v_xor_b32_e32 v42, s24, v42
	v_cmp_gt_i64_e64 s[24:25], 0, v[3:4]
	v_not_b32_e32 v4, v4
	v_ashrrev_i32_e32 v4, 31, v4
	v_and_b32_e32 v42, exec_lo, v42
	v_xor_b32_e32 v44, s25, v4
	v_xor_b32_e32 v4, s24, v4
	v_and_b32_e32 v42, v42, v4
	v_lshlrev_b32_e32 v4, 29, v5
	v_cmp_gt_i64_e64 s[24:25], 0, v[3:4]
	v_not_b32_e32 v4, v4
	v_ashrrev_i32_e32 v4, 31, v4
	v_and_b32_e32 v43, v43, v44
	v_xor_b32_e32 v44, s25, v4
	v_xor_b32_e32 v4, s24, v4
	v_and_b32_e32 v42, v42, v4
	v_lshlrev_b32_e32 v4, 28, v5
	v_cmp_gt_i64_e64 s[24:25], 0, v[3:4]
	v_not_b32_e32 v4, v4
	v_ashrrev_i32_e32 v4, 31, v4
	v_and_b32_e32 v43, v43, v44
	;; [unrolled: 8-line block ×5, first 2 shown]
	v_xor_b32_e32 v44, s25, v4
	v_xor_b32_e32 v4, s24, v4
	v_and_b32_e32 v42, v42, v4
	v_lshlrev_b32_e32 v4, 24, v5
	v_cmp_gt_i64_e64 s[24:25], 0, v[3:4]
	v_not_b32_e32 v3, v4
	v_ashrrev_i32_e32 v3, 31, v3
	v_xor_b32_e32 v4, s25, v3
	v_xor_b32_e32 v3, s24, v3
	v_and_b32_e32 v43, v43, v44
	v_and_b32_e32 v3, v42, v3
	v_mul_u32_u24_e32 v6, 20, v5
	v_and_b32_e32 v4, v43, v4
	v_mbcnt_lo_u32_b32 v5, v3, 0
	v_mbcnt_hi_u32_b32 v55, v4, v5
	v_cmp_ne_u64_e64 s[24:25], 0, v[3:4]
	v_cmp_eq_u32_e64 s[26:27], 0, v55
	s_and_b64 s[26:27], s[24:25], s[26:27]
	v_add_u32_e32 v42, v25, v6
	; wave barrier
	s_and_saveexec_b64 s[24:25], s[26:27]
	s_cbranch_execz .LBB73_45
; %bb.44:
	v_bcnt_u32_b32 v3, v3, 0
	v_bcnt_u32_b32 v3, v4, v3
	s_waitcnt lgkmcnt(0)
	v_add_u32_e32 v3, v53, v3
	ds_write_b32 v42, v3 offset:16
.LBB73_45:
	s_or_b64 exec, exec, s[24:25]
	v_xor_b32_e32 v54, 0xffff8000, v8
	v_lshrrev_b32_sdwa v3, s68, v54 dst_sel:DWORD dst_unused:UNUSED_PAD src0_sel:DWORD src1_sel:WORD_0
	v_and_b32_e32 v5, s74, v3
	v_and_b32_e32 v4, 1, v5
	v_add_co_u32_e64 v43, s[24:25], -1, v4
	v_addc_co_u32_e64 v44, s[24:25], 0, -1, s[24:25]
	v_cmp_ne_u32_e64 s[24:25], 0, v4
	v_mad_u32_u24 v3, v5, 20, v25
	v_xor_b32_e32 v4, s25, v44
	; wave barrier
	ds_read_b32 v56, v3 offset:16
	v_mov_b32_e32 v3, 0
	v_and_b32_e32 v44, exec_hi, v4
	v_lshlrev_b32_e32 v4, 30, v5
	v_xor_b32_e32 v43, s24, v43
	v_cmp_gt_i64_e64 s[24:25], 0, v[3:4]
	v_not_b32_e32 v4, v4
	v_ashrrev_i32_e32 v4, 31, v4
	v_and_b32_e32 v43, exec_lo, v43
	v_xor_b32_e32 v57, s25, v4
	v_xor_b32_e32 v4, s24, v4
	v_and_b32_e32 v43, v43, v4
	v_lshlrev_b32_e32 v4, 29, v5
	v_cmp_gt_i64_e64 s[24:25], 0, v[3:4]
	v_not_b32_e32 v4, v4
	v_ashrrev_i32_e32 v4, 31, v4
	v_and_b32_e32 v44, v44, v57
	v_xor_b32_e32 v57, s25, v4
	v_xor_b32_e32 v4, s24, v4
	v_and_b32_e32 v43, v43, v4
	v_lshlrev_b32_e32 v4, 28, v5
	v_cmp_gt_i64_e64 s[24:25], 0, v[3:4]
	v_not_b32_e32 v4, v4
	v_ashrrev_i32_e32 v4, 31, v4
	v_and_b32_e32 v44, v44, v57
	;; [unrolled: 8-line block ×5, first 2 shown]
	v_xor_b32_e32 v57, s25, v4
	v_xor_b32_e32 v4, s24, v4
	v_and_b32_e32 v43, v43, v4
	v_lshlrev_b32_e32 v4, 24, v5
	v_cmp_gt_i64_e64 s[24:25], 0, v[3:4]
	v_not_b32_e32 v4, v4
	v_ashrrev_i32_e32 v4, 31, v4
	v_mul_u32_u24_e32 v6, 20, v5
	v_xor_b32_e32 v5, s25, v4
	v_xor_b32_e32 v4, s24, v4
	v_and_b32_e32 v44, v44, v57
	v_and_b32_e32 v4, v43, v4
	;; [unrolled: 1-line block ×3, first 2 shown]
	v_mbcnt_lo_u32_b32 v43, v4, 0
	v_mbcnt_hi_u32_b32 v57, v5, v43
	v_cmp_ne_u64_e64 s[24:25], 0, v[4:5]
	v_cmp_eq_u32_e64 s[26:27], 0, v57
	s_and_b64 s[26:27], s[24:25], s[26:27]
	v_add_u32_e32 v43, v25, v6
	; wave barrier
	s_and_saveexec_b64 s[24:25], s[26:27]
	s_cbranch_execz .LBB73_47
; %bb.46:
	v_bcnt_u32_b32 v4, v4, 0
	v_bcnt_u32_b32 v4, v5, v4
	s_waitcnt lgkmcnt(0)
	v_add_u32_e32 v4, v56, v4
	ds_write_b32 v43, v4 offset:16
.LBB73_47:
	s_or_b64 exec, exec, s[24:25]
	v_xor_b32_sdwa v8, v8, s28 dst_sel:DWORD dst_unused:UNUSED_PAD src0_sel:WORD_1 src1_sel:DWORD
	v_lshrrev_b32_sdwa v4, s68, v8 dst_sel:DWORD dst_unused:UNUSED_PAD src0_sel:DWORD src1_sel:WORD_0
	v_and_b32_e32 v5, s74, v4
	v_mad_u32_u24 v4, v5, 20, v25
	; wave barrier
	ds_read_b32 v58, v4 offset:16
	v_and_b32_e32 v4, 1, v5
	v_add_co_u32_e64 v44, s[24:25], -1, v4
	v_addc_co_u32_e64 v59, s[24:25], 0, -1, s[24:25]
	v_cmp_ne_u32_e64 s[24:25], 0, v4
	v_xor_b32_e32 v4, s25, v59
	v_and_b32_e32 v59, exec_hi, v4
	v_lshlrev_b32_e32 v4, 30, v5
	v_xor_b32_e32 v44, s24, v44
	v_cmp_gt_i64_e64 s[24:25], 0, v[3:4]
	v_not_b32_e32 v4, v4
	v_ashrrev_i32_e32 v4, 31, v4
	v_and_b32_e32 v44, exec_lo, v44
	v_xor_b32_e32 v60, s25, v4
	v_xor_b32_e32 v4, s24, v4
	v_and_b32_e32 v44, v44, v4
	v_lshlrev_b32_e32 v4, 29, v5
	v_cmp_gt_i64_e64 s[24:25], 0, v[3:4]
	v_not_b32_e32 v4, v4
	v_ashrrev_i32_e32 v4, 31, v4
	v_and_b32_e32 v59, v59, v60
	v_xor_b32_e32 v60, s25, v4
	v_xor_b32_e32 v4, s24, v4
	v_and_b32_e32 v44, v44, v4
	v_lshlrev_b32_e32 v4, 28, v5
	v_cmp_gt_i64_e64 s[24:25], 0, v[3:4]
	v_not_b32_e32 v4, v4
	v_ashrrev_i32_e32 v4, 31, v4
	v_and_b32_e32 v59, v59, v60
	;; [unrolled: 8-line block ×5, first 2 shown]
	v_xor_b32_e32 v60, s25, v4
	v_xor_b32_e32 v4, s24, v4
	v_and_b32_e32 v44, v44, v4
	v_lshlrev_b32_e32 v4, 24, v5
	v_cmp_gt_i64_e64 s[24:25], 0, v[3:4]
	v_not_b32_e32 v3, v4
	v_ashrrev_i32_e32 v3, 31, v3
	v_xor_b32_e32 v4, s25, v3
	v_xor_b32_e32 v3, s24, v3
	v_and_b32_e32 v59, v59, v60
	v_and_b32_e32 v3, v44, v3
	v_mul_u32_u24_e32 v6, 20, v5
	v_and_b32_e32 v4, v59, v4
	v_mbcnt_lo_u32_b32 v5, v3, 0
	v_mbcnt_hi_u32_b32 v59, v4, v5
	v_cmp_ne_u64_e64 s[24:25], 0, v[3:4]
	v_cmp_eq_u32_e64 s[26:27], 0, v59
	s_and_b64 s[26:27], s[24:25], s[26:27]
	v_add_u32_e32 v25, v25, v6
	; wave barrier
	s_and_saveexec_b64 s[24:25], s[26:27]
	s_cbranch_execz .LBB73_49
; %bb.48:
	v_bcnt_u32_b32 v3, v3, 0
	v_bcnt_u32_b32 v3, v4, v3
	s_waitcnt lgkmcnt(0)
	v_add_u32_e32 v3, v58, v3
	ds_write_b32 v25, v3 offset:16
.LBB73_49:
	s_or_b64 exec, exec, s[24:25]
	; wave barrier
	s_waitcnt lgkmcnt(0)
	s_barrier
	ds_read2_b32 v[5:6], v16 offset0:4 offset1:5
	ds_read2_b32 v[3:4], v16 offset0:6 offset1:7
	ds_read_b32 v44, v16 offset:32
	v_min_u32_e32 v15, 0xc0, v15
	v_or_b32_e32 v15, 63, v15
	s_waitcnt lgkmcnt(1)
	v_add3_u32 v60, v6, v5, v3
	s_waitcnt lgkmcnt(0)
	v_add3_u32 v44, v60, v4, v44
	v_and_b32_e32 v60, 15, v13
	v_cmp_ne_u32_e64 s[24:25], 0, v60
	v_mov_b32_dpp v61, v44 row_shr:1 row_mask:0xf bank_mask:0xf
	v_cndmask_b32_e64 v61, 0, v61, s[24:25]
	v_add_u32_e32 v44, v61, v44
	v_cmp_lt_u32_e64 s[24:25], 1, v60
	s_nop 0
	v_mov_b32_dpp v61, v44 row_shr:2 row_mask:0xf bank_mask:0xf
	v_cndmask_b32_e64 v61, 0, v61, s[24:25]
	v_add_u32_e32 v44, v44, v61
	v_cmp_lt_u32_e64 s[24:25], 3, v60
	s_nop 0
	v_mov_b32_dpp v61, v44 row_shr:4 row_mask:0xf bank_mask:0xf
	v_cndmask_b32_e64 v61, 0, v61, s[24:25]
	v_add_u32_e32 v44, v44, v61
	v_cmp_lt_u32_e64 s[24:25], 7, v60
	s_nop 0
	v_mov_b32_dpp v61, v44 row_shr:8 row_mask:0xf bank_mask:0xf
	v_cndmask_b32_e64 v60, 0, v61, s[24:25]
	v_add_u32_e32 v44, v44, v60
	v_bfe_i32 v61, v13, 4, 1
	v_cmp_lt_u32_e64 s[24:25], 31, v13
	v_mov_b32_dpp v60, v44 row_bcast:15 row_mask:0xf bank_mask:0xf
	v_and_b32_e32 v60, v61, v60
	v_add_u32_e32 v44, v44, v60
	s_nop 1
	v_mov_b32_dpp v60, v44 row_bcast:31 row_mask:0xf bank_mask:0xf
	v_cndmask_b32_e64 v60, 0, v60, s[24:25]
	v_add_u32_e32 v44, v44, v60
	v_lshrrev_b32_e32 v60, 6, v0
	v_cmp_eq_u32_e64 s[24:25], v0, v15
	s_and_saveexec_b64 s[26:27], s[24:25]
; %bb.50:
	v_lshlrev_b32_e32 v15, 2, v60
	ds_write_b32 v15, v44
; %bb.51:
	s_or_b64 exec, exec, s[26:27]
	v_cmp_gt_u32_e64 s[24:25], 4, v0
	s_waitcnt lgkmcnt(0)
	s_barrier
	s_and_saveexec_b64 s[26:27], s[24:25]
	s_cbranch_execz .LBB73_53
; %bb.52:
	v_lshlrev_b32_e32 v15, 2, v0
	ds_read_b32 v61, v15
	v_and_b32_e32 v62, 3, v13
	v_cmp_ne_u32_e64 s[24:25], 0, v62
	s_waitcnt lgkmcnt(0)
	v_mov_b32_dpp v63, v61 row_shr:1 row_mask:0xf bank_mask:0xf
	v_cndmask_b32_e64 v63, 0, v63, s[24:25]
	v_add_u32_e32 v61, v63, v61
	v_cmp_lt_u32_e64 s[24:25], 1, v62
	s_nop 0
	v_mov_b32_dpp v63, v61 row_shr:2 row_mask:0xf bank_mask:0xf
	v_cndmask_b32_e64 v62, 0, v63, s[24:25]
	v_add_u32_e32 v61, v61, v62
	ds_write_b32 v15, v61
.LBB73_53:
	s_or_b64 exec, exec, s[26:27]
	v_cmp_lt_u32_e64 s[24:25], 63, v0
	v_mov_b32_e32 v15, 0
	s_waitcnt lgkmcnt(0)
	s_barrier
	s_and_saveexec_b64 s[26:27], s[24:25]
; %bb.54:
	v_lshl_add_u32 v15, v60, 2, -4
	ds_read_b32 v15, v15
; %bb.55:
	s_or_b64 exec, exec, s[26:27]
	v_add_u32_e32 v60, -1, v13
	v_and_b32_e32 v61, 64, v13
	v_cmp_lt_i32_e64 s[24:25], v60, v61
	v_cndmask_b32_e64 v60, v60, v13, s[24:25]
	s_waitcnt lgkmcnt(0)
	v_add_u32_e32 v44, v15, v44
	v_lshlrev_b32_e32 v60, 2, v60
	ds_bpermute_b32 v44, v60, v44
	v_cmp_eq_u32_e64 s[24:25], 0, v13
	s_waitcnt lgkmcnt(0)
	v_cndmask_b32_e64 v15, v44, v15, s[24:25]
	v_cmp_ne_u32_e64 s[24:25], 0, v0
	v_cndmask_b32_e64 v15, 0, v15, s[24:25]
	v_add_u32_e32 v5, v15, v5
	v_add_u32_e32 v6, v5, v6
	;; [unrolled: 1-line block ×4, first 2 shown]
	ds_write2_b32 v16, v15, v5 offset0:4 offset1:5
	ds_write2_b32 v16, v6, v3 offset0:6 offset1:7
	ds_write_b32 v16, v4 offset:32
	s_waitcnt lgkmcnt(0)
	s_barrier
	ds_read_b32 v4, v20 offset:16
	ds_read_b32 v5, v24 offset:16
	;; [unrolled: 1-line block ×13, first 2 shown]
	v_add_u32_e32 v16, 1, v0
	s_movk_i32 s24, 0x100
	v_cmp_ne_u32_e64 s[24:25], s24, v16
	v_mov_b32_e32 v3, 0xc00
	s_and_saveexec_b64 s[26:27], s[24:25]
; %bb.56:
	v_mul_u32_u24_e32 v3, 20, v16
	ds_read_b32 v3, v3 offset:16
; %bb.57:
	s_or_b64 exec, exec, s[26:27]
	s_waitcnt lgkmcnt(12)
	v_add_u32_e32 v44, v4, v18
	s_waitcnt lgkmcnt(11)
	v_add3_u32 v43, v21, v19, v5
	v_lshlrev_b32_e32 v4, 1, v44
	s_waitcnt lgkmcnt(10)
	v_add3_u32 v42, v26, v23, v6
	s_waitcnt lgkmcnt(0)
	s_barrier
	ds_write_b16 v4, v12 offset:2048
	v_lshlrev_b32_e32 v4, 1, v43
	v_add3_u32 v41, v32, v27, v15
	ds_write_b16 v4, v17 offset:2048
	v_lshlrev_b32_e32 v4, 1, v42
	v_add3_u32 v40, v34, v33, v20
	;; [unrolled: 3-line block ×9, first 2 shown]
	ds_write_b16 v4, v7 offset:2048
	v_lshlrev_b32_e32 v4, 1, v34
	ds_write_b16 v4, v54 offset:2048
	v_lshlrev_b32_e32 v4, 1, v33
	ds_write_b16 v4, v8 offset:2048
	v_sub_u32_e32 v31, v3, v30
	v_lshl_or_b32 v3, s6, 8, v0
	v_mov_b32_e32 v4, 0
	v_lshlrev_b64 v[5:6], 2, v[3:4]
	v_mov_b32_e32 v9, s73
	v_add_co_u32_e64 v5, s[24:25], s72, v5
	v_addc_co_u32_e64 v6, s[24:25], v9, v6, s[24:25]
	v_or_b32_e32 v3, 2.0, v31
	s_mov_b64 s[26:27], 0
	s_brev_b32 s34, -4
	s_mov_b32 s35, s7
	v_mov_b32_e32 v10, 0
	s_waitcnt lgkmcnt(0)
	s_barrier
	global_store_dword v[5:6], v3, off
                                        ; implicit-def: $sgpr24_sgpr25
	s_branch .LBB73_60
.LBB73_58:                              ;   in Loop: Header=BB73_60 Depth=1
	s_or_b64 exec, exec, s[30:31]
.LBB73_59:                              ;   in Loop: Header=BB73_60 Depth=1
	s_or_b64 exec, exec, s[28:29]
	v_and_b32_e32 v7, 0x3fffffff, v3
	v_add_u32_e32 v10, v7, v10
	v_cmp_gt_i32_e64 s[24:25], -2.0, v3
	s_and_b64 s[28:29], exec, s[24:25]
	s_or_b64 s[26:27], s[28:29], s[26:27]
	s_andn2_b64 exec, exec, s[26:27]
	s_cbranch_execz .LBB73_65
.LBB73_60:                              ; =>This Loop Header: Depth=1
                                        ;     Child Loop BB73_63 Depth 2
	s_or_b64 s[24:25], s[24:25], exec
	s_cmp_eq_u32 s35, 0
	s_cbranch_scc1 .LBB73_64
; %bb.61:                               ;   in Loop: Header=BB73_60 Depth=1
	s_add_i32 s35, s35, -1
	v_lshl_or_b32 v3, s35, 8, v0
	v_lshlrev_b64 v[7:8], 2, v[3:4]
	v_add_co_u32_e64 v7, s[24:25], s72, v7
	v_addc_co_u32_e64 v8, s[24:25], v9, v8, s[24:25]
	global_load_dword v3, v[7:8], off glc
	s_waitcnt vmcnt(0)
	v_cmp_gt_u32_e64 s[24:25], 2.0, v3
	s_and_saveexec_b64 s[28:29], s[24:25]
	s_cbranch_execz .LBB73_59
; %bb.62:                               ;   in Loop: Header=BB73_60 Depth=1
	s_mov_b64 s[30:31], 0
.LBB73_63:                              ;   Parent Loop BB73_60 Depth=1
                                        ; =>  This Inner Loop Header: Depth=2
	global_load_dword v3, v[7:8], off glc
	s_waitcnt vmcnt(0)
	v_cmp_lt_u32_e64 s[24:25], s34, v3
	s_or_b64 s[30:31], s[24:25], s[30:31]
	s_andn2_b64 exec, exec, s[30:31]
	s_cbranch_execnz .LBB73_63
	s_branch .LBB73_58
.LBB73_64:                              ;   in Loop: Header=BB73_60 Depth=1
                                        ; implicit-def: $sgpr35
	s_and_b64 s[28:29], exec, s[24:25]
	s_or_b64 s[26:27], s[28:29], s[26:27]
	s_andn2_b64 exec, exec, s[26:27]
	s_cbranch_execnz .LBB73_60
.LBB73_65:
	s_or_b64 exec, exec, s[26:27]
	v_add_u32_e32 v3, v10, v31
	v_or_b32_e32 v3, 0x80000000, v3
	v_lshlrev_b32_e32 v32, 3, v0
	global_store_dword v[5:6], v3, off
	global_load_dwordx2 v[3:4], v32, s[64:65]
	v_sub_co_u32_e64 v5, s[24:25], v10, v30
	v_subb_co_u32_e64 v6, s[24:25], 0, 0, s[24:25]
	s_waitcnt vmcnt(0)
	v_add_co_u32_e64 v3, s[24:25], v5, v3
	v_addc_co_u32_e64 v4, s[24:25], v6, v4, s[24:25]
	v_cmp_gt_u32_e64 s[24:25], s70, v0
	ds_write_b64 v32, v[3:4]
	s_waitcnt lgkmcnt(0)
	s_barrier
	s_and_saveexec_b64 s[28:29], s[24:25]
	s_cbranch_execz .LBB73_67
; %bb.66:
	v_mad_i32_i24 v3, v0, -6, v32
	ds_read_u16 v5, v3 offset:2048
	v_mov_b32_e32 v6, s59
	v_lshlrev_b32_e32 v7, 1, v0
	s_waitcnt lgkmcnt(0)
	v_lshrrev_b32_sdwa v3, s68, v5 dst_sel:DWORD dst_unused:UNUSED_PAD src0_sel:DWORD src1_sel:WORD_0
	v_and_b32_e32 v3, s74, v3
	v_lshlrev_b32_e32 v3, 3, v3
	ds_read_b64 v[3:4], v3
	v_xor_b32_e32 v5, 0xffff8000, v5
	s_waitcnt lgkmcnt(0)
	v_lshlrev_b64 v[3:4], 1, v[3:4]
	v_add_co_u32_e64 v3, s[26:27], s58, v3
	v_addc_co_u32_e64 v4, s[26:27], v6, v4, s[26:27]
	v_add_co_u32_e64 v3, s[26:27], v3, v7
	v_addc_co_u32_e64 v4, s[26:27], 0, v4, s[26:27]
	global_store_short v[3:4], v5, off
.LBB73_67:
	s_or_b64 exec, exec, s[28:29]
	v_or_b32_e32 v3, 0x100, v0
	v_cmp_gt_u32_e64 s[26:27], s70, v3
	s_and_saveexec_b64 s[30:31], s[26:27]
	s_cbranch_execz .LBB73_69
; %bb.68:
	v_mad_i32_i24 v3, v0, -6, v32
	ds_read_u16 v5, v3 offset:2560
	v_mov_b32_e32 v6, s59
	v_lshlrev_b32_e32 v7, 1, v0
	s_waitcnt lgkmcnt(0)
	v_lshrrev_b32_sdwa v3, s68, v5 dst_sel:DWORD dst_unused:UNUSED_PAD src0_sel:DWORD src1_sel:WORD_0
	v_and_b32_e32 v3, s74, v3
	v_lshlrev_b32_e32 v3, 3, v3
	ds_read_b64 v[3:4], v3
	v_xor_b32_e32 v5, 0xffff8000, v5
	s_waitcnt lgkmcnt(0)
	v_lshlrev_b64 v[3:4], 1, v[3:4]
	v_add_co_u32_e64 v3, s[28:29], s58, v3
	v_addc_co_u32_e64 v4, s[28:29], v6, v4, s[28:29]
	v_add_co_u32_e64 v3, s[28:29], v3, v7
	v_addc_co_u32_e64 v4, s[28:29], 0, v4, s[28:29]
	global_store_short v[3:4], v5, off offset:512
.LBB73_69:
	s_or_b64 exec, exec, s[30:31]
	v_or_b32_e32 v45, 0x200, v0
	v_cmp_gt_u32_e64 s[28:29], s70, v45
	s_and_saveexec_b64 s[34:35], s[28:29]
	s_cbranch_execz .LBB73_71
; %bb.70:
	v_mad_i32_i24 v3, v0, -6, v32
	ds_read_u16 v5, v3 offset:3072
	v_mov_b32_e32 v6, s59
	v_lshlrev_b32_e32 v7, 1, v0
	s_waitcnt lgkmcnt(0)
	v_lshrrev_b32_sdwa v3, s68, v5 dst_sel:DWORD dst_unused:UNUSED_PAD src0_sel:DWORD src1_sel:WORD_0
	v_and_b32_e32 v3, s74, v3
	v_lshlrev_b32_e32 v3, 3, v3
	ds_read_b64 v[3:4], v3
	v_xor_b32_e32 v5, 0xffff8000, v5
	s_waitcnt lgkmcnt(0)
	v_lshlrev_b64 v[3:4], 1, v[3:4]
	v_add_co_u32_e64 v3, s[30:31], s58, v3
	v_addc_co_u32_e64 v4, s[30:31], v6, v4, s[30:31]
	v_add_co_u32_e64 v3, s[30:31], v3, v7
	v_addc_co_u32_e64 v4, s[30:31], 0, v4, s[30:31]
	global_store_short v[3:4], v5, off offset:1024
.LBB73_71:
	;; [unrolled: 24-line block ×6, first 2 shown]
	s_or_b64 exec, exec, s[42:43]
	v_or_b32_e32 v50, 0x700, v0
	v_cmp_gt_u32_e64 s[40:41], s70, v50
	s_and_saveexec_b64 s[44:45], s[40:41]
	s_cbranch_execz .LBB73_81
; %bb.80:
	v_lshlrev_b32_e32 v5, 1, v0
	ds_read_u16 v6, v5 offset:5632
	v_mov_b32_e32 v7, s59
	s_waitcnt lgkmcnt(0)
	v_lshrrev_b32_sdwa v3, s68, v6 dst_sel:DWORD dst_unused:UNUSED_PAD src0_sel:DWORD src1_sel:WORD_0
	v_and_b32_e32 v3, s74, v3
	v_lshlrev_b32_e32 v3, 3, v3
	ds_read_b64 v[3:4], v3
	v_xor_b32_e32 v6, 0xffff8000, v6
	s_waitcnt lgkmcnt(0)
	v_lshlrev_b64 v[3:4], 1, v[3:4]
	v_add_co_u32_e64 v3, s[42:43], s58, v3
	v_addc_co_u32_e64 v4, s[42:43], v7, v4, s[42:43]
	v_add_co_u32_e64 v3, s[42:43], v3, v5
	v_addc_co_u32_e64 v4, s[42:43], 0, v4, s[42:43]
	global_store_short v[3:4], v6, off offset:3584
.LBB73_81:
	s_or_b64 exec, exec, s[44:45]
	v_or_b32_e32 v51, 0x800, v0
	v_cmp_gt_u32_e64 s[42:43], s70, v51
	s_and_saveexec_b64 s[46:47], s[42:43]
	s_cbranch_execz .LBB73_83
; %bb.82:
	v_lshlrev_b32_e32 v3, 1, v0
	ds_read_u16 v5, v3 offset:6144
	v_mov_b32_e32 v6, s59
	v_lshlrev_b32_e32 v7, 1, v51
	s_waitcnt lgkmcnt(0)
	v_lshrrev_b32_sdwa v3, s68, v5 dst_sel:DWORD dst_unused:UNUSED_PAD src0_sel:DWORD src1_sel:WORD_0
	v_and_b32_e32 v3, s74, v3
	v_lshlrev_b32_e32 v3, 3, v3
	ds_read_b64 v[3:4], v3
	v_xor_b32_e32 v5, 0xffff8000, v5
	s_waitcnt lgkmcnt(0)
	v_lshlrev_b64 v[3:4], 1, v[3:4]
	v_add_co_u32_e64 v3, s[44:45], s58, v3
	v_addc_co_u32_e64 v4, s[44:45], v6, v4, s[44:45]
	v_add_co_u32_e64 v3, s[44:45], v3, v7
	v_addc_co_u32_e64 v4, s[44:45], 0, v4, s[44:45]
	global_store_short v[3:4], v5, off
.LBB73_83:
	s_or_b64 exec, exec, s[46:47]
	v_or_b32_e32 v52, 0x900, v0
	v_cmp_gt_u32_e64 s[44:45], s70, v52
	s_and_saveexec_b64 s[48:49], s[44:45]
	s_cbranch_execz .LBB73_85
; %bb.84:
	v_lshlrev_b32_e32 v3, 1, v0
	ds_read_u16 v5, v3 offset:6656
	v_mov_b32_e32 v6, s59
	v_lshlrev_b32_e32 v7, 1, v52
	s_waitcnt lgkmcnt(0)
	v_lshrrev_b32_sdwa v3, s68, v5 dst_sel:DWORD dst_unused:UNUSED_PAD src0_sel:DWORD src1_sel:WORD_0
	v_and_b32_e32 v3, s74, v3
	v_lshlrev_b32_e32 v3, 3, v3
	ds_read_b64 v[3:4], v3
	v_xor_b32_e32 v5, 0xffff8000, v5
	s_waitcnt lgkmcnt(0)
	v_lshlrev_b64 v[3:4], 1, v[3:4]
	v_add_co_u32_e64 v3, s[46:47], s58, v3
	v_addc_co_u32_e64 v4, s[46:47], v6, v4, s[46:47]
	v_add_co_u32_e64 v3, s[46:47], v3, v7
	v_addc_co_u32_e64 v4, s[46:47], 0, v4, s[46:47]
	global_store_short v[3:4], v5, off
.LBB73_85:
	;; [unrolled: 24-line block ×4, first 2 shown]
	s_or_b64 exec, exec, s[70:71]
	s_lshl_b64 s[52:53], s[54:55], 3
	s_add_u32 s52, s60, s52
	s_addc_u32 s53, s61, s53
	v_lshlrev_b32_e32 v3, 3, v13
	v_mov_b32_e32 v4, s53
	v_add_co_u32_e64 v3, s[52:53], s52, v3
	v_addc_co_u32_e64 v4, s[52:53], 0, v4, s[52:53]
	v_lshlrev_b32_e32 v5, 3, v14
	v_add_co_u32_e64 v27, s[52:53], v3, v5
	v_addc_co_u32_e64 v28, s[52:53], 0, v4, s[52:53]
                                        ; implicit-def: $vgpr3_vgpr4
	s_and_saveexec_b64 s[52:53], vcc
	s_xor_b64 s[52:53], exec, s[52:53]
	s_cbranch_execz .LBB73_101
; %bb.90:
	global_load_dwordx2 v[3:4], v[27:28], off
	s_or_b64 exec, exec, s[52:53]
                                        ; implicit-def: $vgpr5_vgpr6
	s_and_saveexec_b64 s[52:53], s[0:1]
	s_cbranch_execnz .LBB73_102
.LBB73_91:
	s_or_b64 exec, exec, s[52:53]
                                        ; implicit-def: $vgpr7_vgpr8
	s_and_saveexec_b64 s[0:1], s[2:3]
	s_cbranch_execz .LBB73_103
.LBB73_92:
	global_load_dwordx2 v[7:8], v[27:28], off offset:1024
	s_or_b64 exec, exec, s[0:1]
                                        ; implicit-def: $vgpr9_vgpr10
	s_and_saveexec_b64 s[0:1], s[50:51]
	s_cbranch_execnz .LBB73_104
.LBB73_93:
	s_or_b64 exec, exec, s[0:1]
                                        ; implicit-def: $vgpr11_vgpr12
	s_and_saveexec_b64 s[0:1], s[8:9]
	s_cbranch_execz .LBB73_105
.LBB73_94:
	global_load_dwordx2 v[11:12], v[27:28], off offset:2048
	s_or_b64 exec, exec, s[0:1]
                                        ; implicit-def: $vgpr13_vgpr14
	s_and_saveexec_b64 s[0:1], s[10:11]
	s_cbranch_execnz .LBB73_106
.LBB73_95:
	s_or_b64 exec, exec, s[0:1]
                                        ; implicit-def: $vgpr15_vgpr16
	s_and_saveexec_b64 s[0:1], s[12:13]
	s_cbranch_execz .LBB73_107
.LBB73_96:
	global_load_dwordx2 v[15:16], v[27:28], off offset:3072
	s_or_b64 exec, exec, s[0:1]
                                        ; implicit-def: $vgpr17_vgpr18
	s_and_saveexec_b64 s[0:1], s[14:15]
	s_cbranch_execnz .LBB73_108
.LBB73_97:
	s_or_b64 exec, exec, s[0:1]
                                        ; implicit-def: $vgpr19_vgpr20
	s_and_saveexec_b64 s[0:1], s[16:17]
	s_cbranch_execz .LBB73_109
.LBB73_98:
	v_add_co_u32_e32 v19, vcc, 0x1000, v27
	v_addc_co_u32_e32 v20, vcc, 0, v28, vcc
	global_load_dwordx2 v[19:20], v[19:20], off
	s_or_b64 exec, exec, s[0:1]
                                        ; implicit-def: $vgpr21_vgpr22
	s_and_saveexec_b64 s[0:1], s[18:19]
	s_cbranch_execnz .LBB73_110
.LBB73_99:
	s_or_b64 exec, exec, s[0:1]
                                        ; implicit-def: $vgpr23_vgpr24
	s_and_saveexec_b64 s[0:1], s[20:21]
	s_cbranch_execz .LBB73_111
.LBB73_100:
	v_add_co_u32_e32 v23, vcc, 0x1000, v27
	v_addc_co_u32_e32 v24, vcc, 0, v28, vcc
	global_load_dwordx2 v[23:24], v[23:24], off offset:1024
	s_or_b64 exec, exec, s[0:1]
                                        ; implicit-def: $vgpr25_vgpr26
	s_and_saveexec_b64 s[0:1], s[22:23]
	s_cbranch_execnz .LBB73_112
	s_branch .LBB73_113
.LBB73_101:
	s_or_b64 exec, exec, s[52:53]
                                        ; implicit-def: $vgpr5_vgpr6
	s_and_saveexec_b64 s[52:53], s[0:1]
	s_cbranch_execz .LBB73_91
.LBB73_102:
	global_load_dwordx2 v[5:6], v[27:28], off offset:512
	s_or_b64 exec, exec, s[52:53]
                                        ; implicit-def: $vgpr7_vgpr8
	s_and_saveexec_b64 s[0:1], s[2:3]
	s_cbranch_execnz .LBB73_92
.LBB73_103:
	s_or_b64 exec, exec, s[0:1]
                                        ; implicit-def: $vgpr9_vgpr10
	s_and_saveexec_b64 s[0:1], s[50:51]
	s_cbranch_execz .LBB73_93
.LBB73_104:
	global_load_dwordx2 v[9:10], v[27:28], off offset:1536
	s_or_b64 exec, exec, s[0:1]
                                        ; implicit-def: $vgpr11_vgpr12
	s_and_saveexec_b64 s[0:1], s[8:9]
	s_cbranch_execnz .LBB73_94
.LBB73_105:
	s_or_b64 exec, exec, s[0:1]
                                        ; implicit-def: $vgpr13_vgpr14
	s_and_saveexec_b64 s[0:1], s[10:11]
	s_cbranch_execz .LBB73_95
.LBB73_106:
	global_load_dwordx2 v[13:14], v[27:28], off offset:2560
	s_or_b64 exec, exec, s[0:1]
                                        ; implicit-def: $vgpr15_vgpr16
	s_and_saveexec_b64 s[0:1], s[12:13]
	s_cbranch_execnz .LBB73_96
.LBB73_107:
	s_or_b64 exec, exec, s[0:1]
                                        ; implicit-def: $vgpr17_vgpr18
	s_and_saveexec_b64 s[0:1], s[14:15]
	s_cbranch_execz .LBB73_97
.LBB73_108:
	global_load_dwordx2 v[17:18], v[27:28], off offset:3584
	s_or_b64 exec, exec, s[0:1]
                                        ; implicit-def: $vgpr19_vgpr20
	s_and_saveexec_b64 s[0:1], s[16:17]
	s_cbranch_execnz .LBB73_98
.LBB73_109:
	s_or_b64 exec, exec, s[0:1]
                                        ; implicit-def: $vgpr21_vgpr22
	s_and_saveexec_b64 s[0:1], s[18:19]
	s_cbranch_execz .LBB73_99
.LBB73_110:
	v_add_co_u32_e32 v21, vcc, 0x1000, v27
	v_addc_co_u32_e32 v22, vcc, 0, v28, vcc
	global_load_dwordx2 v[21:22], v[21:22], off offset:512
	s_or_b64 exec, exec, s[0:1]
                                        ; implicit-def: $vgpr23_vgpr24
	s_and_saveexec_b64 s[0:1], s[20:21]
	s_cbranch_execnz .LBB73_100
.LBB73_111:
	s_or_b64 exec, exec, s[0:1]
                                        ; implicit-def: $vgpr25_vgpr26
	s_and_saveexec_b64 s[0:1], s[22:23]
	s_cbranch_execz .LBB73_113
.LBB73_112:
	v_add_co_u32_e32 v25, vcc, 0x1000, v27
	v_addc_co_u32_e32 v26, vcc, 0, v28, vcc
	global_load_dwordx2 v[25:26], v[25:26], off offset:1536
.LBB73_113:
	s_or_b64 exec, exec, s[0:1]
	v_mov_b32_e32 v62, 0
	v_mov_b32_e32 v64, 0
	s_and_saveexec_b64 s[0:1], s[24:25]
	s_cbranch_execz .LBB73_115
; %bb.114:
	v_lshlrev_b32_e32 v27, 1, v0
	ds_read_u16 v27, v27 offset:2048
	s_waitcnt lgkmcnt(0)
	v_lshrrev_b32_e32 v27, s68, v27
	v_and_b32_e32 v64, s74, v27
.LBB73_115:
	s_or_b64 exec, exec, s[0:1]
	s_and_saveexec_b64 s[0:1], s[26:27]
	s_cbranch_execz .LBB73_117
; %bb.116:
	v_lshlrev_b32_e32 v27, 1, v0
	ds_read_u16 v27, v27 offset:2560
	s_waitcnt lgkmcnt(0)
	v_lshrrev_b32_e32 v27, s68, v27
	v_and_b32_e32 v62, s74, v27
.LBB73_117:
	s_or_b64 exec, exec, s[0:1]
	v_mov_b32_e32 v60, 0
	v_mov_b32_e32 v63, 0
	s_and_saveexec_b64 s[0:1], s[28:29]
	s_cbranch_execz .LBB73_119
; %bb.118:
	v_lshlrev_b32_e32 v27, 1, v0
	ds_read_u16 v27, v27 offset:3072
	s_waitcnt lgkmcnt(0)
	v_lshrrev_b32_e32 v27, s68, v27
	v_and_b32_e32 v63, s74, v27
.LBB73_119:
	s_or_b64 exec, exec, s[0:1]
	s_and_saveexec_b64 s[0:1], s[30:31]
	s_cbranch_execz .LBB73_121
; %bb.120:
	v_lshlrev_b32_e32 v27, 1, v0
	ds_read_u16 v27, v27 offset:3584
	s_waitcnt lgkmcnt(0)
	v_lshrrev_b32_e32 v27, s68, v27
	v_and_b32_e32 v60, s74, v27
.LBB73_121:
	;; [unrolled: 22-line block ×6, first 2 shown]
	s_or_b64 exec, exec, s[0:1]
	v_lshlrev_b32_e32 v44, 3, v44
	s_waitcnt vmcnt(0)
	s_barrier
	ds_write_b64 v44, v[3:4] offset:2048
	v_lshlrev_b32_e32 v3, 3, v43
	ds_write_b64 v3, v[5:6] offset:2048
	v_lshlrev_b32_e32 v3, 3, v42
	;; [unrolled: 2-line block ×11, first 2 shown]
	ds_write_b64 v3, v[25:26] offset:2048
	s_waitcnt lgkmcnt(0)
	s_barrier
	s_and_saveexec_b64 s[0:1], s[24:25]
	s_cbranch_execz .LBB73_196
; %bb.138:
	v_lshlrev_b32_e32 v3, 3, v64
	ds_read_b64 v[3:4], v3
	ds_read_b64 v[5:6], v32 offset:2048
	v_mov_b32_e32 v7, s63
	s_waitcnt lgkmcnt(1)
	v_lshlrev_b64 v[3:4], 3, v[3:4]
	v_add_co_u32_e32 v3, vcc, s62, v3
	v_addc_co_u32_e32 v4, vcc, v7, v4, vcc
	v_add_co_u32_e32 v3, vcc, v3, v32
	v_addc_co_u32_e32 v4, vcc, 0, v4, vcc
	s_waitcnt lgkmcnt(0)
	global_store_dwordx2 v[3:4], v[5:6], off
	s_or_b64 exec, exec, s[0:1]
	s_and_saveexec_b64 s[0:1], s[26:27]
	s_cbranch_execnz .LBB73_197
.LBB73_139:
	s_or_b64 exec, exec, s[0:1]
	s_and_saveexec_b64 s[0:1], s[28:29]
	s_cbranch_execz .LBB73_198
.LBB73_140:
	v_lshlrev_b32_e32 v3, 3, v63
	ds_read_b64 v[3:4], v3
	ds_read_b64 v[5:6], v32 offset:6144
	v_mov_b32_e32 v7, s63
	s_waitcnt lgkmcnt(1)
	v_lshlrev_b64 v[3:4], 3, v[3:4]
	v_add_co_u32_e32 v3, vcc, s62, v3
	v_addc_co_u32_e32 v4, vcc, v7, v4, vcc
	v_lshlrev_b32_e32 v7, 3, v45
	v_add_co_u32_e32 v3, vcc, v3, v7
	v_addc_co_u32_e32 v4, vcc, 0, v4, vcc
	s_waitcnt lgkmcnt(0)
	global_store_dwordx2 v[3:4], v[5:6], off
	s_or_b64 exec, exec, s[0:1]
	s_and_saveexec_b64 s[0:1], s[30:31]
	s_cbranch_execnz .LBB73_199
.LBB73_141:
	s_or_b64 exec, exec, s[0:1]
	s_and_saveexec_b64 s[0:1], s[34:35]
	s_cbranch_execz .LBB73_200
.LBB73_142:
	v_lshlrev_b32_e32 v3, 3, v61
	ds_read_b64 v[3:4], v3
	ds_read_b64 v[5:6], v32 offset:10240
	v_mov_b32_e32 v7, s63
	s_waitcnt lgkmcnt(1)
	v_lshlrev_b64 v[3:4], 3, v[3:4]
	v_add_co_u32_e32 v3, vcc, s62, v3
	v_addc_co_u32_e32 v4, vcc, v7, v4, vcc
	v_lshlrev_b32_e32 v7, 3, v47
	v_add_co_u32_e32 v3, vcc, v3, v7
	v_addc_co_u32_e32 v4, vcc, 0, v4, vcc
	s_waitcnt lgkmcnt(0)
	global_store_dwordx2 v[3:4], v[5:6], off
	s_or_b64 exec, exec, s[0:1]
	s_and_saveexec_b64 s[0:1], s[36:37]
	s_cbranch_execnz .LBB73_201
.LBB73_143:
	s_or_b64 exec, exec, s[0:1]
	s_and_saveexec_b64 s[0:1], s[38:39]
	s_cbranch_execz .LBB73_202
.LBB73_144:
	v_lshlrev_b32_e32 v3, 3, v59
	ds_read_b64 v[3:4], v3
	ds_read_b64 v[5:6], v32 offset:14336
	v_mov_b32_e32 v7, s63
	s_waitcnt lgkmcnt(1)
	v_lshlrev_b64 v[3:4], 3, v[3:4]
	v_add_co_u32_e32 v3, vcc, s62, v3
	v_addc_co_u32_e32 v4, vcc, v7, v4, vcc
	v_lshlrev_b32_e32 v7, 3, v49
	v_add_co_u32_e32 v3, vcc, v3, v7
	v_addc_co_u32_e32 v4, vcc, 0, v4, vcc
	s_waitcnt lgkmcnt(0)
	global_store_dwordx2 v[3:4], v[5:6], off
	s_or_b64 exec, exec, s[0:1]
	s_and_saveexec_b64 s[0:1], s[40:41]
	s_cbranch_execnz .LBB73_203
.LBB73_145:
	s_or_b64 exec, exec, s[0:1]
	s_and_saveexec_b64 s[0:1], s[42:43]
	s_cbranch_execz .LBB73_204
.LBB73_146:
	v_lshlrev_b32_e32 v3, 3, v57
	ds_read_b64 v[3:4], v3
	ds_read_b64 v[5:6], v32 offset:18432
	v_mov_b32_e32 v7, s63
	s_waitcnt lgkmcnt(1)
	v_lshlrev_b64 v[3:4], 3, v[3:4]
	v_add_co_u32_e32 v3, vcc, s62, v3
	v_addc_co_u32_e32 v4, vcc, v7, v4, vcc
	v_lshlrev_b32_e32 v7, 3, v51
	v_add_co_u32_e32 v3, vcc, v3, v7
	v_addc_co_u32_e32 v4, vcc, 0, v4, vcc
	s_waitcnt lgkmcnt(0)
	global_store_dwordx2 v[3:4], v[5:6], off
	s_or_b64 exec, exec, s[0:1]
	s_and_saveexec_b64 s[0:1], s[44:45]
	s_cbranch_execnz .LBB73_205
.LBB73_147:
	s_or_b64 exec, exec, s[0:1]
	s_and_saveexec_b64 s[0:1], s[46:47]
	s_cbranch_execz .LBB73_206
.LBB73_148:
	v_lshlrev_b32_e32 v3, 3, v55
	ds_read_b64 v[3:4], v3
	ds_read_b64 v[5:6], v32 offset:22528
	v_mov_b32_e32 v7, s63
	s_waitcnt lgkmcnt(1)
	v_lshlrev_b64 v[3:4], 3, v[3:4]
	v_add_co_u32_e32 v3, vcc, s62, v3
	v_addc_co_u32_e32 v4, vcc, v7, v4, vcc
	v_lshlrev_b32_e32 v7, 3, v53
	v_add_co_u32_e32 v3, vcc, v3, v7
	v_addc_co_u32_e32 v4, vcc, 0, v4, vcc
	s_waitcnt lgkmcnt(0)
	global_store_dwordx2 v[3:4], v[5:6], off
	s_or_b64 exec, exec, s[0:1]
	s_and_saveexec_b64 s[0:1], s[48:49]
	s_cbranch_execnz .LBB73_207
.LBB73_149:
	s_or_b64 exec, exec, s[0:1]
	s_add_i32 s33, s33, -1
	s_cmp_eq_u32 s6, s33
	s_cbranch_scc0 .LBB73_151
.LBB73_150:
	ds_read_b64 v[3:4], v32
	v_add_co_u32_e32 v5, vcc, v31, v30
	v_addc_co_u32_e64 v6, s[0:1], 0, 0, vcc
	s_waitcnt lgkmcnt(0)
	v_add_co_u32_e32 v3, vcc, v5, v3
	v_addc_co_u32_e32 v4, vcc, v6, v4, vcc
	global_store_dwordx2 v32, v[3:4], s[66:67]
.LBB73_151:
	s_mov_b64 s[0:1], 0
.LBB73_152:
	s_and_b64 vcc, exec, s[0:1]
	s_cbranch_vccz .LBB73_195
; %bb.153:
	s_mov_b32 s55, 0
	s_lshl_b64 s[0:1], s[54:55], 1
	v_mbcnt_hi_u32_b32 v8, -1, v29
	s_add_u32 s0, s56, s0
	v_lshlrev_b32_e32 v4, 1, v8
	v_add_co_u32_e32 v4, vcc, s0, v4
	s_load_dword s8, s[4:5], 0x50
	s_load_dword s0, s[4:5], 0x5c
	s_addc_u32 s1, s57, s1
	v_and_b32_e32 v9, 0xc0, v0
	v_mul_u32_u24_e32 v7, 12, v9
	v_mov_b32_e32 v5, s1
	s_add_u32 s1, s4, 0x50
	v_addc_co_u32_e32 v5, vcc, 0, v5, vcc
	v_lshlrev_b32_e32 v6, 1, v7
	s_addc_u32 s2, s5, 0
	s_waitcnt lgkmcnt(0)
	s_lshr_b32 s3, s0, 16
	v_add_co_u32_e32 v4, vcc, v4, v6
	s_cmp_lt_u32 s6, s8
	v_addc_co_u32_e32 v5, vcc, 0, v5, vcc
	s_cselect_b32 s0, 12, 18
	global_load_ushort v10, v[4:5], off
	s_add_u32 s0, s1, s0
	v_mov_b32_e32 v3, 0
	s_addc_u32 s1, s2, 0
	global_load_ushort v12, v3, s[0:1]
	v_mul_u32_u24_e32 v6, 20, v0
	ds_write2_b32 v6, v3, v3 offset0:4 offset1:5
	ds_write2_b32 v6, v3, v3 offset0:6 offset1:7
	ds_write_b32 v6, v3 offset:32
	global_load_ushort v11, v[4:5], off offset:128
	global_load_ushort v15, v[4:5], off offset:256
	;; [unrolled: 1-line block ×11, first 2 shown]
	s_lshl_b32 s0, -1, s69
	v_mad_u32_u24 v1, v2, s3, v1
	s_not_b32 s9, s0
	s_waitcnt vmcnt(0) lgkmcnt(0)
	s_barrier
	; wave barrier
	v_xor_b32_e32 v5, 0xffff8000, v10
	v_lshrrev_b32_sdwa v2, s68, v5 dst_sel:DWORD dst_unused:UNUSED_PAD src0_sel:DWORD src1_sel:WORD_0
	v_and_b32_e32 v13, s9, v2
	v_lshlrev_b32_e32 v4, 30, v13
	v_mad_u64_u32 v[1:2], s[0:1], v1, v12, v[0:1]
	v_and_b32_e32 v2, 1, v13
	v_add_co_u32_e32 v10, vcc, -1, v2
	v_addc_co_u32_e64 v12, s[0:1], 0, -1, vcc
	v_cmp_ne_u32_e32 vcc, 0, v2
	v_cmp_gt_i64_e64 s[0:1], 0, v[3:4]
	v_not_b32_e32 v2, v4
	v_lshlrev_b32_e32 v4, 29, v13
	v_xor_b32_e32 v12, vcc_hi, v12
	v_xor_b32_e32 v10, vcc_lo, v10
	v_ashrrev_i32_e32 v2, 31, v2
	v_cmp_gt_i64_e32 vcc, 0, v[3:4]
	v_not_b32_e32 v14, v4
	v_lshlrev_b32_e32 v4, 28, v13
	v_and_b32_e32 v12, exec_hi, v12
	v_and_b32_e32 v10, exec_lo, v10
	v_xor_b32_e32 v16, s1, v2
	v_xor_b32_e32 v2, s0, v2
	v_ashrrev_i32_e32 v14, 31, v14
	v_cmp_gt_i64_e64 s[0:1], 0, v[3:4]
	v_not_b32_e32 v17, v4
	v_lshlrev_b32_e32 v4, 27, v13
	v_lshrrev_b32_e32 v1, 6, v1
	v_and_b32_e32 v12, v12, v16
	v_and_b32_e32 v2, v10, v2
	v_xor_b32_e32 v10, vcc_hi, v14
	v_xor_b32_e32 v14, vcc_lo, v14
	v_ashrrev_i32_e32 v16, 31, v17
	v_cmp_gt_i64_e32 vcc, 0, v[3:4]
	v_not_b32_e32 v4, v4
	v_lshlrev_b32_e32 v20, 2, v1
	v_and_b32_e32 v1, v12, v10
	v_and_b32_e32 v2, v2, v14
	v_xor_b32_e32 v12, s1, v16
	v_xor_b32_e32 v14, s0, v16
	v_ashrrev_i32_e32 v4, 31, v4
	v_and_b32_e32 v1, v1, v12
	v_and_b32_e32 v2, v2, v14
	v_xor_b32_e32 v12, vcc_hi, v4
	v_xor_b32_e32 v4, vcc_lo, v4
	v_and_b32_e32 v2, v2, v4
	v_lshlrev_b32_e32 v4, 26, v13
	v_cmp_gt_i64_e32 vcc, 0, v[3:4]
	v_not_b32_e32 v4, v4
	v_ashrrev_i32_e32 v4, 31, v4
	v_and_b32_e32 v1, v1, v12
	v_xor_b32_e32 v12, vcc_hi, v4
	v_xor_b32_e32 v4, vcc_lo, v4
	v_and_b32_e32 v2, v2, v4
	v_lshlrev_b32_e32 v4, 25, v13
	v_cmp_gt_i64_e32 vcc, 0, v[3:4]
	v_not_b32_e32 v4, v4
	v_ashrrev_i32_e32 v4, 31, v4
	v_and_b32_e32 v1, v1, v12
	v_xor_b32_e32 v12, vcc_hi, v4
	v_xor_b32_e32 v4, vcc_lo, v4
	v_and_b32_e32 v1, v1, v12
	v_and_b32_e32 v12, v2, v4
	v_lshlrev_b32_e32 v4, 24, v13
	v_cmp_gt_i64_e32 vcc, 0, v[3:4]
	v_not_b32_e32 v2, v4
	v_ashrrev_i32_e32 v2, 31, v2
	v_mad_u32_u24 v10, v13, 20, v20
	v_xor_b32_e32 v4, vcc_hi, v2
	v_xor_b32_e32 v13, vcc_lo, v2
	v_and_b32_e32 v2, v1, v4
	v_and_b32_e32 v1, v12, v13
	v_mbcnt_lo_u32_b32 v4, v1, 0
	v_mbcnt_hi_u32_b32 v12, v2, v4
	v_cmp_ne_u64_e32 vcc, 0, v[1:2]
	v_cmp_eq_u32_e64 s[0:1], 0, v12
	s_and_b64 s[2:3], vcc, s[0:1]
	s_and_saveexec_b64 s[0:1], s[2:3]
; %bb.154:
	v_bcnt_u32_b32 v1, v1, 0
	v_bcnt_u32_b32 v1, v2, v1
	ds_write_b32 v10, v1 offset:16
; %bb.155:
	s_or_b64 exec, exec, s[0:1]
	v_xor_b32_e32 v11, 0xffff8000, v11
	v_lshrrev_b32_sdwa v1, s68, v11 dst_sel:DWORD dst_unused:UNUSED_PAD src0_sel:DWORD src1_sel:WORD_0
	v_and_b32_e32 v1, s9, v1
	v_and_b32_e32 v2, 1, v1
	v_add_co_u32_e32 v4, vcc, -1, v2
	v_addc_co_u32_e64 v16, s[0:1], 0, -1, vcc
	v_cmp_ne_u32_e32 vcc, 0, v2
	v_xor_b32_e32 v4, vcc_lo, v4
	v_xor_b32_e32 v2, vcc_hi, v16
	v_and_b32_e32 v16, exec_lo, v4
	v_lshlrev_b32_e32 v4, 30, v1
	v_cmp_gt_i64_e32 vcc, 0, v[3:4]
	v_not_b32_e32 v4, v4
	v_ashrrev_i32_e32 v4, 31, v4
	v_xor_b32_e32 v17, vcc_hi, v4
	v_xor_b32_e32 v4, vcc_lo, v4
	v_and_b32_e32 v16, v16, v4
	v_lshlrev_b32_e32 v4, 29, v1
	v_cmp_gt_i64_e32 vcc, 0, v[3:4]
	v_not_b32_e32 v4, v4
	v_and_b32_e32 v2, exec_hi, v2
	v_ashrrev_i32_e32 v4, 31, v4
	v_and_b32_e32 v2, v2, v17
	v_xor_b32_e32 v17, vcc_hi, v4
	v_xor_b32_e32 v4, vcc_lo, v4
	v_and_b32_e32 v16, v16, v4
	v_lshlrev_b32_e32 v4, 28, v1
	v_cmp_gt_i64_e32 vcc, 0, v[3:4]
	v_not_b32_e32 v4, v4
	v_ashrrev_i32_e32 v4, 31, v4
	v_and_b32_e32 v2, v2, v17
	v_xor_b32_e32 v17, vcc_hi, v4
	v_xor_b32_e32 v4, vcc_lo, v4
	v_and_b32_e32 v16, v16, v4
	v_lshlrev_b32_e32 v4, 27, v1
	v_cmp_gt_i64_e32 vcc, 0, v[3:4]
	v_not_b32_e32 v4, v4
	;; [unrolled: 8-line block ×4, first 2 shown]
	v_ashrrev_i32_e32 v4, 31, v4
	v_and_b32_e32 v2, v2, v17
	v_xor_b32_e32 v17, vcc_hi, v4
	v_xor_b32_e32 v4, vcc_lo, v4
	v_and_b32_e32 v16, v16, v4
	v_lshlrev_b32_e32 v4, 24, v1
	v_mad_u32_u24 v14, v1, 20, v20
	v_cmp_gt_i64_e32 vcc, 0, v[3:4]
	v_not_b32_e32 v1, v4
	v_ashrrev_i32_e32 v1, 31, v1
	v_xor_b32_e32 v3, vcc_hi, v1
	v_xor_b32_e32 v1, vcc_lo, v1
	; wave barrier
	ds_read_b32 v13, v14 offset:16
	v_and_b32_e32 v2, v2, v17
	v_and_b32_e32 v1, v16, v1
	;; [unrolled: 1-line block ×3, first 2 shown]
	v_mbcnt_lo_u32_b32 v3, v1, 0
	v_mbcnt_hi_u32_b32 v16, v2, v3
	v_cmp_ne_u64_e32 vcc, 0, v[1:2]
	v_cmp_eq_u32_e64 s[0:1], 0, v16
	s_and_b64 s[2:3], vcc, s[0:1]
	; wave barrier
	s_and_saveexec_b64 s[0:1], s[2:3]
	s_cbranch_execz .LBB73_157
; %bb.156:
	v_bcnt_u32_b32 v1, v1, 0
	v_bcnt_u32_b32 v1, v2, v1
	s_waitcnt lgkmcnt(0)
	v_add_u32_e32 v1, v13, v1
	ds_write_b32 v14, v1 offset:16
.LBB73_157:
	s_or_b64 exec, exec, s[0:1]
	v_xor_b32_e32 v15, 0xffff8000, v15
	v_lshrrev_b32_sdwa v1, s68, v15 dst_sel:DWORD dst_unused:UNUSED_PAD src0_sel:DWORD src1_sel:WORD_0
	v_and_b32_e32 v3, s9, v1
	v_and_b32_e32 v2, 1, v3
	v_add_co_u32_e32 v4, vcc, -1, v2
	v_addc_co_u32_e64 v22, s[0:1], 0, -1, vcc
	v_cmp_ne_u32_e32 vcc, 0, v2
	v_xor_b32_e32 v2, vcc_hi, v22
	v_mov_b32_e32 v1, 0
	v_and_b32_e32 v22, exec_hi, v2
	v_lshlrev_b32_e32 v2, 30, v3
	v_xor_b32_e32 v4, vcc_lo, v4
	v_cmp_gt_i64_e32 vcc, 0, v[1:2]
	v_not_b32_e32 v2, v2
	v_ashrrev_i32_e32 v2, 31, v2
	v_and_b32_e32 v4, exec_lo, v4
	v_xor_b32_e32 v23, vcc_hi, v2
	v_xor_b32_e32 v2, vcc_lo, v2
	v_and_b32_e32 v4, v4, v2
	v_lshlrev_b32_e32 v2, 29, v3
	v_cmp_gt_i64_e32 vcc, 0, v[1:2]
	v_not_b32_e32 v2, v2
	v_ashrrev_i32_e32 v2, 31, v2
	v_and_b32_e32 v22, v22, v23
	v_xor_b32_e32 v23, vcc_hi, v2
	v_xor_b32_e32 v2, vcc_lo, v2
	v_and_b32_e32 v4, v4, v2
	v_lshlrev_b32_e32 v2, 28, v3
	v_cmp_gt_i64_e32 vcc, 0, v[1:2]
	v_not_b32_e32 v2, v2
	v_ashrrev_i32_e32 v2, 31, v2
	v_and_b32_e32 v22, v22, v23
	;; [unrolled: 8-line block ×5, first 2 shown]
	v_xor_b32_e32 v23, vcc_hi, v2
	v_xor_b32_e32 v2, vcc_lo, v2
	v_and_b32_e32 v4, v4, v2
	v_lshlrev_b32_e32 v2, 24, v3
	v_cmp_gt_i64_e32 vcc, 0, v[1:2]
	v_not_b32_e32 v2, v2
	v_ashrrev_i32_e32 v2, 31, v2
	v_mad_u32_u24 v19, v3, 20, v20
	v_xor_b32_e32 v3, vcc_hi, v2
	v_xor_b32_e32 v2, vcc_lo, v2
	; wave barrier
	ds_read_b32 v17, v19 offset:16
	v_and_b32_e32 v22, v22, v23
	v_and_b32_e32 v2, v4, v2
	v_and_b32_e32 v3, v22, v3
	v_mbcnt_lo_u32_b32 v4, v2, 0
	v_mbcnt_hi_u32_b32 v22, v3, v4
	v_cmp_ne_u64_e32 vcc, 0, v[2:3]
	v_cmp_eq_u32_e64 s[0:1], 0, v22
	s_and_b64 s[2:3], vcc, s[0:1]
	; wave barrier
	s_and_saveexec_b64 s[0:1], s[2:3]
	s_cbranch_execz .LBB73_159
; %bb.158:
	v_bcnt_u32_b32 v2, v2, 0
	v_bcnt_u32_b32 v2, v3, v2
	s_waitcnt lgkmcnt(0)
	v_add_u32_e32 v2, v17, v2
	ds_write_b32 v19, v2 offset:16
.LBB73_159:
	s_or_b64 exec, exec, s[0:1]
	v_xor_b32_e32 v21, 0xffff8000, v21
	v_lshrrev_b32_sdwa v2, s68, v21 dst_sel:DWORD dst_unused:UNUSED_PAD src0_sel:DWORD src1_sel:WORD_0
	v_and_b32_e32 v3, s9, v2
	v_and_b32_e32 v2, 1, v3
	v_add_co_u32_e32 v4, vcc, -1, v2
	v_addc_co_u32_e64 v27, s[0:1], 0, -1, vcc
	v_cmp_ne_u32_e32 vcc, 0, v2
	v_xor_b32_e32 v2, vcc_hi, v27
	v_and_b32_e32 v27, exec_hi, v2
	v_lshlrev_b32_e32 v2, 30, v3
	v_xor_b32_e32 v4, vcc_lo, v4
	v_cmp_gt_i64_e32 vcc, 0, v[1:2]
	v_not_b32_e32 v2, v2
	v_ashrrev_i32_e32 v2, 31, v2
	v_and_b32_e32 v4, exec_lo, v4
	v_xor_b32_e32 v28, vcc_hi, v2
	v_xor_b32_e32 v2, vcc_lo, v2
	v_and_b32_e32 v4, v4, v2
	v_lshlrev_b32_e32 v2, 29, v3
	v_cmp_gt_i64_e32 vcc, 0, v[1:2]
	v_not_b32_e32 v2, v2
	v_ashrrev_i32_e32 v2, 31, v2
	v_and_b32_e32 v27, v27, v28
	v_xor_b32_e32 v28, vcc_hi, v2
	v_xor_b32_e32 v2, vcc_lo, v2
	v_and_b32_e32 v4, v4, v2
	v_lshlrev_b32_e32 v2, 28, v3
	v_cmp_gt_i64_e32 vcc, 0, v[1:2]
	v_not_b32_e32 v2, v2
	v_ashrrev_i32_e32 v2, 31, v2
	v_and_b32_e32 v27, v27, v28
	;; [unrolled: 8-line block ×5, first 2 shown]
	v_xor_b32_e32 v28, vcc_hi, v2
	v_xor_b32_e32 v2, vcc_lo, v2
	v_and_b32_e32 v4, v4, v2
	v_lshlrev_b32_e32 v2, 24, v3
	v_cmp_gt_i64_e32 vcc, 0, v[1:2]
	v_not_b32_e32 v1, v2
	v_ashrrev_i32_e32 v1, 31, v1
	v_mad_u32_u24 v25, v3, 20, v20
	v_xor_b32_e32 v2, vcc_hi, v1
	v_xor_b32_e32 v1, vcc_lo, v1
	; wave barrier
	ds_read_b32 v23, v25 offset:16
	v_and_b32_e32 v27, v27, v28
	v_and_b32_e32 v1, v4, v1
	;; [unrolled: 1-line block ×3, first 2 shown]
	v_mbcnt_lo_u32_b32 v3, v1, 0
	v_mbcnt_hi_u32_b32 v27, v2, v3
	v_cmp_ne_u64_e32 vcc, 0, v[1:2]
	v_cmp_eq_u32_e64 s[0:1], 0, v27
	s_and_b64 s[2:3], vcc, s[0:1]
	; wave barrier
	s_and_saveexec_b64 s[0:1], s[2:3]
	s_cbranch_execz .LBB73_161
; %bb.160:
	v_bcnt_u32_b32 v1, v1, 0
	v_bcnt_u32_b32 v1, v2, v1
	s_waitcnt lgkmcnt(0)
	v_add_u32_e32 v1, v23, v1
	ds_write_b32 v25, v1 offset:16
.LBB73_161:
	s_or_b64 exec, exec, s[0:1]
	v_xor_b32_e32 v26, 0xffff8000, v26
	v_lshrrev_b32_sdwa v1, s68, v26 dst_sel:DWORD dst_unused:UNUSED_PAD src0_sel:DWORD src1_sel:WORD_0
	v_and_b32_e32 v3, s9, v1
	v_and_b32_e32 v2, 1, v3
	v_add_co_u32_e32 v4, vcc, -1, v2
	v_addc_co_u32_e64 v32, s[0:1], 0, -1, vcc
	v_cmp_ne_u32_e32 vcc, 0, v2
	v_xor_b32_e32 v2, vcc_hi, v32
	v_mov_b32_e32 v1, 0
	v_and_b32_e32 v32, exec_hi, v2
	v_lshlrev_b32_e32 v2, 30, v3
	v_xor_b32_e32 v4, vcc_lo, v4
	v_cmp_gt_i64_e32 vcc, 0, v[1:2]
	v_not_b32_e32 v2, v2
	v_ashrrev_i32_e32 v2, 31, v2
	v_and_b32_e32 v4, exec_lo, v4
	v_xor_b32_e32 v33, vcc_hi, v2
	v_xor_b32_e32 v2, vcc_lo, v2
	v_and_b32_e32 v4, v4, v2
	v_lshlrev_b32_e32 v2, 29, v3
	v_cmp_gt_i64_e32 vcc, 0, v[1:2]
	v_not_b32_e32 v2, v2
	v_ashrrev_i32_e32 v2, 31, v2
	v_and_b32_e32 v32, v32, v33
	v_xor_b32_e32 v33, vcc_hi, v2
	v_xor_b32_e32 v2, vcc_lo, v2
	v_and_b32_e32 v4, v4, v2
	v_lshlrev_b32_e32 v2, 28, v3
	v_cmp_gt_i64_e32 vcc, 0, v[1:2]
	v_not_b32_e32 v2, v2
	v_ashrrev_i32_e32 v2, 31, v2
	v_and_b32_e32 v32, v32, v33
	;; [unrolled: 8-line block ×5, first 2 shown]
	v_xor_b32_e32 v33, vcc_hi, v2
	v_xor_b32_e32 v2, vcc_lo, v2
	v_and_b32_e32 v4, v4, v2
	v_lshlrev_b32_e32 v2, 24, v3
	v_cmp_gt_i64_e32 vcc, 0, v[1:2]
	v_not_b32_e32 v2, v2
	v_ashrrev_i32_e32 v2, 31, v2
	v_mad_u32_u24 v30, v3, 20, v20
	v_xor_b32_e32 v3, vcc_hi, v2
	v_xor_b32_e32 v2, vcc_lo, v2
	; wave barrier
	ds_read_b32 v28, v30 offset:16
	v_and_b32_e32 v32, v32, v33
	v_and_b32_e32 v2, v4, v2
	;; [unrolled: 1-line block ×3, first 2 shown]
	v_mbcnt_lo_u32_b32 v4, v2, 0
	v_mbcnt_hi_u32_b32 v32, v3, v4
	v_cmp_ne_u64_e32 vcc, 0, v[2:3]
	v_cmp_eq_u32_e64 s[0:1], 0, v32
	s_and_b64 s[2:3], vcc, s[0:1]
	; wave barrier
	s_and_saveexec_b64 s[0:1], s[2:3]
	s_cbranch_execz .LBB73_163
; %bb.162:
	v_bcnt_u32_b32 v2, v2, 0
	v_bcnt_u32_b32 v2, v3, v2
	s_waitcnt lgkmcnt(0)
	v_add_u32_e32 v2, v28, v2
	ds_write_b32 v30, v2 offset:16
.LBB73_163:
	s_or_b64 exec, exec, s[0:1]
	v_xor_b32_e32 v31, 0xffff8000, v31
	v_lshrrev_b32_sdwa v2, s68, v31 dst_sel:DWORD dst_unused:UNUSED_PAD src0_sel:DWORD src1_sel:WORD_0
	v_and_b32_e32 v3, s9, v2
	v_and_b32_e32 v2, 1, v3
	v_add_co_u32_e32 v4, vcc, -1, v2
	v_addc_co_u32_e64 v37, s[0:1], 0, -1, vcc
	v_cmp_ne_u32_e32 vcc, 0, v2
	v_xor_b32_e32 v2, vcc_hi, v37
	v_and_b32_e32 v37, exec_hi, v2
	v_lshlrev_b32_e32 v2, 30, v3
	v_xor_b32_e32 v4, vcc_lo, v4
	v_cmp_gt_i64_e32 vcc, 0, v[1:2]
	v_not_b32_e32 v2, v2
	v_ashrrev_i32_e32 v2, 31, v2
	v_and_b32_e32 v4, exec_lo, v4
	v_xor_b32_e32 v38, vcc_hi, v2
	v_xor_b32_e32 v2, vcc_lo, v2
	v_and_b32_e32 v4, v4, v2
	v_lshlrev_b32_e32 v2, 29, v3
	v_cmp_gt_i64_e32 vcc, 0, v[1:2]
	v_not_b32_e32 v2, v2
	v_ashrrev_i32_e32 v2, 31, v2
	v_and_b32_e32 v37, v37, v38
	v_xor_b32_e32 v38, vcc_hi, v2
	v_xor_b32_e32 v2, vcc_lo, v2
	v_and_b32_e32 v4, v4, v2
	v_lshlrev_b32_e32 v2, 28, v3
	v_cmp_gt_i64_e32 vcc, 0, v[1:2]
	v_not_b32_e32 v2, v2
	v_ashrrev_i32_e32 v2, 31, v2
	v_and_b32_e32 v37, v37, v38
	;; [unrolled: 8-line block ×5, first 2 shown]
	v_xor_b32_e32 v38, vcc_hi, v2
	v_xor_b32_e32 v2, vcc_lo, v2
	v_and_b32_e32 v4, v4, v2
	v_lshlrev_b32_e32 v2, 24, v3
	v_cmp_gt_i64_e32 vcc, 0, v[1:2]
	v_not_b32_e32 v1, v2
	v_ashrrev_i32_e32 v1, 31, v1
	v_mad_u32_u24 v35, v3, 20, v20
	v_xor_b32_e32 v2, vcc_hi, v1
	v_xor_b32_e32 v1, vcc_lo, v1
	; wave barrier
	ds_read_b32 v33, v35 offset:16
	v_and_b32_e32 v37, v37, v38
	v_and_b32_e32 v1, v4, v1
	v_and_b32_e32 v2, v37, v2
	v_mbcnt_lo_u32_b32 v3, v1, 0
	v_mbcnt_hi_u32_b32 v37, v2, v3
	v_cmp_ne_u64_e32 vcc, 0, v[1:2]
	v_cmp_eq_u32_e64 s[0:1], 0, v37
	s_and_b64 s[2:3], vcc, s[0:1]
	; wave barrier
	s_and_saveexec_b64 s[0:1], s[2:3]
	s_cbranch_execz .LBB73_165
; %bb.164:
	v_bcnt_u32_b32 v1, v1, 0
	v_bcnt_u32_b32 v1, v2, v1
	s_waitcnt lgkmcnt(0)
	v_add_u32_e32 v1, v33, v1
	ds_write_b32 v35, v1 offset:16
.LBB73_165:
	s_or_b64 exec, exec, s[0:1]
	v_xor_b32_e32 v36, 0xffff8000, v36
	v_lshrrev_b32_sdwa v1, s68, v36 dst_sel:DWORD dst_unused:UNUSED_PAD src0_sel:DWORD src1_sel:WORD_0
	v_and_b32_e32 v3, s9, v1
	v_and_b32_e32 v2, 1, v3
	v_add_co_u32_e32 v4, vcc, -1, v2
	v_addc_co_u32_e64 v41, s[0:1], 0, -1, vcc
	v_cmp_ne_u32_e32 vcc, 0, v2
	v_xor_b32_e32 v2, vcc_hi, v41
	v_mov_b32_e32 v1, 0
	v_and_b32_e32 v41, exec_hi, v2
	v_lshlrev_b32_e32 v2, 30, v3
	v_xor_b32_e32 v4, vcc_lo, v4
	v_cmp_gt_i64_e32 vcc, 0, v[1:2]
	v_not_b32_e32 v2, v2
	v_ashrrev_i32_e32 v2, 31, v2
	v_and_b32_e32 v4, exec_lo, v4
	v_xor_b32_e32 v42, vcc_hi, v2
	v_xor_b32_e32 v2, vcc_lo, v2
	v_and_b32_e32 v4, v4, v2
	v_lshlrev_b32_e32 v2, 29, v3
	v_cmp_gt_i64_e32 vcc, 0, v[1:2]
	v_not_b32_e32 v2, v2
	v_ashrrev_i32_e32 v2, 31, v2
	v_and_b32_e32 v41, v41, v42
	v_xor_b32_e32 v42, vcc_hi, v2
	v_xor_b32_e32 v2, vcc_lo, v2
	v_and_b32_e32 v4, v4, v2
	v_lshlrev_b32_e32 v2, 28, v3
	v_cmp_gt_i64_e32 vcc, 0, v[1:2]
	v_not_b32_e32 v2, v2
	v_ashrrev_i32_e32 v2, 31, v2
	v_and_b32_e32 v41, v41, v42
	;; [unrolled: 8-line block ×5, first 2 shown]
	v_xor_b32_e32 v42, vcc_hi, v2
	v_xor_b32_e32 v2, vcc_lo, v2
	v_and_b32_e32 v4, v4, v2
	v_lshlrev_b32_e32 v2, 24, v3
	v_cmp_gt_i64_e32 vcc, 0, v[1:2]
	v_not_b32_e32 v2, v2
	v_ashrrev_i32_e32 v2, 31, v2
	v_mad_u32_u24 v40, v3, 20, v20
	v_xor_b32_e32 v3, vcc_hi, v2
	v_xor_b32_e32 v2, vcc_lo, v2
	; wave barrier
	ds_read_b32 v38, v40 offset:16
	v_and_b32_e32 v41, v41, v42
	v_and_b32_e32 v2, v4, v2
	;; [unrolled: 1-line block ×3, first 2 shown]
	v_mbcnt_lo_u32_b32 v4, v2, 0
	v_mbcnt_hi_u32_b32 v41, v3, v4
	v_cmp_ne_u64_e32 vcc, 0, v[2:3]
	v_cmp_eq_u32_e64 s[0:1], 0, v41
	s_and_b64 s[2:3], vcc, s[0:1]
	; wave barrier
	s_and_saveexec_b64 s[0:1], s[2:3]
	s_cbranch_execz .LBB73_167
; %bb.166:
	v_bcnt_u32_b32 v2, v2, 0
	v_bcnt_u32_b32 v2, v3, v2
	s_waitcnt lgkmcnt(0)
	v_add_u32_e32 v2, v38, v2
	ds_write_b32 v40, v2 offset:16
.LBB73_167:
	s_or_b64 exec, exec, s[0:1]
	v_xor_b32_e32 v39, 0xffff8000, v39
	v_lshrrev_b32_sdwa v2, s68, v39 dst_sel:DWORD dst_unused:UNUSED_PAD src0_sel:DWORD src1_sel:WORD_0
	v_and_b32_e32 v3, s9, v2
	v_and_b32_e32 v2, 1, v3
	v_add_co_u32_e32 v4, vcc, -1, v2
	v_addc_co_u32_e64 v44, s[0:1], 0, -1, vcc
	v_cmp_ne_u32_e32 vcc, 0, v2
	v_xor_b32_e32 v2, vcc_hi, v44
	v_and_b32_e32 v44, exec_hi, v2
	v_lshlrev_b32_e32 v2, 30, v3
	v_xor_b32_e32 v4, vcc_lo, v4
	v_cmp_gt_i64_e32 vcc, 0, v[1:2]
	v_not_b32_e32 v2, v2
	v_ashrrev_i32_e32 v2, 31, v2
	v_and_b32_e32 v4, exec_lo, v4
	v_xor_b32_e32 v45, vcc_hi, v2
	v_xor_b32_e32 v2, vcc_lo, v2
	v_and_b32_e32 v4, v4, v2
	v_lshlrev_b32_e32 v2, 29, v3
	v_cmp_gt_i64_e32 vcc, 0, v[1:2]
	v_not_b32_e32 v2, v2
	v_ashrrev_i32_e32 v2, 31, v2
	v_and_b32_e32 v44, v44, v45
	v_xor_b32_e32 v45, vcc_hi, v2
	v_xor_b32_e32 v2, vcc_lo, v2
	v_and_b32_e32 v4, v4, v2
	v_lshlrev_b32_e32 v2, 28, v3
	v_cmp_gt_i64_e32 vcc, 0, v[1:2]
	v_not_b32_e32 v2, v2
	v_ashrrev_i32_e32 v2, 31, v2
	v_and_b32_e32 v44, v44, v45
	;; [unrolled: 8-line block ×5, first 2 shown]
	v_xor_b32_e32 v45, vcc_hi, v2
	v_xor_b32_e32 v2, vcc_lo, v2
	v_and_b32_e32 v4, v4, v2
	v_lshlrev_b32_e32 v2, 24, v3
	v_cmp_gt_i64_e32 vcc, 0, v[1:2]
	v_not_b32_e32 v1, v2
	v_ashrrev_i32_e32 v1, 31, v1
	v_mad_u32_u24 v43, v3, 20, v20
	v_xor_b32_e32 v2, vcc_hi, v1
	v_xor_b32_e32 v1, vcc_lo, v1
	; wave barrier
	ds_read_b32 v42, v43 offset:16
	v_and_b32_e32 v44, v44, v45
	v_and_b32_e32 v1, v4, v1
	;; [unrolled: 1-line block ×3, first 2 shown]
	v_mbcnt_lo_u32_b32 v3, v1, 0
	v_mbcnt_hi_u32_b32 v44, v2, v3
	v_cmp_ne_u64_e32 vcc, 0, v[1:2]
	v_cmp_eq_u32_e64 s[0:1], 0, v44
	s_and_b64 s[2:3], vcc, s[0:1]
	; wave barrier
	s_and_saveexec_b64 s[0:1], s[2:3]
	s_cbranch_execz .LBB73_169
; %bb.168:
	v_bcnt_u32_b32 v1, v1, 0
	v_bcnt_u32_b32 v1, v2, v1
	s_waitcnt lgkmcnt(0)
	v_add_u32_e32 v1, v42, v1
	ds_write_b32 v43, v1 offset:16
.LBB73_169:
	s_or_b64 exec, exec, s[0:1]
	v_xor_b32_e32 v34, 0xffff8000, v34
	v_lshrrev_b32_sdwa v1, s68, v34 dst_sel:DWORD dst_unused:UNUSED_PAD src0_sel:DWORD src1_sel:WORD_0
	v_and_b32_e32 v3, s9, v1
	v_and_b32_e32 v2, 1, v3
	v_add_co_u32_e32 v4, vcc, -1, v2
	v_addc_co_u32_e64 v47, s[0:1], 0, -1, vcc
	v_cmp_ne_u32_e32 vcc, 0, v2
	v_xor_b32_e32 v2, vcc_hi, v47
	v_mov_b32_e32 v1, 0
	v_and_b32_e32 v47, exec_hi, v2
	v_lshlrev_b32_e32 v2, 30, v3
	v_xor_b32_e32 v4, vcc_lo, v4
	v_cmp_gt_i64_e32 vcc, 0, v[1:2]
	v_not_b32_e32 v2, v2
	v_ashrrev_i32_e32 v2, 31, v2
	v_and_b32_e32 v4, exec_lo, v4
	v_xor_b32_e32 v48, vcc_hi, v2
	v_xor_b32_e32 v2, vcc_lo, v2
	v_and_b32_e32 v4, v4, v2
	v_lshlrev_b32_e32 v2, 29, v3
	v_cmp_gt_i64_e32 vcc, 0, v[1:2]
	v_not_b32_e32 v2, v2
	v_ashrrev_i32_e32 v2, 31, v2
	v_and_b32_e32 v47, v47, v48
	v_xor_b32_e32 v48, vcc_hi, v2
	v_xor_b32_e32 v2, vcc_lo, v2
	v_and_b32_e32 v4, v4, v2
	v_lshlrev_b32_e32 v2, 28, v3
	v_cmp_gt_i64_e32 vcc, 0, v[1:2]
	v_not_b32_e32 v2, v2
	v_ashrrev_i32_e32 v2, 31, v2
	v_and_b32_e32 v47, v47, v48
	;; [unrolled: 8-line block ×5, first 2 shown]
	v_xor_b32_e32 v48, vcc_hi, v2
	v_xor_b32_e32 v2, vcc_lo, v2
	v_and_b32_e32 v4, v4, v2
	v_lshlrev_b32_e32 v2, 24, v3
	v_cmp_gt_i64_e32 vcc, 0, v[1:2]
	v_not_b32_e32 v2, v2
	v_ashrrev_i32_e32 v2, 31, v2
	v_mad_u32_u24 v46, v3, 20, v20
	v_xor_b32_e32 v3, vcc_hi, v2
	v_xor_b32_e32 v2, vcc_lo, v2
	; wave barrier
	ds_read_b32 v45, v46 offset:16
	v_and_b32_e32 v47, v47, v48
	v_and_b32_e32 v2, v4, v2
	;; [unrolled: 1-line block ×3, first 2 shown]
	v_mbcnt_lo_u32_b32 v4, v2, 0
	v_mbcnt_hi_u32_b32 v48, v3, v4
	v_cmp_ne_u64_e32 vcc, 0, v[2:3]
	v_cmp_eq_u32_e64 s[0:1], 0, v48
	s_and_b64 s[2:3], vcc, s[0:1]
	; wave barrier
	s_and_saveexec_b64 s[0:1], s[2:3]
	s_cbranch_execz .LBB73_171
; %bb.170:
	v_bcnt_u32_b32 v2, v2, 0
	v_bcnt_u32_b32 v2, v3, v2
	s_waitcnt lgkmcnt(0)
	v_add_u32_e32 v2, v45, v2
	ds_write_b32 v46, v2 offset:16
.LBB73_171:
	s_or_b64 exec, exec, s[0:1]
	v_xor_b32_e32 v47, 0xffff8000, v29
	v_lshrrev_b32_sdwa v2, s68, v47 dst_sel:DWORD dst_unused:UNUSED_PAD src0_sel:DWORD src1_sel:WORD_0
	v_and_b32_e32 v3, s9, v2
	v_and_b32_e32 v2, 1, v3
	v_add_co_u32_e32 v4, vcc, -1, v2
	v_addc_co_u32_e64 v50, s[0:1], 0, -1, vcc
	v_cmp_ne_u32_e32 vcc, 0, v2
	v_xor_b32_e32 v2, vcc_hi, v50
	v_and_b32_e32 v50, exec_hi, v2
	v_lshlrev_b32_e32 v2, 30, v3
	v_xor_b32_e32 v4, vcc_lo, v4
	v_cmp_gt_i64_e32 vcc, 0, v[1:2]
	v_not_b32_e32 v2, v2
	v_ashrrev_i32_e32 v2, 31, v2
	v_and_b32_e32 v4, exec_lo, v4
	v_xor_b32_e32 v51, vcc_hi, v2
	v_xor_b32_e32 v2, vcc_lo, v2
	v_and_b32_e32 v4, v4, v2
	v_lshlrev_b32_e32 v2, 29, v3
	v_cmp_gt_i64_e32 vcc, 0, v[1:2]
	v_not_b32_e32 v2, v2
	v_ashrrev_i32_e32 v2, 31, v2
	v_and_b32_e32 v50, v50, v51
	v_xor_b32_e32 v51, vcc_hi, v2
	v_xor_b32_e32 v2, vcc_lo, v2
	v_and_b32_e32 v4, v4, v2
	v_lshlrev_b32_e32 v2, 28, v3
	v_cmp_gt_i64_e32 vcc, 0, v[1:2]
	v_not_b32_e32 v2, v2
	v_ashrrev_i32_e32 v2, 31, v2
	v_and_b32_e32 v50, v50, v51
	;; [unrolled: 8-line block ×5, first 2 shown]
	v_xor_b32_e32 v51, vcc_hi, v2
	v_xor_b32_e32 v2, vcc_lo, v2
	v_and_b32_e32 v4, v4, v2
	v_lshlrev_b32_e32 v2, 24, v3
	v_cmp_gt_i64_e32 vcc, 0, v[1:2]
	v_not_b32_e32 v1, v2
	v_ashrrev_i32_e32 v1, 31, v1
	v_mad_u32_u24 v29, v3, 20, v20
	v_xor_b32_e32 v2, vcc_hi, v1
	v_xor_b32_e32 v1, vcc_lo, v1
	; wave barrier
	ds_read_b32 v49, v29 offset:16
	v_and_b32_e32 v50, v50, v51
	v_and_b32_e32 v1, v4, v1
	v_and_b32_e32 v2, v50, v2
	v_mbcnt_lo_u32_b32 v3, v1, 0
	v_mbcnt_hi_u32_b32 v51, v2, v3
	v_cmp_ne_u64_e32 vcc, 0, v[1:2]
	v_cmp_eq_u32_e64 s[0:1], 0, v51
	s_and_b64 s[2:3], vcc, s[0:1]
	; wave barrier
	s_and_saveexec_b64 s[0:1], s[2:3]
	s_cbranch_execz .LBB73_173
; %bb.172:
	v_bcnt_u32_b32 v1, v1, 0
	v_bcnt_u32_b32 v1, v2, v1
	s_waitcnt lgkmcnt(0)
	v_add_u32_e32 v1, v49, v1
	ds_write_b32 v29, v1 offset:16
.LBB73_173:
	s_or_b64 exec, exec, s[0:1]
	v_xor_b32_e32 v50, 0xffff8000, v24
	v_lshrrev_b32_sdwa v1, s68, v50 dst_sel:DWORD dst_unused:UNUSED_PAD src0_sel:DWORD src1_sel:WORD_0
	v_and_b32_e32 v3, s9, v1
	v_and_b32_e32 v2, 1, v3
	v_add_co_u32_e32 v4, vcc, -1, v2
	v_addc_co_u32_e64 v53, s[0:1], 0, -1, vcc
	v_cmp_ne_u32_e32 vcc, 0, v2
	v_xor_b32_e32 v2, vcc_hi, v53
	v_mov_b32_e32 v1, 0
	v_and_b32_e32 v53, exec_hi, v2
	v_lshlrev_b32_e32 v2, 30, v3
	v_xor_b32_e32 v4, vcc_lo, v4
	v_cmp_gt_i64_e32 vcc, 0, v[1:2]
	v_not_b32_e32 v2, v2
	v_ashrrev_i32_e32 v2, 31, v2
	v_and_b32_e32 v4, exec_lo, v4
	v_xor_b32_e32 v54, vcc_hi, v2
	v_xor_b32_e32 v2, vcc_lo, v2
	v_and_b32_e32 v4, v4, v2
	v_lshlrev_b32_e32 v2, 29, v3
	v_cmp_gt_i64_e32 vcc, 0, v[1:2]
	v_not_b32_e32 v2, v2
	v_ashrrev_i32_e32 v2, 31, v2
	v_and_b32_e32 v53, v53, v54
	v_xor_b32_e32 v54, vcc_hi, v2
	v_xor_b32_e32 v2, vcc_lo, v2
	v_and_b32_e32 v4, v4, v2
	v_lshlrev_b32_e32 v2, 28, v3
	v_cmp_gt_i64_e32 vcc, 0, v[1:2]
	v_not_b32_e32 v2, v2
	v_ashrrev_i32_e32 v2, 31, v2
	v_and_b32_e32 v53, v53, v54
	;; [unrolled: 8-line block ×5, first 2 shown]
	v_xor_b32_e32 v54, vcc_hi, v2
	v_xor_b32_e32 v2, vcc_lo, v2
	v_and_b32_e32 v4, v4, v2
	v_lshlrev_b32_e32 v2, 24, v3
	v_cmp_gt_i64_e32 vcc, 0, v[1:2]
	v_not_b32_e32 v2, v2
	v_ashrrev_i32_e32 v2, 31, v2
	v_mad_u32_u24 v24, v3, 20, v20
	v_xor_b32_e32 v3, vcc_hi, v2
	v_xor_b32_e32 v2, vcc_lo, v2
	; wave barrier
	ds_read_b32 v52, v24 offset:16
	v_and_b32_e32 v53, v53, v54
	v_and_b32_e32 v2, v4, v2
	;; [unrolled: 1-line block ×3, first 2 shown]
	v_mbcnt_lo_u32_b32 v4, v2, 0
	v_mbcnt_hi_u32_b32 v54, v3, v4
	v_cmp_ne_u64_e32 vcc, 0, v[2:3]
	v_cmp_eq_u32_e64 s[0:1], 0, v54
	s_and_b64 s[2:3], vcc, s[0:1]
	; wave barrier
	s_and_saveexec_b64 s[0:1], s[2:3]
	s_cbranch_execz .LBB73_175
; %bb.174:
	v_bcnt_u32_b32 v2, v2, 0
	v_bcnt_u32_b32 v2, v3, v2
	s_waitcnt lgkmcnt(0)
	v_add_u32_e32 v2, v52, v2
	ds_write_b32 v24, v2 offset:16
.LBB73_175:
	s_or_b64 exec, exec, s[0:1]
	v_xor_b32_e32 v53, 0xffff8000, v18
	v_lshrrev_b32_sdwa v2, s68, v53 dst_sel:DWORD dst_unused:UNUSED_PAD src0_sel:DWORD src1_sel:WORD_0
	v_and_b32_e32 v3, s9, v2
	v_and_b32_e32 v2, 1, v3
	v_add_co_u32_e32 v4, vcc, -1, v2
	v_mad_u32_u24 v18, v3, 20, v20
	v_addc_co_u32_e64 v20, s[0:1], 0, -1, vcc
	v_cmp_ne_u32_e32 vcc, 0, v2
	v_xor_b32_e32 v2, vcc_hi, v20
	v_and_b32_e32 v20, exec_hi, v2
	v_lshlrev_b32_e32 v2, 30, v3
	v_xor_b32_e32 v4, vcc_lo, v4
	v_cmp_gt_i64_e32 vcc, 0, v[1:2]
	v_not_b32_e32 v2, v2
	v_ashrrev_i32_e32 v2, 31, v2
	v_and_b32_e32 v4, exec_lo, v4
	v_xor_b32_e32 v56, vcc_hi, v2
	v_xor_b32_e32 v2, vcc_lo, v2
	v_and_b32_e32 v4, v4, v2
	v_lshlrev_b32_e32 v2, 29, v3
	v_cmp_gt_i64_e32 vcc, 0, v[1:2]
	v_not_b32_e32 v2, v2
	v_ashrrev_i32_e32 v2, 31, v2
	v_and_b32_e32 v20, v20, v56
	v_xor_b32_e32 v56, vcc_hi, v2
	v_xor_b32_e32 v2, vcc_lo, v2
	v_and_b32_e32 v4, v4, v2
	v_lshlrev_b32_e32 v2, 28, v3
	v_cmp_gt_i64_e32 vcc, 0, v[1:2]
	v_not_b32_e32 v2, v2
	v_ashrrev_i32_e32 v2, 31, v2
	v_and_b32_e32 v20, v20, v56
	;; [unrolled: 8-line block ×5, first 2 shown]
	v_xor_b32_e32 v56, vcc_hi, v2
	v_xor_b32_e32 v2, vcc_lo, v2
	v_and_b32_e32 v4, v4, v2
	v_lshlrev_b32_e32 v2, 24, v3
	v_cmp_gt_i64_e32 vcc, 0, v[1:2]
	v_not_b32_e32 v1, v2
	v_ashrrev_i32_e32 v1, 31, v1
	v_xor_b32_e32 v2, vcc_hi, v1
	v_xor_b32_e32 v1, vcc_lo, v1
	; wave barrier
	ds_read_b32 v55, v18 offset:16
	v_and_b32_e32 v20, v20, v56
	v_and_b32_e32 v1, v4, v1
	;; [unrolled: 1-line block ×3, first 2 shown]
	v_mbcnt_lo_u32_b32 v3, v1, 0
	v_mbcnt_hi_u32_b32 v56, v2, v3
	v_cmp_ne_u64_e32 vcc, 0, v[1:2]
	v_cmp_eq_u32_e64 s[0:1], 0, v56
	s_and_b64 s[2:3], vcc, s[0:1]
	; wave barrier
	s_and_saveexec_b64 s[0:1], s[2:3]
	s_cbranch_execz .LBB73_177
; %bb.176:
	v_bcnt_u32_b32 v1, v1, 0
	v_bcnt_u32_b32 v1, v2, v1
	s_waitcnt lgkmcnt(0)
	v_add_u32_e32 v1, v55, v1
	ds_write_b32 v18, v1 offset:16
.LBB73_177:
	s_or_b64 exec, exec, s[0:1]
	; wave barrier
	s_waitcnt lgkmcnt(0)
	s_barrier
	ds_read2_b32 v[3:4], v6 offset0:4 offset1:5
	ds_read2_b32 v[1:2], v6 offset0:6 offset1:7
	ds_read_b32 v20, v6 offset:32
	v_min_u32_e32 v9, 0xc0, v9
	v_or_b32_e32 v9, 63, v9
	s_waitcnt lgkmcnt(1)
	v_add3_u32 v57, v4, v3, v1
	s_waitcnt lgkmcnt(0)
	v_add3_u32 v20, v57, v2, v20
	v_and_b32_e32 v57, 15, v8
	v_cmp_ne_u32_e32 vcc, 0, v57
	v_mov_b32_dpp v58, v20 row_shr:1 row_mask:0xf bank_mask:0xf
	v_cndmask_b32_e32 v58, 0, v58, vcc
	v_add_u32_e32 v20, v58, v20
	v_cmp_lt_u32_e32 vcc, 1, v57
	s_nop 0
	v_mov_b32_dpp v58, v20 row_shr:2 row_mask:0xf bank_mask:0xf
	v_cndmask_b32_e32 v58, 0, v58, vcc
	v_add_u32_e32 v20, v20, v58
	v_cmp_lt_u32_e32 vcc, 3, v57
	s_nop 0
	;; [unrolled: 5-line block ×3, first 2 shown]
	v_mov_b32_dpp v58, v20 row_shr:8 row_mask:0xf bank_mask:0xf
	v_cndmask_b32_e32 v57, 0, v58, vcc
	v_add_u32_e32 v20, v20, v57
	v_bfe_i32 v58, v8, 4, 1
	v_cmp_lt_u32_e32 vcc, 31, v8
	v_mov_b32_dpp v57, v20 row_bcast:15 row_mask:0xf bank_mask:0xf
	v_and_b32_e32 v57, v58, v57
	v_add_u32_e32 v20, v20, v57
	s_nop 1
	v_mov_b32_dpp v57, v20 row_bcast:31 row_mask:0xf bank_mask:0xf
	v_cndmask_b32_e32 v57, 0, v57, vcc
	v_add_u32_e32 v20, v20, v57
	v_lshrrev_b32_e32 v57, 6, v0
	v_cmp_eq_u32_e32 vcc, v0, v9
	s_and_saveexec_b64 s[0:1], vcc
; %bb.178:
	v_lshlrev_b32_e32 v9, 2, v57
	ds_write_b32 v9, v20
; %bb.179:
	s_or_b64 exec, exec, s[0:1]
	v_cmp_gt_u32_e32 vcc, 4, v0
	s_waitcnt lgkmcnt(0)
	s_barrier
	s_and_saveexec_b64 s[0:1], vcc
	s_cbranch_execz .LBB73_181
; %bb.180:
	v_lshlrev_b32_e32 v9, 2, v0
	ds_read_b32 v58, v9
	v_and_b32_e32 v59, 3, v8
	v_cmp_ne_u32_e32 vcc, 0, v59
	s_waitcnt lgkmcnt(0)
	v_mov_b32_dpp v60, v58 row_shr:1 row_mask:0xf bank_mask:0xf
	v_cndmask_b32_e32 v60, 0, v60, vcc
	v_add_u32_e32 v58, v60, v58
	v_cmp_lt_u32_e32 vcc, 1, v59
	s_nop 0
	v_mov_b32_dpp v60, v58 row_shr:2 row_mask:0xf bank_mask:0xf
	v_cndmask_b32_e32 v59, 0, v60, vcc
	v_add_u32_e32 v58, v58, v59
	ds_write_b32 v9, v58
.LBB73_181:
	s_or_b64 exec, exec, s[0:1]
	v_cmp_lt_u32_e32 vcc, 63, v0
	v_mov_b32_e32 v9, 0
	s_waitcnt lgkmcnt(0)
	s_barrier
	s_and_saveexec_b64 s[0:1], vcc
; %bb.182:
	v_lshl_add_u32 v9, v57, 2, -4
	ds_read_b32 v9, v9
; %bb.183:
	s_or_b64 exec, exec, s[0:1]
	v_add_u32_e32 v57, -1, v8
	v_and_b32_e32 v58, 64, v8
	v_cmp_lt_i32_e32 vcc, v57, v58
	v_cndmask_b32_e32 v57, v57, v8, vcc
	s_waitcnt lgkmcnt(0)
	v_add_u32_e32 v20, v9, v20
	v_lshlrev_b32_e32 v57, 2, v57
	ds_bpermute_b32 v20, v57, v20
	v_cmp_eq_u32_e32 vcc, 0, v8
	s_movk_i32 s0, 0x100
	s_waitcnt lgkmcnt(0)
	v_cndmask_b32_e32 v9, v20, v9, vcc
	v_cmp_ne_u32_e32 vcc, 0, v0
	v_cndmask_b32_e32 v9, 0, v9, vcc
	v_add_u32_e32 v3, v9, v3
	v_add_u32_e32 v4, v3, v4
	;; [unrolled: 1-line block ×4, first 2 shown]
	ds_write2_b32 v6, v9, v3 offset0:4 offset1:5
	ds_write2_b32 v6, v4, v1 offset0:6 offset1:7
	ds_write_b32 v6, v2 offset:32
	s_waitcnt lgkmcnt(0)
	s_barrier
	ds_read_b32 v2, v43 offset:16
	ds_read_b32 v3, v46 offset:16
	;; [unrolled: 1-line block ×13, first 2 shown]
	v_add_u32_e32 v6, 1, v0
	v_cmp_ne_u32_e32 vcc, s0, v6
	v_mov_b32_e32 v1, 0xc00
	s_and_saveexec_b64 s[0:1], vcc
; %bb.184:
	v_mul_u32_u24_e32 v1, 20, v6
	ds_read_b32 v1, v1 offset:16
; %bb.185:
	s_or_b64 exec, exec, s[0:1]
	s_waitcnt lgkmcnt(7)
	v_add_u32_e32 v29, v10, v12
	s_waitcnt lgkmcnt(6)
	v_add3_u32 v25, v16, v13, v14
	s_waitcnt lgkmcnt(5)
	v_add3_u32 v24, v22, v17, v18
	v_add3_u32 v17, v44, v42, v2
	v_lshlrev_b32_e32 v2, 1, v29
	s_waitcnt lgkmcnt(0)
	s_barrier
	ds_write_b16 v2, v5 offset:2048
	v_lshlrev_b32_e32 v2, 1, v25
	v_add3_u32 v22, v27, v23, v19
	ds_write_b16 v2, v11 offset:2048
	v_lshlrev_b32_e32 v2, 1, v24
	v_add3_u32 v20, v32, v28, v20
	;; [unrolled: 3-line block ×4, first 2 shown]
	ds_write_b16 v2, v26 offset:2048
	v_lshlrev_b32_e32 v2, 1, v19
	ds_write_b16 v2, v31 offset:2048
	v_lshlrev_b32_e32 v2, 1, v18
	v_add3_u32 v16, v48, v45, v3
	ds_write_b16 v2, v36 offset:2048
	v_lshlrev_b32_e32 v2, 1, v17
	v_add3_u32 v14, v51, v49, v4
	;; [unrolled: 3-line block ×4, first 2 shown]
	ds_write_b16 v2, v47 offset:2048
	v_lshlrev_b32_e32 v2, 1, v13
	ds_write_b16 v2, v50 offset:2048
	v_lshlrev_b32_e32 v2, 1, v12
	ds_write_b16 v2, v53 offset:2048
	v_sub_u32_e32 v10, v1, v9
	v_lshl_or_b32 v1, s6, 8, v0
	v_mov_b32_e32 v2, 0
	v_lshlrev_b64 v[3:4], 2, v[1:2]
	v_mov_b32_e32 v11, s73
	v_add_co_u32_e32 v3, vcc, s72, v3
	v_addc_co_u32_e32 v4, vcc, v11, v4, vcc
	v_or_b32_e32 v1, 2.0, v10
	s_mov_b64 s[0:1], 0
	s_brev_b32 s10, -4
	v_mov_b32_e32 v15, 0
	s_waitcnt lgkmcnt(0)
	s_barrier
	global_store_dword v[3:4], v1, off
                                        ; implicit-def: $sgpr2_sgpr3
	s_branch .LBB73_188
.LBB73_186:                             ;   in Loop: Header=BB73_188 Depth=1
	s_or_b64 exec, exec, s[4:5]
.LBB73_187:                             ;   in Loop: Header=BB73_188 Depth=1
	s_or_b64 exec, exec, s[2:3]
	v_and_b32_e32 v5, 0x3fffffff, v1
	v_add_u32_e32 v15, v5, v15
	v_cmp_gt_i32_e64 s[2:3], -2.0, v1
	s_and_b64 s[4:5], exec, s[2:3]
	s_or_b64 s[0:1], s[4:5], s[0:1]
	s_andn2_b64 exec, exec, s[0:1]
	s_cbranch_execz .LBB73_193
.LBB73_188:                             ; =>This Loop Header: Depth=1
                                        ;     Child Loop BB73_191 Depth 2
	s_or_b64 s[2:3], s[2:3], exec
	s_cmp_eq_u32 s7, 0
	s_cbranch_scc1 .LBB73_192
; %bb.189:                              ;   in Loop: Header=BB73_188 Depth=1
	s_add_i32 s7, s7, -1
	v_lshl_or_b32 v1, s7, 8, v0
	v_lshlrev_b64 v[5:6], 2, v[1:2]
	v_add_co_u32_e32 v5, vcc, s72, v5
	v_addc_co_u32_e32 v6, vcc, v11, v6, vcc
	global_load_dword v1, v[5:6], off glc
	s_waitcnt vmcnt(0)
	v_cmp_gt_u32_e32 vcc, 2.0, v1
	s_and_saveexec_b64 s[2:3], vcc
	s_cbranch_execz .LBB73_187
; %bb.190:                              ;   in Loop: Header=BB73_188 Depth=1
	s_mov_b64 s[4:5], 0
.LBB73_191:                             ;   Parent Loop BB73_188 Depth=1
                                        ; =>  This Inner Loop Header: Depth=2
	global_load_dword v1, v[5:6], off glc
	s_waitcnt vmcnt(0)
	v_cmp_lt_u32_e32 vcc, s10, v1
	s_or_b64 s[4:5], vcc, s[4:5]
	s_andn2_b64 exec, exec, s[4:5]
	s_cbranch_execnz .LBB73_191
	s_branch .LBB73_186
.LBB73_192:                             ;   in Loop: Header=BB73_188 Depth=1
                                        ; implicit-def: $sgpr7
	s_and_b64 s[4:5], exec, s[2:3]
	s_or_b64 s[0:1], s[4:5], s[0:1]
	s_andn2_b64 exec, exec, s[0:1]
	s_cbranch_execnz .LBB73_188
.LBB73_193:
	s_or_b64 exec, exec, s[0:1]
	v_add_u32_e32 v2, v15, v10
	v_or_b32_e32 v2, 0x80000000, v2
	v_lshlrev_b32_e32 v1, 3, v0
	global_store_dword v[3:4], v2, off
	global_load_dwordx2 v[2:3], v1, s[64:65]
	v_sub_co_u32_e32 v4, vcc, v15, v9
	v_subb_co_u32_e64 v5, s[0:1], 0, 0, vcc
	v_mad_i32_i24 v52, v0, -6, v1
	v_mov_b32_e32 v6, s59
	v_mov_b32_e32 v15, s59
	;; [unrolled: 1-line block ×4, first 2 shown]
	v_lshlrev_b32_e32 v11, 1, v0
	v_mov_b32_e32 v28, s59
	s_lshl_b64 s[0:1], s[54:55], 3
	s_add_u32 s0, s60, s0
	s_addc_u32 s1, s61, s1
	v_or_b32_e32 v61, 0x800, v0
	v_or_b32_e32 v65, 0xa00, v0
	s_add_i32 s8, s8, -1
	s_cmp_lg_u32 s6, s8
	s_waitcnt vmcnt(0)
	v_add_co_u32_e32 v2, vcc, v4, v2
	v_addc_co_u32_e32 v3, vcc, v5, v3, vcc
	ds_write_b64 v1, v[2:3]
	s_waitcnt lgkmcnt(0)
	s_barrier
	ds_read_u16 v2, v52 offset:2048
	ds_read_u16 v3, v52 offset:2560
	;; [unrolled: 1-line block ×8, first 2 shown]
	s_waitcnt lgkmcnt(7)
	v_lshrrev_b32_sdwa v27, s68, v2 dst_sel:DWORD dst_unused:UNUSED_PAD src0_sel:DWORD src1_sel:WORD_0
	v_xor_b32_e32 v37, 0xffff8000, v2
	s_waitcnt lgkmcnt(6)
	v_lshrrev_b32_sdwa v2, s68, v3 dst_sel:DWORD dst_unused:UNUSED_PAD src0_sel:DWORD src1_sel:WORD_0
	v_xor_b32_e32 v38, 0xffff8000, v3
	;; [unrolled: 3-line block ×4, first 2 shown]
	s_waitcnt lgkmcnt(3)
	v_lshrrev_b32_sdwa v5, s68, v26 dst_sel:DWORD dst_unused:UNUSED_PAD src0_sel:DWORD src1_sel:WORD_0
	v_and_b32_e32 v2, s9, v2
	v_xor_b32_e32 v41, 0xffff8000, v26
	v_and_b32_e32 v26, s9, v27
	v_and_b32_e32 v3, s9, v3
	;; [unrolled: 1-line block ×4, first 2 shown]
	v_lshlrev_b32_e32 v54, 3, v2
	v_lshlrev_b32_e32 v53, 3, v26
	v_lshlrev_b32_e32 v55, 3, v3
	v_lshlrev_b32_e32 v56, 3, v4
	v_lshlrev_b32_e32 v57, 3, v5
	ds_read_b64 v[2:3], v54
	ds_read_b64 v[4:5], v55
	ds_read_b64 v[26:27], v56
	ds_read_b64 v[30:31], v57
	ds_read_b64 v[32:33], v53
	ds_read_u16 v42, v52 offset:6144
	ds_read_u16 v46, v52 offset:6656
	;; [unrolled: 1-line block ×4, first 2 shown]
	s_waitcnt lgkmcnt(4)
	v_lshlrev_b64 v[32:33], 1, v[32:33]
	v_lshlrev_b64 v[2:3], 1, v[2:3]
	v_add_co_u32_e32 v32, vcc, s58, v32
	v_addc_co_u32_e32 v6, vcc, v6, v33, vcc
	v_lshlrev_b64 v[4:5], 1, v[4:5]
	v_add_co_u32_e32 v33, vcc, s58, v2
	v_addc_co_u32_e32 v15, vcc, v15, v3, vcc
	;; [unrolled: 3-line block ×3, first 2 shown]
	v_add_co_u32_e32 v44, vcc, s58, v26
	v_addc_co_u32_e32 v23, vcc, v23, v27, vcc
	v_add_co_u32_e32 v2, vcc, v32, v11
	v_addc_co_u32_e32 v3, vcc, 0, v6, vcc
	;; [unrolled: 2-line block ×4, first 2 shown]
	v_lshlrev_b64 v[30:31], 1, v[30:31]
	v_add_co_u32_e32 v32, vcc, v44, v11
	v_addc_co_u32_e32 v33, vcc, 0, v23, vcc
	global_store_short v[2:3], v37, off
	global_store_short v[4:5], v38, off offset:512
	global_store_short v[26:27], v39, off offset:1024
	;; [unrolled: 1-line block ×3, first 2 shown]
	v_add_co_u32_e32 v2, vcc, s58, v30
	v_addc_co_u32_e32 v3, vcc, v28, v31, vcc
	v_add_co_u32_e32 v2, vcc, v2, v11
	v_addc_co_u32_e32 v3, vcc, 0, v3, vcc
	global_store_short v[2:3], v41, off offset:2048
	v_lshrrev_b32_sdwa v2, s68, v34 dst_sel:DWORD dst_unused:UNUSED_PAD src0_sel:DWORD src1_sel:WORD_0
	v_and_b32_e32 v2, s9, v2
	v_lshlrev_b32_e32 v21, 3, v2
	ds_read_b64 v[2:3], v21
	v_lshrrev_b32_sdwa v4, s68, v35 dst_sel:DWORD dst_unused:UNUSED_PAD src0_sel:DWORD src1_sel:WORD_0
	v_and_b32_e32 v4, s9, v4
	v_lshlrev_b32_e32 v23, 3, v4
	v_lshrrev_b32_sdwa v4, s68, v36 dst_sel:DWORD dst_unused:UNUSED_PAD src0_sel:DWORD src1_sel:WORD_0
	v_and_b32_e32 v4, s9, v4
	s_waitcnt lgkmcnt(0)
	v_lshlrev_b64 v[2:3], 1, v[2:3]
	v_lshlrev_b32_e32 v28, 3, v4
	v_lshrrev_b32_sdwa v4, s68, v42 dst_sel:DWORD dst_unused:UNUSED_PAD src0_sel:DWORD src1_sel:WORD_0
	v_and_b32_e32 v4, s9, v4
	v_mov_b32_e32 v15, s59
	v_add_co_u32_e32 v2, vcc, s58, v2
	v_lshlrev_b32_e32 v60, 3, v4
	ds_read_b64 v[4:5], v23
	ds_read_b64 v[26:27], v28
	;; [unrolled: 1-line block ×3, first 2 shown]
	v_addc_co_u32_e32 v3, vcc, v15, v3, vcc
	v_add_co_u32_e32 v2, vcc, v2, v11
	v_xor_b32_e32 v6, 0xffff8000, v34
	v_addc_co_u32_e32 v3, vcc, 0, v3, vcc
	global_store_short v[2:3], v6, off offset:2560
	s_waitcnt lgkmcnt(2)
	v_lshlrev_b64 v[2:3], 1, v[4:5]
	v_mov_b32_e32 v4, s59
	v_add_co_u32_e32 v2, vcc, s58, v2
	v_addc_co_u32_e32 v3, vcc, v4, v3, vcc
	v_add_co_u32_e32 v2, vcc, v2, v11
	v_xor_b32_e32 v6, 0xffff8000, v35
	v_addc_co_u32_e32 v3, vcc, 0, v3, vcc
	global_store_short v[2:3], v6, off offset:3072
	s_waitcnt lgkmcnt(1)
	v_lshlrev_b64 v[2:3], 1, v[26:27]
	v_mov_b32_e32 v5, s59
	v_add_co_u32_e32 v2, vcc, s58, v2
	;; [unrolled: 9-line block ×3, first 2 shown]
	v_addc_co_u32_e32 v43, vcc, v4, v3, vcc
	v_lshlrev_b32_e32 v2, 3, v8
	v_mov_b32_e32 v3, s1
	v_add_co_u32_e32 v2, vcc, s0, v2
	v_addc_co_u32_e32 v3, vcc, 0, v3, vcc
	v_lshlrev_b32_e32 v4, 3, v7
	v_add_co_u32_e32 v2, vcc, v2, v4
	v_addc_co_u32_e32 v3, vcc, 0, v3, vcc
	s_movk_i32 s0, 0x1000
	global_load_dwordx2 v[4:5], v[2:3], off
	global_load_dwordx2 v[6:7], v[2:3], off offset:512
	global_load_dwordx2 v[26:27], v[2:3], off offset:1024
	;; [unrolled: 1-line block ×7, first 2 shown]
	v_add_co_u32_e32 v2, vcc, s0, v2
	v_xor_b32_e32 v11, 0xffff8000, v42
	v_lshlrev_b32_e32 v42, 1, v61
	v_addc_co_u32_e32 v3, vcc, 0, v3, vcc
	global_load_dwordx2 v[40:41], v[2:3], off
	global_load_dwordx2 v[44:45], v[2:3], off offset:512
	v_add_co_u32_e32 v42, vcc, v15, v42
	v_addc_co_u32_e32 v43, vcc, 0, v43, vcc
	global_store_short v[42:43], v11, off
	global_load_dwordx2 v[42:43], v[2:3], off offset:1024
	v_lshrrev_b32_sdwa v11, s68, v46 dst_sel:DWORD dst_unused:UNUSED_PAD src0_sel:DWORD src1_sel:WORD_0
	global_load_dwordx2 v[2:3], v[2:3], off offset:1536
	v_and_b32_e32 v11, s9, v11
	v_lshlrev_b32_e32 v62, 3, v11
	v_xor_b32_e32 v15, 0xffff8000, v46
	ds_read_b64 v[46:47], v62
	v_lshrrev_b32_sdwa v11, s68, v58 dst_sel:DWORD dst_unused:UNUSED_PAD src0_sel:DWORD src1_sel:WORD_0
	v_and_b32_e32 v11, s9, v11
	v_lshlrev_b32_e32 v63, 3, v11
	v_lshrrev_b32_sdwa v11, s68, v59 dst_sel:DWORD dst_unused:UNUSED_PAD src0_sel:DWORD src1_sel:WORD_0
	s_waitcnt lgkmcnt(0)
	v_lshlrev_b64 v[46:47], 1, v[46:47]
	v_and_b32_e32 v11, s9, v11
	v_or_b32_e32 v8, 0x900, v0
	v_lshlrev_b32_e32 v64, 3, v11
	ds_read_b64 v[48:49], v63
	ds_read_b64 v[50:51], v64
	v_mov_b32_e32 v11, s59
	v_add_co_u32_e32 v46, vcc, s58, v46
	v_addc_co_u32_e32 v11, vcc, v11, v47, vcc
	v_lshlrev_b32_e32 v47, 1, v8
	v_add_co_u32_e32 v46, vcc, v46, v47
	v_addc_co_u32_e32 v47, vcc, 0, v11, vcc
	global_store_short v[46:47], v15, off
	s_waitcnt lgkmcnt(1)
	v_lshlrev_b64 v[46:47], 1, v[48:49]
	v_mov_b32_e32 v15, s59
	v_add_co_u32_e32 v46, vcc, s58, v46
	v_addc_co_u32_e32 v15, vcc, v15, v47, vcc
	v_lshlrev_b32_e32 v47, 1, v65
	v_add_co_u32_e32 v46, vcc, v46, v47
	v_xor_b32_e32 v11, 0xffff8000, v58
	v_addc_co_u32_e32 v47, vcc, 0, v15, vcc
	global_store_short v[46:47], v11, off
	s_waitcnt lgkmcnt(0)
	v_lshlrev_b64 v[46:47], 1, v[50:51]
	v_or_b32_e32 v48, 0xb00, v0
	v_mov_b32_e32 v15, s59
	v_add_co_u32_e32 v46, vcc, s58, v46
	v_addc_co_u32_e32 v15, vcc, v15, v47, vcc
	v_lshlrev_b32_e32 v47, 1, v48
	v_add_co_u32_e32 v46, vcc, v46, v47
	v_xor_b32_e32 v11, 0xffff8000, v59
	v_addc_co_u32_e32 v47, vcc, 0, v15, vcc
	global_store_short v[46:47], v11, off
	v_lshlrev_b32_e32 v11, 3, v29
	s_waitcnt vmcnt(0)
	s_barrier
	v_mad_u32_u24 v0, v0, 6, v52
	ds_write_b64 v11, v[4:5] offset:2048
	v_lshlrev_b32_e32 v4, 3, v25
	ds_write_b64 v4, v[6:7] offset:2048
	v_lshlrev_b32_e32 v4, 3, v24
	;; [unrolled: 2-line block ×10, first 2 shown]
	v_mov_b32_e32 v17, s63
	ds_write_b64 v4, v[42:43] offset:2048
	v_lshlrev_b32_e32 v4, 3, v12
	ds_write_b64 v4, v[2:3] offset:2048
	s_waitcnt lgkmcnt(0)
	s_barrier
	ds_read_b64 v[6:7], v53
	ds_read2st64_b64 v[2:5], v0 offset0:4 offset1:8
	ds_read_b64 v[11:12], v54
	ds_read_b64 v[13:14], v55
	;; [unrolled: 1-line block ×3, first 2 shown]
	s_waitcnt lgkmcnt(4)
	v_lshlrev_b64 v[6:7], 3, v[6:7]
	v_add_co_u32_e32 v6, vcc, s62, v6
	v_addc_co_u32_e32 v7, vcc, v17, v7, vcc
	v_add_co_u32_e32 v6, vcc, v6, v1
	v_addc_co_u32_e32 v7, vcc, 0, v7, vcc
	s_waitcnt lgkmcnt(3)
	global_store_dwordx2 v[6:7], v[2:3], off
	s_waitcnt lgkmcnt(2)
	v_lshlrev_b64 v[2:3], 3, v[11:12]
	v_mov_b32_e32 v6, s63
	v_add_co_u32_e32 v2, vcc, s62, v2
	v_addc_co_u32_e32 v3, vcc, v6, v3, vcc
	v_add_co_u32_e32 v2, vcc, v2, v1
	v_addc_co_u32_e32 v3, vcc, 0, v3, vcc
	s_waitcnt lgkmcnt(1)
	v_lshlrev_b64 v[6:7], 3, v[13:14]
	global_store_dwordx2 v[2:3], v[4:5], off offset:2048
	ds_read2st64_b64 v[2:5], v0 offset0:12 offset1:16
	v_mov_b32_e32 v11, s63
	v_add_co_u32_e32 v6, vcc, s62, v6
	v_addc_co_u32_e32 v7, vcc, v11, v7, vcc
	v_or_b32_e32 v11, 0x1000, v1
	v_add_co_u32_e32 v6, vcc, v6, v11
	v_addc_co_u32_e32 v7, vcc, 0, v7, vcc
	s_waitcnt lgkmcnt(0)
	global_store_dwordx2 v[6:7], v[2:3], off
	v_lshlrev_b64 v[2:3], 3, v[15:16]
	v_mov_b32_e32 v6, s63
	v_add_co_u32_e32 v2, vcc, s62, v2
	v_addc_co_u32_e32 v3, vcc, v6, v3, vcc
	v_or_b32_e32 v6, 0x1800, v1
	v_add_co_u32_e32 v2, vcc, v2, v6
	v_addc_co_u32_e32 v3, vcc, 0, v3, vcc
	global_store_dwordx2 v[2:3], v[4:5], off
	ds_read_b64 v[6:7], v57
	ds_read2st64_b64 v[2:5], v0 offset0:20 offset1:24
	ds_read_b64 v[11:12], v21
	ds_read_b64 v[13:14], v23
	;; [unrolled: 1-line block ×3, first 2 shown]
	s_waitcnt lgkmcnt(4)
	v_lshlrev_b64 v[6:7], 3, v[6:7]
	v_add_co_u32_e32 v6, vcc, s62, v6
	v_addc_co_u32_e32 v7, vcc, v17, v7, vcc
	v_or_b32_e32 v17, 0x2000, v1
	v_add_co_u32_e32 v6, vcc, v6, v17
	v_addc_co_u32_e32 v7, vcc, 0, v7, vcc
	s_waitcnt lgkmcnt(3)
	global_store_dwordx2 v[6:7], v[2:3], off
	s_waitcnt lgkmcnt(2)
	v_lshlrev_b64 v[2:3], 3, v[11:12]
	v_mov_b32_e32 v6, s63
	v_add_co_u32_e32 v2, vcc, s62, v2
	v_addc_co_u32_e32 v3, vcc, v6, v3, vcc
	v_or_b32_e32 v6, 0x2800, v1
	v_add_co_u32_e32 v2, vcc, v2, v6
	v_addc_co_u32_e32 v3, vcc, 0, v3, vcc
	s_waitcnt lgkmcnt(1)
	v_lshlrev_b64 v[6:7], 3, v[13:14]
	global_store_dwordx2 v[2:3], v[4:5], off
	ds_read2st64_b64 v[2:5], v0 offset0:28 offset1:32
	v_mov_b32_e32 v11, s63
	v_add_co_u32_e32 v6, vcc, s62, v6
	v_addc_co_u32_e32 v7, vcc, v11, v7, vcc
	v_or_b32_e32 v11, 0x3000, v1
	v_add_co_u32_e32 v6, vcc, v6, v11
	v_addc_co_u32_e32 v7, vcc, 0, v7, vcc
	s_waitcnt lgkmcnt(0)
	global_store_dwordx2 v[6:7], v[2:3], off
	v_lshlrev_b64 v[2:3], 3, v[15:16]
	v_mov_b32_e32 v6, s63
	v_add_co_u32_e32 v2, vcc, s62, v2
	v_addc_co_u32_e32 v3, vcc, v6, v3, vcc
	v_or_b32_e32 v6, 0x3800, v1
	v_add_co_u32_e32 v2, vcc, v2, v6
	v_addc_co_u32_e32 v3, vcc, 0, v3, vcc
	global_store_dwordx2 v[2:3], v[4:5], off
	ds_read_b64 v[6:7], v60
	ds_read2st64_b64 v[2:5], v0 offset0:36 offset1:40
	ds_read_b64 v[11:12], v62
	ds_read_b64 v[13:14], v63
	;; [unrolled: 1-line block ×3, first 2 shown]
	s_waitcnt lgkmcnt(4)
	v_lshlrev_b64 v[6:7], 3, v[6:7]
	v_mov_b32_e32 v17, s63
	v_add_co_u32_e32 v6, vcc, s62, v6
	v_addc_co_u32_e32 v7, vcc, v17, v7, vcc
	v_lshlrev_b32_e32 v17, 3, v61
	v_add_co_u32_e32 v6, vcc, v6, v17
	v_addc_co_u32_e32 v7, vcc, 0, v7, vcc
	s_waitcnt lgkmcnt(3)
	global_store_dwordx2 v[6:7], v[2:3], off
	s_waitcnt lgkmcnt(2)
	v_lshlrev_b64 v[2:3], 3, v[11:12]
	v_mov_b32_e32 v6, s63
	v_add_co_u32_e32 v2, vcc, s62, v2
	v_addc_co_u32_e32 v3, vcc, v6, v3, vcc
	v_lshlrev_b32_e32 v6, 3, v8
	v_add_co_u32_e32 v2, vcc, v2, v6
	v_addc_co_u32_e32 v3, vcc, 0, v3, vcc
	s_waitcnt lgkmcnt(1)
	v_lshlrev_b64 v[6:7], 3, v[13:14]
	global_store_dwordx2 v[2:3], v[4:5], off
	ds_read2st64_b64 v[2:5], v0 offset0:44 offset1:48
	v_mov_b32_e32 v0, s63
	v_add_co_u32_e32 v6, vcc, s62, v6
	v_addc_co_u32_e32 v0, vcc, v0, v7, vcc
	v_lshlrev_b32_e32 v7, 3, v65
	v_add_co_u32_e32 v6, vcc, v6, v7
	v_addc_co_u32_e32 v7, vcc, 0, v0, vcc
	s_waitcnt lgkmcnt(0)
	global_store_dwordx2 v[6:7], v[2:3], off
	v_lshlrev_b64 v[2:3], 3, v[15:16]
	v_mov_b32_e32 v0, s63
	v_add_co_u32_e32 v2, vcc, s62, v2
	v_addc_co_u32_e32 v0, vcc, v0, v3, vcc
	v_lshlrev_b32_e32 v3, 3, v48
	v_add_co_u32_e32 v2, vcc, v2, v3
	v_addc_co_u32_e32 v3, vcc, 0, v0, vcc
	global_store_dwordx2 v[2:3], v[4:5], off
	s_cbranch_scc1 .LBB73_195
; %bb.194:
	ds_read_b64 v[2:3], v1
	v_add_co_u32_e32 v0, vcc, v10, v9
	v_addc_co_u32_e64 v4, s[0:1], 0, 0, vcc
	s_waitcnt lgkmcnt(0)
	v_add_co_u32_e32 v2, vcc, v0, v2
	v_addc_co_u32_e32 v3, vcc, v4, v3, vcc
	global_store_dwordx2 v1, v[2:3], s[66:67]
.LBB73_195:
	s_endpgm
.LBB73_196:
	s_or_b64 exec, exec, s[0:1]
	s_and_saveexec_b64 s[0:1], s[26:27]
	s_cbranch_execz .LBB73_139
.LBB73_197:
	v_lshlrev_b32_e32 v3, 3, v62
	ds_read_b64 v[3:4], v3
	ds_read_b64 v[5:6], v32 offset:4096
	v_mov_b32_e32 v7, s63
	s_waitcnt lgkmcnt(1)
	v_lshlrev_b64 v[3:4], 3, v[3:4]
	v_add_co_u32_e32 v3, vcc, s62, v3
	v_addc_co_u32_e32 v4, vcc, v7, v4, vcc
	v_add_co_u32_e32 v3, vcc, v3, v32
	v_addc_co_u32_e32 v4, vcc, 0, v4, vcc
	s_waitcnt lgkmcnt(0)
	global_store_dwordx2 v[3:4], v[5:6], off offset:2048
	s_or_b64 exec, exec, s[0:1]
	s_and_saveexec_b64 s[0:1], s[28:29]
	s_cbranch_execnz .LBB73_140
.LBB73_198:
	s_or_b64 exec, exec, s[0:1]
	s_and_saveexec_b64 s[0:1], s[30:31]
	s_cbranch_execz .LBB73_141
.LBB73_199:
	v_lshlrev_b32_e32 v3, 3, v60
	ds_read_b64 v[3:4], v3
	ds_read_b64 v[5:6], v32 offset:8192
	v_mov_b32_e32 v7, s63
	s_waitcnt lgkmcnt(1)
	v_lshlrev_b64 v[3:4], 3, v[3:4]
	v_add_co_u32_e32 v3, vcc, s62, v3
	v_addc_co_u32_e32 v4, vcc, v7, v4, vcc
	v_lshlrev_b32_e32 v7, 3, v46
	v_add_co_u32_e32 v3, vcc, v3, v7
	v_addc_co_u32_e32 v4, vcc, 0, v4, vcc
	s_waitcnt lgkmcnt(0)
	global_store_dwordx2 v[3:4], v[5:6], off
	s_or_b64 exec, exec, s[0:1]
	s_and_saveexec_b64 s[0:1], s[34:35]
	s_cbranch_execnz .LBB73_142
.LBB73_200:
	s_or_b64 exec, exec, s[0:1]
	s_and_saveexec_b64 s[0:1], s[36:37]
	s_cbranch_execz .LBB73_143
.LBB73_201:
	v_lshlrev_b32_e32 v3, 3, v58
	ds_read_b64 v[3:4], v3
	ds_read_b64 v[5:6], v32 offset:12288
	v_mov_b32_e32 v7, s63
	s_waitcnt lgkmcnt(1)
	v_lshlrev_b64 v[3:4], 3, v[3:4]
	v_add_co_u32_e32 v3, vcc, s62, v3
	v_addc_co_u32_e32 v4, vcc, v7, v4, vcc
	v_lshlrev_b32_e32 v7, 3, v48
	v_add_co_u32_e32 v3, vcc, v3, v7
	v_addc_co_u32_e32 v4, vcc, 0, v4, vcc
	s_waitcnt lgkmcnt(0)
	global_store_dwordx2 v[3:4], v[5:6], off
	s_or_b64 exec, exec, s[0:1]
	s_and_saveexec_b64 s[0:1], s[38:39]
	s_cbranch_execnz .LBB73_144
.LBB73_202:
	s_or_b64 exec, exec, s[0:1]
	s_and_saveexec_b64 s[0:1], s[40:41]
	s_cbranch_execz .LBB73_145
.LBB73_203:
	v_lshlrev_b32_e32 v3, 3, v56
	ds_read_b64 v[3:4], v3
	ds_read_b64 v[5:6], v32 offset:16384
	v_mov_b32_e32 v7, s63
	s_waitcnt lgkmcnt(1)
	v_lshlrev_b64 v[3:4], 3, v[3:4]
	v_add_co_u32_e32 v3, vcc, s62, v3
	v_addc_co_u32_e32 v4, vcc, v7, v4, vcc
	v_lshlrev_b32_e32 v7, 3, v50
	v_add_co_u32_e32 v3, vcc, v3, v7
	v_addc_co_u32_e32 v4, vcc, 0, v4, vcc
	s_waitcnt lgkmcnt(0)
	global_store_dwordx2 v[3:4], v[5:6], off
	s_or_b64 exec, exec, s[0:1]
	s_and_saveexec_b64 s[0:1], s[42:43]
	s_cbranch_execnz .LBB73_146
.LBB73_204:
	s_or_b64 exec, exec, s[0:1]
	s_and_saveexec_b64 s[0:1], s[44:45]
	s_cbranch_execz .LBB73_147
.LBB73_205:
	v_lshlrev_b32_e32 v3, 3, v28
	ds_read_b64 v[3:4], v3
	ds_read_b64 v[5:6], v32 offset:20480
	v_mov_b32_e32 v7, s63
	s_waitcnt lgkmcnt(1)
	v_lshlrev_b64 v[3:4], 3, v[3:4]
	v_add_co_u32_e32 v3, vcc, s62, v3
	v_addc_co_u32_e32 v4, vcc, v7, v4, vcc
	v_lshlrev_b32_e32 v7, 3, v52
	v_add_co_u32_e32 v3, vcc, v3, v7
	v_addc_co_u32_e32 v4, vcc, 0, v4, vcc
	s_waitcnt lgkmcnt(0)
	global_store_dwordx2 v[3:4], v[5:6], off
	s_or_b64 exec, exec, s[0:1]
	s_and_saveexec_b64 s[0:1], s[46:47]
	s_cbranch_execnz .LBB73_148
.LBB73_206:
	s_or_b64 exec, exec, s[0:1]
	s_and_saveexec_b64 s[0:1], s[48:49]
	s_cbranch_execz .LBB73_149
.LBB73_207:
	v_lshlrev_b32_e32 v3, 3, v27
	ds_read_b64 v[3:4], v3
	ds_read_b64 v[5:6], v32 offset:24576
	v_mov_b32_e32 v7, s63
	s_waitcnt lgkmcnt(1)
	v_lshlrev_b64 v[3:4], 3, v[3:4]
	v_add_co_u32_e32 v3, vcc, s62, v3
	v_addc_co_u32_e32 v4, vcc, v7, v4, vcc
	v_lshlrev_b32_e32 v7, 3, v54
	v_add_co_u32_e32 v3, vcc, v3, v7
	v_addc_co_u32_e32 v4, vcc, 0, v4, vcc
	s_waitcnt lgkmcnt(0)
	global_store_dwordx2 v[3:4], v[5:6], off
	s_or_b64 exec, exec, s[0:1]
	s_add_i32 s33, s33, -1
	s_cmp_eq_u32 s6, s33
	s_cbranch_scc1 .LBB73_150
	s_branch .LBB73_151
	.section	.rodata,"a",@progbits
	.p2align	6, 0x0
	.amdhsa_kernel _ZN7rocprim17ROCPRIM_304000_NS6detail25onesweep_iteration_kernelINS1_34wrapped_radix_sort_onesweep_configINS0_14default_configEsN2at4cuda3cub6detail10OpaqueTypeILi8EEEEELb0EPsSC_PSA_SD_mNS0_19identity_decomposerEEEvT1_T2_T3_T4_jPT5_SK_PNS1_23onesweep_lookback_stateET6_jjj
		.amdhsa_group_segment_fixed_size 26624
		.amdhsa_private_segment_fixed_size 0
		.amdhsa_kernarg_size 336
		.amdhsa_user_sgpr_count 6
		.amdhsa_user_sgpr_private_segment_buffer 1
		.amdhsa_user_sgpr_dispatch_ptr 0
		.amdhsa_user_sgpr_queue_ptr 0
		.amdhsa_user_sgpr_kernarg_segment_ptr 1
		.amdhsa_user_sgpr_dispatch_id 0
		.amdhsa_user_sgpr_flat_scratch_init 0
		.amdhsa_user_sgpr_private_segment_size 0
		.amdhsa_uses_dynamic_stack 0
		.amdhsa_system_sgpr_private_segment_wavefront_offset 0
		.amdhsa_system_sgpr_workgroup_id_x 1
		.amdhsa_system_sgpr_workgroup_id_y 0
		.amdhsa_system_sgpr_workgroup_id_z 0
		.amdhsa_system_sgpr_workgroup_info 0
		.amdhsa_system_vgpr_workitem_id 2
		.amdhsa_next_free_vgpr 85
		.amdhsa_next_free_sgpr 98
		.amdhsa_reserve_vcc 1
		.amdhsa_reserve_flat_scratch 0
		.amdhsa_float_round_mode_32 0
		.amdhsa_float_round_mode_16_64 0
		.amdhsa_float_denorm_mode_32 3
		.amdhsa_float_denorm_mode_16_64 3
		.amdhsa_dx10_clamp 1
		.amdhsa_ieee_mode 1
		.amdhsa_fp16_overflow 0
		.amdhsa_exception_fp_ieee_invalid_op 0
		.amdhsa_exception_fp_denorm_src 0
		.amdhsa_exception_fp_ieee_div_zero 0
		.amdhsa_exception_fp_ieee_overflow 0
		.amdhsa_exception_fp_ieee_underflow 0
		.amdhsa_exception_fp_ieee_inexact 0
		.amdhsa_exception_int_div_zero 0
	.end_amdhsa_kernel
	.section	.text._ZN7rocprim17ROCPRIM_304000_NS6detail25onesweep_iteration_kernelINS1_34wrapped_radix_sort_onesweep_configINS0_14default_configEsN2at4cuda3cub6detail10OpaqueTypeILi8EEEEELb0EPsSC_PSA_SD_mNS0_19identity_decomposerEEEvT1_T2_T3_T4_jPT5_SK_PNS1_23onesweep_lookback_stateET6_jjj,"axG",@progbits,_ZN7rocprim17ROCPRIM_304000_NS6detail25onesweep_iteration_kernelINS1_34wrapped_radix_sort_onesweep_configINS0_14default_configEsN2at4cuda3cub6detail10OpaqueTypeILi8EEEEELb0EPsSC_PSA_SD_mNS0_19identity_decomposerEEEvT1_T2_T3_T4_jPT5_SK_PNS1_23onesweep_lookback_stateET6_jjj,comdat
.Lfunc_end73:
	.size	_ZN7rocprim17ROCPRIM_304000_NS6detail25onesweep_iteration_kernelINS1_34wrapped_radix_sort_onesweep_configINS0_14default_configEsN2at4cuda3cub6detail10OpaqueTypeILi8EEEEELb0EPsSC_PSA_SD_mNS0_19identity_decomposerEEEvT1_T2_T3_T4_jPT5_SK_PNS1_23onesweep_lookback_stateET6_jjj, .Lfunc_end73-_ZN7rocprim17ROCPRIM_304000_NS6detail25onesweep_iteration_kernelINS1_34wrapped_radix_sort_onesweep_configINS0_14default_configEsN2at4cuda3cub6detail10OpaqueTypeILi8EEEEELb0EPsSC_PSA_SD_mNS0_19identity_decomposerEEEvT1_T2_T3_T4_jPT5_SK_PNS1_23onesweep_lookback_stateET6_jjj
                                        ; -- End function
	.set _ZN7rocprim17ROCPRIM_304000_NS6detail25onesweep_iteration_kernelINS1_34wrapped_radix_sort_onesweep_configINS0_14default_configEsN2at4cuda3cub6detail10OpaqueTypeILi8EEEEELb0EPsSC_PSA_SD_mNS0_19identity_decomposerEEEvT1_T2_T3_T4_jPT5_SK_PNS1_23onesweep_lookback_stateET6_jjj.num_vgpr, 66
	.set _ZN7rocprim17ROCPRIM_304000_NS6detail25onesweep_iteration_kernelINS1_34wrapped_radix_sort_onesweep_configINS0_14default_configEsN2at4cuda3cub6detail10OpaqueTypeILi8EEEEELb0EPsSC_PSA_SD_mNS0_19identity_decomposerEEEvT1_T2_T3_T4_jPT5_SK_PNS1_23onesweep_lookback_stateET6_jjj.num_agpr, 0
	.set _ZN7rocprim17ROCPRIM_304000_NS6detail25onesweep_iteration_kernelINS1_34wrapped_radix_sort_onesweep_configINS0_14default_configEsN2at4cuda3cub6detail10OpaqueTypeILi8EEEEELb0EPsSC_PSA_SD_mNS0_19identity_decomposerEEEvT1_T2_T3_T4_jPT5_SK_PNS1_23onesweep_lookback_stateET6_jjj.numbered_sgpr, 75
	.set _ZN7rocprim17ROCPRIM_304000_NS6detail25onesweep_iteration_kernelINS1_34wrapped_radix_sort_onesweep_configINS0_14default_configEsN2at4cuda3cub6detail10OpaqueTypeILi8EEEEELb0EPsSC_PSA_SD_mNS0_19identity_decomposerEEEvT1_T2_T3_T4_jPT5_SK_PNS1_23onesweep_lookback_stateET6_jjj.num_named_barrier, 0
	.set _ZN7rocprim17ROCPRIM_304000_NS6detail25onesweep_iteration_kernelINS1_34wrapped_radix_sort_onesweep_configINS0_14default_configEsN2at4cuda3cub6detail10OpaqueTypeILi8EEEEELb0EPsSC_PSA_SD_mNS0_19identity_decomposerEEEvT1_T2_T3_T4_jPT5_SK_PNS1_23onesweep_lookback_stateET6_jjj.private_seg_size, 0
	.set _ZN7rocprim17ROCPRIM_304000_NS6detail25onesweep_iteration_kernelINS1_34wrapped_radix_sort_onesweep_configINS0_14default_configEsN2at4cuda3cub6detail10OpaqueTypeILi8EEEEELb0EPsSC_PSA_SD_mNS0_19identity_decomposerEEEvT1_T2_T3_T4_jPT5_SK_PNS1_23onesweep_lookback_stateET6_jjj.uses_vcc, 1
	.set _ZN7rocprim17ROCPRIM_304000_NS6detail25onesweep_iteration_kernelINS1_34wrapped_radix_sort_onesweep_configINS0_14default_configEsN2at4cuda3cub6detail10OpaqueTypeILi8EEEEELb0EPsSC_PSA_SD_mNS0_19identity_decomposerEEEvT1_T2_T3_T4_jPT5_SK_PNS1_23onesweep_lookback_stateET6_jjj.uses_flat_scratch, 0
	.set _ZN7rocprim17ROCPRIM_304000_NS6detail25onesweep_iteration_kernelINS1_34wrapped_radix_sort_onesweep_configINS0_14default_configEsN2at4cuda3cub6detail10OpaqueTypeILi8EEEEELb0EPsSC_PSA_SD_mNS0_19identity_decomposerEEEvT1_T2_T3_T4_jPT5_SK_PNS1_23onesweep_lookback_stateET6_jjj.has_dyn_sized_stack, 0
	.set _ZN7rocprim17ROCPRIM_304000_NS6detail25onesweep_iteration_kernelINS1_34wrapped_radix_sort_onesweep_configINS0_14default_configEsN2at4cuda3cub6detail10OpaqueTypeILi8EEEEELb0EPsSC_PSA_SD_mNS0_19identity_decomposerEEEvT1_T2_T3_T4_jPT5_SK_PNS1_23onesweep_lookback_stateET6_jjj.has_recursion, 0
	.set _ZN7rocprim17ROCPRIM_304000_NS6detail25onesweep_iteration_kernelINS1_34wrapped_radix_sort_onesweep_configINS0_14default_configEsN2at4cuda3cub6detail10OpaqueTypeILi8EEEEELb0EPsSC_PSA_SD_mNS0_19identity_decomposerEEEvT1_T2_T3_T4_jPT5_SK_PNS1_23onesweep_lookback_stateET6_jjj.has_indirect_call, 0
	.section	.AMDGPU.csdata,"",@progbits
; Kernel info:
; codeLenInByte = 19376
; TotalNumSgprs: 79
; NumVgprs: 66
; ScratchSize: 0
; MemoryBound: 0
; FloatMode: 240
; IeeeMode: 1
; LDSByteSize: 26624 bytes/workgroup (compile time only)
; SGPRBlocks: 12
; VGPRBlocks: 21
; NumSGPRsForWavesPerEU: 102
; NumVGPRsForWavesPerEU: 85
; Occupancy: 2
; WaveLimiterHint : 1
; COMPUTE_PGM_RSRC2:SCRATCH_EN: 0
; COMPUTE_PGM_RSRC2:USER_SGPR: 6
; COMPUTE_PGM_RSRC2:TRAP_HANDLER: 0
; COMPUTE_PGM_RSRC2:TGID_X_EN: 1
; COMPUTE_PGM_RSRC2:TGID_Y_EN: 0
; COMPUTE_PGM_RSRC2:TGID_Z_EN: 0
; COMPUTE_PGM_RSRC2:TIDIG_COMP_CNT: 2
	.section	.text._ZN7rocprim17ROCPRIM_304000_NS6detail28radix_sort_block_sort_kernelINS1_36wrapped_radix_sort_block_sort_configINS0_13kernel_configILj256ELj4ELj4294967295EEEiN2at4cuda3cub6detail10OpaqueTypeILi8EEEEELb1EPKiPiPKSB_PSB_NS0_19identity_decomposerEEEvT1_T2_T3_T4_jT5_jj,"axG",@progbits,_ZN7rocprim17ROCPRIM_304000_NS6detail28radix_sort_block_sort_kernelINS1_36wrapped_radix_sort_block_sort_configINS0_13kernel_configILj256ELj4ELj4294967295EEEiN2at4cuda3cub6detail10OpaqueTypeILi8EEEEELb1EPKiPiPKSB_PSB_NS0_19identity_decomposerEEEvT1_T2_T3_T4_jT5_jj,comdat
	.protected	_ZN7rocprim17ROCPRIM_304000_NS6detail28radix_sort_block_sort_kernelINS1_36wrapped_radix_sort_block_sort_configINS0_13kernel_configILj256ELj4ELj4294967295EEEiN2at4cuda3cub6detail10OpaqueTypeILi8EEEEELb1EPKiPiPKSB_PSB_NS0_19identity_decomposerEEEvT1_T2_T3_T4_jT5_jj ; -- Begin function _ZN7rocprim17ROCPRIM_304000_NS6detail28radix_sort_block_sort_kernelINS1_36wrapped_radix_sort_block_sort_configINS0_13kernel_configILj256ELj4ELj4294967295EEEiN2at4cuda3cub6detail10OpaqueTypeILi8EEEEELb1EPKiPiPKSB_PSB_NS0_19identity_decomposerEEEvT1_T2_T3_T4_jT5_jj
	.globl	_ZN7rocprim17ROCPRIM_304000_NS6detail28radix_sort_block_sort_kernelINS1_36wrapped_radix_sort_block_sort_configINS0_13kernel_configILj256ELj4ELj4294967295EEEiN2at4cuda3cub6detail10OpaqueTypeILi8EEEEELb1EPKiPiPKSB_PSB_NS0_19identity_decomposerEEEvT1_T2_T3_T4_jT5_jj
	.p2align	8
	.type	_ZN7rocprim17ROCPRIM_304000_NS6detail28radix_sort_block_sort_kernelINS1_36wrapped_radix_sort_block_sort_configINS0_13kernel_configILj256ELj4ELj4294967295EEEiN2at4cuda3cub6detail10OpaqueTypeILi8EEEEELb1EPKiPiPKSB_PSB_NS0_19identity_decomposerEEEvT1_T2_T3_T4_jT5_jj,@function
_ZN7rocprim17ROCPRIM_304000_NS6detail28radix_sort_block_sort_kernelINS1_36wrapped_radix_sort_block_sort_configINS0_13kernel_configILj256ELj4ELj4294967295EEEiN2at4cuda3cub6detail10OpaqueTypeILi8EEEEELb1EPKiPiPKSB_PSB_NS0_19identity_decomposerEEEvT1_T2_T3_T4_jT5_jj: ; @_ZN7rocprim17ROCPRIM_304000_NS6detail28radix_sort_block_sort_kernelINS1_36wrapped_radix_sort_block_sort_configINS0_13kernel_configILj256ELj4ELj4294967295EEEiN2at4cuda3cub6detail10OpaqueTypeILi8EEEEELb1EPKiPiPKSB_PSB_NS0_19identity_decomposerEEEvT1_T2_T3_T4_jT5_jj
; %bb.0:
	s_load_dword s2, s[4:5], 0x20
	s_load_dwordx8 s[36:43], s[4:5], 0x0
	s_lshl_b32 s28, s6, 10
	s_mov_b32 s29, 0
	v_mbcnt_lo_u32_b32 v3, -1, 0
	s_waitcnt lgkmcnt(0)
	s_lshr_b32 s0, s2, 10
	s_cmp_lg_u32 s6, s0
	s_cselect_b64 s[30:31], -1, 0
	s_lshl_b64 s[34:35], s[28:29], 2
	s_add_u32 s1, s36, s34
	v_mbcnt_hi_u32_b32 v9, -1, v3
	s_addc_u32 s3, s37, s35
	v_lshlrev_b32_e32 v27, 2, v0
	v_lshlrev_b32_e32 v3, 2, v9
	v_and_b32_e32 v10, 0x300, v27
	v_mov_b32_e32 v4, s3
	v_add_co_u32_e32 v3, vcc, s1, v3
	v_addc_co_u32_e32 v4, vcc, 0, v4, vcc
	v_lshlrev_b32_e32 v5, 2, v10
	v_add_co_u32_e32 v7, vcc, v3, v5
	s_cmp_eq_u32 s6, s0
	v_addc_co_u32_e32 v8, vcc, 0, v4, vcc
	v_lshlrev_b32_e32 v15, 3, v9
	v_lshlrev_b32_e32 v14, 3, v10
	v_add_u32_e32 v11, v9, v10
	s_cbranch_scc1 .LBB74_2
; %bb.1:
	s_lshl_b64 s[0:1], s[28:29], 3
	s_add_u32 s0, s40, s0
	s_addc_u32 s1, s41, s1
	v_mov_b32_e32 v12, s1
	v_add_co_u32_e32 v13, vcc, s0, v15
	v_addc_co_u32_e32 v16, vcc, 0, v12, vcc
	v_add_co_u32_e32 v12, vcc, v13, v14
	v_addc_co_u32_e32 v13, vcc, 0, v16, vcc
	global_load_dword v3, v[7:8], off
	global_load_dword v4, v[7:8], off offset:256
	global_load_dword v5, v[7:8], off offset:512
	;; [unrolled: 1-line block ×3, first 2 shown]
	global_load_dwordx2 v[19:20], v[12:13], off
	global_load_dwordx2 v[21:22], v[12:13], off offset:512
	global_load_dwordx2 v[23:24], v[12:13], off offset:1024
	;; [unrolled: 1-line block ×3, first 2 shown]
	v_add_u32_e32 v16, v9, v10
	v_add_u32_e32 v10, 64, v16
	;; [unrolled: 1-line block ×4, first 2 shown]
	s_sub_i32 s33, s2, s28
	s_cbranch_execz .LBB74_3
	s_branch .LBB74_17
.LBB74_2:
                                        ; implicit-def: $vgpr3_vgpr4_vgpr5_vgpr6
                                        ; implicit-def: $vgpr19_vgpr20
                                        ; implicit-def: $vgpr21_vgpr22
                                        ; implicit-def: $vgpr23_vgpr24
                                        ; implicit-def: $vgpr25_vgpr26
                                        ; implicit-def: $vgpr16
                                        ; implicit-def: $vgpr10
                                        ; implicit-def: $vgpr12
                                        ; implicit-def: $vgpr13
	s_sub_i32 s33, s2, s28
.LBB74_3:
	s_waitcnt vmcnt(7)
	v_bfrev_b32_e32 v3, 1
	v_cmp_gt_u32_e32 vcc, s33, v11
	s_waitcnt vmcnt(6)
	v_mov_b32_e32 v4, v3
	s_waitcnt vmcnt(5)
	v_mov_b32_e32 v5, v3
	;; [unrolled: 2-line block ×3, first 2 shown]
	s_and_saveexec_b64 s[0:1], vcc
	s_cbranch_execz .LBB74_5
; %bb.4:
	global_load_dword v16, v[7:8], off
	v_mov_b32_e32 v17, v3
	v_mov_b32_e32 v18, v3
	s_waitcnt vmcnt(4)
	v_mov_b32_e32 v19, v3
	s_waitcnt vmcnt(0)
	v_mov_b32_e32 v3, v16
	v_mov_b32_e32 v4, v17
	;; [unrolled: 1-line block ×4, first 2 shown]
.LBB74_5:
	s_or_b64 exec, exec, s[0:1]
	v_add_u32_e32 v10, 64, v11
	v_cmp_gt_u32_e64 s[0:1], s33, v10
	s_and_saveexec_b64 s[2:3], s[0:1]
	s_cbranch_execz .LBB74_7
; %bb.6:
	global_load_dword v4, v[7:8], off offset:256
.LBB74_7:
	s_or_b64 exec, exec, s[2:3]
	v_add_u32_e32 v12, 0x80, v11
	v_cmp_gt_u32_e64 s[2:3], s33, v12
	s_and_saveexec_b64 s[6:7], s[2:3]
	s_cbranch_execz .LBB74_9
; %bb.8:
	global_load_dword v5, v[7:8], off offset:512
.LBB74_9:
	;; [unrolled: 8-line block ×3, first 2 shown]
	s_or_b64 exec, exec, s[8:9]
	s_lshl_b64 s[8:9], s[28:29], 3
	s_add_u32 s8, s40, s8
	s_addc_u32 s9, s41, s9
	v_mov_b32_e32 v7, s9
	v_add_co_u32_e64 v8, s[8:9], s8, v15
	v_addc_co_u32_e64 v15, s[8:9], 0, v7, s[8:9]
	v_add_co_u32_e64 v7, s[8:9], v8, v14
	v_addc_co_u32_e64 v8, s[8:9], 0, v15, s[8:9]
                                        ; implicit-def: $vgpr19_vgpr20
	s_and_saveexec_b64 s[8:9], vcc
	s_cbranch_execnz .LBB74_54
; %bb.12:
	s_or_b64 exec, exec, s[8:9]
                                        ; implicit-def: $vgpr21_vgpr22
	s_and_saveexec_b64 s[8:9], s[0:1]
	s_cbranch_execnz .LBB74_55
.LBB74_13:
	s_or_b64 exec, exec, s[8:9]
                                        ; implicit-def: $vgpr23_vgpr24
	s_and_saveexec_b64 s[0:1], s[2:3]
	s_cbranch_execnz .LBB74_56
.LBB74_14:
	s_or_b64 exec, exec, s[0:1]
                                        ; implicit-def: $vgpr25_vgpr26
	s_and_saveexec_b64 s[0:1], s[6:7]
	s_cbranch_execz .LBB74_16
.LBB74_15:
	global_load_dwordx2 v[25:26], v[7:8], off offset:1536
.LBB74_16:
	s_or_b64 exec, exec, s[0:1]
	v_mov_b32_e32 v16, v11
.LBB74_17:
	s_load_dwordx2 s[36:37], s[4:5], 0x28
	s_load_dword s0, s[4:5], 0x3c
	s_mov_b32 s26, 0
	s_mov_b32 s44, s26
	v_lshlrev_b32_e32 v34, 2, v16
	v_lshlrev_b32_e32 v35, 2, v10
	s_waitcnt lgkmcnt(0)
	s_lshr_b32 s1, s0, 16
	s_and_b32 s0, s0, 0xffff
	v_mad_u32_u24 v1, v2, s1, v1
	v_mad_u64_u32 v[7:8], s[0:1], v1, s0, v[0:1]
	s_waitcnt vmcnt(0)
	v_xor_b32_e32 v1, 0x7fffffff, v5
	v_xor_b32_e32 v2, 0x7fffffff, v6
	v_lshrrev_b32_e32 v5, 4, v7
	v_and_b32_e32 v29, 0xffffffc, v5
	v_and_b32_e32 v5, 15, v9
	v_cmp_eq_u32_e64 s[0:1], 0, v5
	v_cmp_lt_u32_e64 s[2:3], 1, v5
	v_cmp_lt_u32_e64 s[4:5], 3, v5
	;; [unrolled: 1-line block ×3, first 2 shown]
	v_and_b32_e32 v5, 16, v9
	v_cmp_eq_u32_e64 s[8:9], 0, v5
	v_or_b32_e32 v5, 63, v0
	v_cmp_eq_u32_e64 s[12:13], v0, v5
	v_subrev_co_u32_e64 v5, s[18:19], 1, v9
	v_and_b32_e32 v6, 64, v9
	v_cmp_lt_i32_e32 vcc, v5, v6
	v_cndmask_b32_e32 v5, v5, v9, vcc
	v_lshlrev_b32_e32 v31, 2, v5
	v_lshrrev_b32_e32 v5, 4, v0
	v_and_b32_e32 v32, 12, v5
	v_and_b32_e32 v5, 3, v9
	v_cmp_eq_u32_e64 s[22:23], 0, v5
	v_cmp_lt_u32_e64 s[24:25], 1, v5
	v_lshlrev_b32_e32 v36, 2, v12
	v_lshlrev_b32_e32 v37, 2, v13
	s_mov_b32 s27, s26
	s_mov_b32 s45, s26
	v_mov_b32_e32 v5, s26
	v_mov_b32_e32 v7, s44
	v_xor_b32_e32 v3, 0x7fffffff, v3
	v_xor_b32_e32 v4, 0x7fffffff, v4
	s_add_i32 s40, s37, s36
	v_lshlrev_b32_e32 v28, 2, v27
	v_cmp_lt_u32_e64 s[10:11], 31, v9
	v_cmp_gt_u32_e64 s[14:15], 4, v0
	v_cmp_lt_u32_e64 s[16:17], 63, v0
	v_cmp_eq_u32_e64 s[20:21], 0, v0
	v_mul_i32_i24_e32 v30, -12, v0
	v_add_u32_e32 v33, -4, v32
	v_mov_b32_e32 v6, s27
	v_mov_b32_e32 v8, s45
	;; [unrolled: 1-line block ×3, first 2 shown]
	v_add_u32_e32 v38, v34, v34
	v_add_u32_e32 v39, v35, v35
	;; [unrolled: 1-line block ×4, first 2 shown]
	s_branch .LBB74_19
.LBB74_18:                              ;   in Loop: Header=BB74_19 Depth=1
	s_andn2_b64 vcc, exec, s[26:27]
	s_mov_b32 s37, s41
	s_cbranch_vccz .LBB74_35
.LBB74_19:                              ; =>This Inner Loop Header: Depth=1
	s_min_u32 s26, s37, 8
	v_mov_b32_e32 v45, v3
	s_lshl_b32 s26, -1, s26
	v_mov_b32_e32 v43, v1
	s_not_b32 s41, s26
	v_lshrrev_b32_e32 v1, s36, v45
	v_and_b32_e32 v1, s41, v1
	v_mov_b32_e32 v42, v2
	v_and_b32_e32 v2, 1, v1
	v_mov_b32_e32 v44, v4
	v_add_co_u32_e32 v4, vcc, -1, v2
	v_addc_co_u32_e64 v10, s[26:27], 0, -1, vcc
	v_cmp_ne_u32_e32 vcc, 0, v2
	v_xor_b32_e32 v2, vcc_hi, v10
	v_lshlrev_b32_e32 v10, 30, v1
	v_xor_b32_e32 v4, vcc_lo, v4
	v_cmp_gt_i64_e32 vcc, 0, v[9:10]
	v_not_b32_e32 v10, v10
	v_mov_b32_e32 v17, v19
	v_ashrrev_i32_e32 v10, 31, v10
	v_mov_b32_e32 v18, v20
	v_and_b32_e32 v4, exec_lo, v4
	v_xor_b32_e32 v19, vcc_hi, v10
	v_xor_b32_e32 v10, vcc_lo, v10
	v_and_b32_e32 v4, v4, v10
	v_lshlrev_b32_e32 v10, 29, v1
	v_cmp_gt_i64_e32 vcc, 0, v[9:10]
	v_not_b32_e32 v10, v10
	v_and_b32_e32 v2, exec_hi, v2
	v_ashrrev_i32_e32 v10, 31, v10
	v_and_b32_e32 v2, v2, v19
	v_xor_b32_e32 v19, vcc_hi, v10
	v_xor_b32_e32 v10, vcc_lo, v10
	v_and_b32_e32 v4, v4, v10
	v_lshlrev_b32_e32 v10, 28, v1
	v_cmp_gt_i64_e32 vcc, 0, v[9:10]
	v_not_b32_e32 v10, v10
	v_ashrrev_i32_e32 v10, 31, v10
	v_and_b32_e32 v2, v2, v19
	v_xor_b32_e32 v19, vcc_hi, v10
	v_xor_b32_e32 v10, vcc_lo, v10
	v_and_b32_e32 v4, v4, v10
	v_lshlrev_b32_e32 v10, 27, v1
	v_cmp_gt_i64_e32 vcc, 0, v[9:10]
	v_not_b32_e32 v10, v10
	;; [unrolled: 8-line block ×4, first 2 shown]
	v_ashrrev_i32_e32 v10, 31, v10
	v_and_b32_e32 v2, v2, v19
	v_xor_b32_e32 v19, vcc_hi, v10
	v_xor_b32_e32 v10, vcc_lo, v10
	v_and_b32_e32 v4, v4, v10
	v_lshlrev_b32_e32 v10, 24, v1
	v_lshlrev_b32_e32 v3, 4, v1
	v_cmp_gt_i64_e32 vcc, 0, v[9:10]
	v_not_b32_e32 v1, v10
	v_ashrrev_i32_e32 v1, 31, v1
	v_xor_b32_e32 v10, vcc_hi, v1
	v_xor_b32_e32 v1, vcc_lo, v1
	v_and_b32_e32 v2, v2, v19
	v_and_b32_e32 v1, v4, v1
	;; [unrolled: 1-line block ×3, first 2 shown]
	v_mbcnt_lo_u32_b32 v4, v1, 0
	v_mbcnt_hi_u32_b32 v19, v2, v4
	v_cmp_ne_u64_e32 vcc, 0, v[1:2]
	v_mov_b32_e32 v15, v21
	v_mov_b32_e32 v13, v23
	;; [unrolled: 1-line block ×3, first 2 shown]
	v_cmp_eq_u32_e64 s[26:27], 0, v19
	v_mov_b32_e32 v16, v22
	v_mov_b32_e32 v14, v24
	;; [unrolled: 1-line block ×3, first 2 shown]
	s_and_b64 s[44:45], vcc, s[26:27]
	v_add_u32_e32 v20, v29, v3
	ds_write2_b64 v28, v[5:6], v[7:8] offset0:2 offset1:3
	s_waitcnt lgkmcnt(0)
	s_barrier
	; wave barrier
	s_and_saveexec_b64 s[26:27], s[44:45]
; %bb.20:                               ;   in Loop: Header=BB74_19 Depth=1
	v_bcnt_u32_b32 v1, v1, 0
	v_bcnt_u32_b32 v1, v2, v1
	ds_write_b32 v20, v1 offset:16
; %bb.21:                               ;   in Loop: Header=BB74_19 Depth=1
	s_or_b64 exec, exec, s[26:27]
	v_lshrrev_b32_e32 v1, s36, v44
	v_and_b32_e32 v1, s41, v1
	v_lshlrev_b32_e32 v2, 4, v1
	v_add_u32_e32 v22, v29, v2
	v_and_b32_e32 v2, 1, v1
	v_add_co_u32_e32 v3, vcc, -1, v2
	v_addc_co_u32_e64 v4, s[26:27], 0, -1, vcc
	v_cmp_ne_u32_e32 vcc, 0, v2
	v_lshlrev_b32_e32 v10, 30, v1
	v_xor_b32_e32 v2, vcc_hi, v4
	v_xor_b32_e32 v3, vcc_lo, v3
	v_cmp_gt_i64_e32 vcc, 0, v[9:10]
	v_not_b32_e32 v4, v10
	v_ashrrev_i32_e32 v4, 31, v4
	v_and_b32_e32 v2, exec_hi, v2
	v_xor_b32_e32 v10, vcc_hi, v4
	v_and_b32_e32 v3, exec_lo, v3
	v_xor_b32_e32 v4, vcc_lo, v4
	v_and_b32_e32 v2, v2, v10
	v_lshlrev_b32_e32 v10, 29, v1
	v_and_b32_e32 v3, v3, v4
	v_cmp_gt_i64_e32 vcc, 0, v[9:10]
	v_not_b32_e32 v4, v10
	v_ashrrev_i32_e32 v4, 31, v4
	v_xor_b32_e32 v10, vcc_hi, v4
	v_xor_b32_e32 v4, vcc_lo, v4
	v_and_b32_e32 v2, v2, v10
	v_lshlrev_b32_e32 v10, 28, v1
	v_and_b32_e32 v3, v3, v4
	v_cmp_gt_i64_e32 vcc, 0, v[9:10]
	v_not_b32_e32 v4, v10
	v_ashrrev_i32_e32 v4, 31, v4
	v_xor_b32_e32 v10, vcc_hi, v4
	;; [unrolled: 8-line block ×5, first 2 shown]
	v_and_b32_e32 v2, v2, v10
	v_lshlrev_b32_e32 v10, 24, v1
	v_xor_b32_e32 v4, vcc_lo, v4
	v_cmp_gt_i64_e32 vcc, 0, v[9:10]
	v_not_b32_e32 v1, v10
	v_ashrrev_i32_e32 v1, 31, v1
	v_and_b32_e32 v3, v3, v4
	v_xor_b32_e32 v4, vcc_hi, v1
	v_xor_b32_e32 v1, vcc_lo, v1
	; wave barrier
	ds_read_b32 v21, v22 offset:16
	v_and_b32_e32 v1, v3, v1
	v_and_b32_e32 v2, v2, v4
	v_mbcnt_lo_u32_b32 v3, v1, 0
	v_mbcnt_hi_u32_b32 v23, v2, v3
	v_cmp_ne_u64_e32 vcc, 0, v[1:2]
	v_cmp_eq_u32_e64 s[26:27], 0, v23
	s_and_b64 s[44:45], vcc, s[26:27]
	; wave barrier
	s_and_saveexec_b64 s[26:27], s[44:45]
	s_cbranch_execz .LBB74_23
; %bb.22:                               ;   in Loop: Header=BB74_19 Depth=1
	v_bcnt_u32_b32 v1, v1, 0
	v_bcnt_u32_b32 v1, v2, v1
	s_waitcnt lgkmcnt(0)
	v_add_u32_e32 v1, v21, v1
	ds_write_b32 v22, v1 offset:16
.LBB74_23:                              ;   in Loop: Header=BB74_19 Depth=1
	s_or_b64 exec, exec, s[26:27]
	v_lshrrev_b32_e32 v1, s36, v43
	v_and_b32_e32 v1, s41, v1
	v_lshlrev_b32_e32 v2, 4, v1
	v_add_u32_e32 v25, v29, v2
	v_and_b32_e32 v2, 1, v1
	v_add_co_u32_e32 v3, vcc, -1, v2
	v_addc_co_u32_e64 v4, s[26:27], 0, -1, vcc
	v_cmp_ne_u32_e32 vcc, 0, v2
	v_lshlrev_b32_e32 v10, 30, v1
	v_xor_b32_e32 v2, vcc_hi, v4
	v_xor_b32_e32 v3, vcc_lo, v3
	v_cmp_gt_i64_e32 vcc, 0, v[9:10]
	v_not_b32_e32 v4, v10
	v_ashrrev_i32_e32 v4, 31, v4
	v_and_b32_e32 v2, exec_hi, v2
	v_xor_b32_e32 v10, vcc_hi, v4
	v_and_b32_e32 v3, exec_lo, v3
	v_xor_b32_e32 v4, vcc_lo, v4
	v_and_b32_e32 v2, v2, v10
	v_lshlrev_b32_e32 v10, 29, v1
	v_and_b32_e32 v3, v3, v4
	v_cmp_gt_i64_e32 vcc, 0, v[9:10]
	v_not_b32_e32 v4, v10
	v_ashrrev_i32_e32 v4, 31, v4
	v_xor_b32_e32 v10, vcc_hi, v4
	v_xor_b32_e32 v4, vcc_lo, v4
	v_and_b32_e32 v2, v2, v10
	v_lshlrev_b32_e32 v10, 28, v1
	v_and_b32_e32 v3, v3, v4
	v_cmp_gt_i64_e32 vcc, 0, v[9:10]
	v_not_b32_e32 v4, v10
	v_ashrrev_i32_e32 v4, 31, v4
	v_xor_b32_e32 v10, vcc_hi, v4
	;; [unrolled: 8-line block ×5, first 2 shown]
	v_and_b32_e32 v2, v2, v10
	v_lshlrev_b32_e32 v10, 24, v1
	v_xor_b32_e32 v4, vcc_lo, v4
	v_cmp_gt_i64_e32 vcc, 0, v[9:10]
	v_not_b32_e32 v1, v10
	v_ashrrev_i32_e32 v1, 31, v1
	v_and_b32_e32 v3, v3, v4
	v_xor_b32_e32 v4, vcc_hi, v1
	v_xor_b32_e32 v1, vcc_lo, v1
	; wave barrier
	ds_read_b32 v24, v25 offset:16
	v_and_b32_e32 v1, v3, v1
	v_and_b32_e32 v2, v2, v4
	v_mbcnt_lo_u32_b32 v3, v1, 0
	v_mbcnt_hi_u32_b32 v26, v2, v3
	v_cmp_ne_u64_e32 vcc, 0, v[1:2]
	v_cmp_eq_u32_e64 s[26:27], 0, v26
	s_and_b64 s[44:45], vcc, s[26:27]
	; wave barrier
	s_and_saveexec_b64 s[26:27], s[44:45]
	s_cbranch_execz .LBB74_25
; %bb.24:                               ;   in Loop: Header=BB74_19 Depth=1
	v_bcnt_u32_b32 v1, v1, 0
	v_bcnt_u32_b32 v1, v2, v1
	s_waitcnt lgkmcnt(0)
	v_add_u32_e32 v1, v24, v1
	ds_write_b32 v25, v1 offset:16
.LBB74_25:                              ;   in Loop: Header=BB74_19 Depth=1
	s_or_b64 exec, exec, s[26:27]
	v_lshrrev_b32_e32 v1, s36, v42
	v_and_b32_e32 v1, s41, v1
	v_lshlrev_b32_e32 v2, 4, v1
	v_add_u32_e32 v47, v29, v2
	v_and_b32_e32 v2, 1, v1
	v_add_co_u32_e32 v3, vcc, -1, v2
	v_addc_co_u32_e64 v4, s[26:27], 0, -1, vcc
	v_cmp_ne_u32_e32 vcc, 0, v2
	v_lshlrev_b32_e32 v10, 30, v1
	v_xor_b32_e32 v2, vcc_hi, v4
	v_xor_b32_e32 v3, vcc_lo, v3
	v_cmp_gt_i64_e32 vcc, 0, v[9:10]
	v_not_b32_e32 v4, v10
	v_ashrrev_i32_e32 v4, 31, v4
	v_and_b32_e32 v2, exec_hi, v2
	v_xor_b32_e32 v10, vcc_hi, v4
	v_and_b32_e32 v3, exec_lo, v3
	v_xor_b32_e32 v4, vcc_lo, v4
	v_and_b32_e32 v2, v2, v10
	v_lshlrev_b32_e32 v10, 29, v1
	v_and_b32_e32 v3, v3, v4
	v_cmp_gt_i64_e32 vcc, 0, v[9:10]
	v_not_b32_e32 v4, v10
	v_ashrrev_i32_e32 v4, 31, v4
	v_xor_b32_e32 v10, vcc_hi, v4
	v_xor_b32_e32 v4, vcc_lo, v4
	v_and_b32_e32 v2, v2, v10
	v_lshlrev_b32_e32 v10, 28, v1
	v_and_b32_e32 v3, v3, v4
	v_cmp_gt_i64_e32 vcc, 0, v[9:10]
	v_not_b32_e32 v4, v10
	v_ashrrev_i32_e32 v4, 31, v4
	v_xor_b32_e32 v10, vcc_hi, v4
	;; [unrolled: 8-line block ×5, first 2 shown]
	v_and_b32_e32 v2, v2, v10
	v_lshlrev_b32_e32 v10, 24, v1
	v_xor_b32_e32 v4, vcc_lo, v4
	v_cmp_gt_i64_e32 vcc, 0, v[9:10]
	v_not_b32_e32 v1, v10
	v_ashrrev_i32_e32 v1, 31, v1
	v_and_b32_e32 v3, v3, v4
	v_xor_b32_e32 v4, vcc_hi, v1
	v_xor_b32_e32 v1, vcc_lo, v1
	; wave barrier
	ds_read_b32 v46, v47 offset:16
	v_and_b32_e32 v1, v3, v1
	v_and_b32_e32 v2, v2, v4
	v_mbcnt_lo_u32_b32 v3, v1, 0
	v_mbcnt_hi_u32_b32 v10, v2, v3
	v_cmp_ne_u64_e32 vcc, 0, v[1:2]
	v_cmp_eq_u32_e64 s[26:27], 0, v10
	s_and_b64 s[44:45], vcc, s[26:27]
	; wave barrier
	s_and_saveexec_b64 s[26:27], s[44:45]
	s_cbranch_execz .LBB74_27
; %bb.26:                               ;   in Loop: Header=BB74_19 Depth=1
	v_bcnt_u32_b32 v1, v1, 0
	v_bcnt_u32_b32 v1, v2, v1
	s_waitcnt lgkmcnt(0)
	v_add_u32_e32 v1, v46, v1
	ds_write_b32 v47, v1 offset:16
.LBB74_27:                              ;   in Loop: Header=BB74_19 Depth=1
	s_or_b64 exec, exec, s[26:27]
	; wave barrier
	s_waitcnt lgkmcnt(0)
	s_barrier
	ds_read2_b64 v[1:4], v28 offset0:2 offset1:3
	s_waitcnt lgkmcnt(0)
	v_add_u32_e32 v48, v2, v1
	v_add3_u32 v4, v48, v3, v4
	s_nop 1
	v_mov_b32_dpp v48, v4 row_shr:1 row_mask:0xf bank_mask:0xf
	v_cndmask_b32_e64 v48, v48, 0, s[0:1]
	v_add_u32_e32 v4, v48, v4
	s_nop 1
	v_mov_b32_dpp v48, v4 row_shr:2 row_mask:0xf bank_mask:0xf
	v_cndmask_b32_e64 v48, 0, v48, s[2:3]
	v_add_u32_e32 v4, v4, v48
	;; [unrolled: 4-line block ×4, first 2 shown]
	s_nop 1
	v_mov_b32_dpp v48, v4 row_bcast:15 row_mask:0xf bank_mask:0xf
	v_cndmask_b32_e64 v48, v48, 0, s[8:9]
	v_add_u32_e32 v4, v4, v48
	s_nop 1
	v_mov_b32_dpp v48, v4 row_bcast:31 row_mask:0xf bank_mask:0xf
	v_cndmask_b32_e64 v48, 0, v48, s[10:11]
	v_add_u32_e32 v4, v4, v48
	s_and_saveexec_b64 s[26:27], s[12:13]
; %bb.28:                               ;   in Loop: Header=BB74_19 Depth=1
	ds_write_b32 v32, v4
; %bb.29:                               ;   in Loop: Header=BB74_19 Depth=1
	s_or_b64 exec, exec, s[26:27]
	s_waitcnt lgkmcnt(0)
	s_barrier
	s_and_saveexec_b64 s[26:27], s[14:15]
	s_cbranch_execz .LBB74_31
; %bb.30:                               ;   in Loop: Header=BB74_19 Depth=1
	v_add_u32_e32 v48, v28, v30
	ds_read_b32 v49, v48
	s_waitcnt lgkmcnt(0)
	s_nop 0
	v_mov_b32_dpp v50, v49 row_shr:1 row_mask:0xf bank_mask:0xf
	v_cndmask_b32_e64 v50, v50, 0, s[22:23]
	v_add_u32_e32 v49, v50, v49
	s_nop 1
	v_mov_b32_dpp v50, v49 row_shr:2 row_mask:0xf bank_mask:0xf
	v_cndmask_b32_e64 v50, 0, v50, s[24:25]
	v_add_u32_e32 v49, v49, v50
	ds_write_b32 v48, v49
.LBB74_31:                              ;   in Loop: Header=BB74_19 Depth=1
	s_or_b64 exec, exec, s[26:27]
	v_mov_b32_e32 v48, 0
	s_waitcnt lgkmcnt(0)
	s_barrier
	s_and_saveexec_b64 s[26:27], s[16:17]
; %bb.32:                               ;   in Loop: Header=BB74_19 Depth=1
	ds_read_b32 v48, v33
; %bb.33:                               ;   in Loop: Header=BB74_19 Depth=1
	s_or_b64 exec, exec, s[26:27]
	s_waitcnt lgkmcnt(0)
	v_add_u32_e32 v4, v48, v4
	ds_bpermute_b32 v4, v31, v4
	s_add_i32 s36, s36, 8
	s_cmp_ge_u32 s36, s40
	s_mov_b64 s[26:27], -1
	v_readfirstlane_b32 s41, v0
	s_waitcnt lgkmcnt(0)
	v_cndmask_b32_e64 v4, v4, v48, s[18:19]
	v_cndmask_b32_e64 v48, v4, 0, s[20:21]
	v_add_u32_e32 v49, v48, v1
	v_add_u32_e32 v1, v49, v2
	;; [unrolled: 1-line block ×3, first 2 shown]
	ds_write2_b64 v28, v[48:49], v[1:2] offset0:2 offset1:3
	s_waitcnt lgkmcnt(0)
	s_barrier
	ds_read_b32 v1, v20 offset:16
	ds_read_b32 v2, v22 offset:16
	;; [unrolled: 1-line block ×4, first 2 shown]
	s_waitcnt lgkmcnt(0)
	v_add_u32_e32 v49, v1, v19
	v_add3_u32 v48, v23, v21, v2
	v_add3_u32 v47, v26, v24, v3
	v_add3_u32 v10, v10, v46, v4
	v_lshlrev_b32_e32 v52, 2, v49
	v_lshlrev_b32_e32 v51, 2, v48
	;; [unrolled: 1-line block ×4, first 2 shown]
                                        ; implicit-def: $vgpr2
                                        ; implicit-def: $vgpr1
                                        ; implicit-def: $vgpr4
                                        ; implicit-def: $vgpr3
                                        ; implicit-def: $vgpr19_vgpr20
                                        ; implicit-def: $vgpr21_vgpr22
                                        ; implicit-def: $vgpr23_vgpr24
                                        ; implicit-def: $vgpr25_vgpr26
	s_cbranch_scc1 .LBB74_18
; %bb.34:                               ;   in Loop: Header=BB74_19 Depth=1
	v_lshl_add_u32 v19, v49, 2, v52
	s_barrier
	ds_write_b32 v52, v45
	ds_write_b32 v51, v44
	;; [unrolled: 1-line block ×4, first 2 shown]
	s_waitcnt lgkmcnt(0)
	s_barrier
	ds_read_b32 v3, v34
	ds_read_b32 v4, v35
	;; [unrolled: 1-line block ×4, first 2 shown]
	s_waitcnt lgkmcnt(0)
	s_barrier
	ds_write_b64 v19, v[17:18]
	v_lshl_add_u32 v19, v48, 2, v51
	ds_write_b64 v19, v[15:16]
	v_lshl_add_u32 v19, v47, 2, v50
	;; [unrolled: 2-line block ×3, first 2 shown]
	ds_write_b64 v19, v[11:12]
	s_waitcnt lgkmcnt(0)
	s_barrier
	ds_read_b64 v[19:20], v38
	ds_read_b64 v[21:22], v39
	;; [unrolled: 1-line block ×4, first 2 shown]
	s_add_i32 s41, s37, -8
	s_mov_b64 s[26:27], 0
	s_waitcnt lgkmcnt(0)
	s_barrier
	s_branch .LBB74_18
.LBB74_35:
	v_add_u32_e32 v1, v28, v30
	s_barrier
	ds_write_b32 v52, v45
	ds_write_b32 v51, v44
	;; [unrolled: 1-line block ×4, first 2 shown]
	s_waitcnt lgkmcnt(0)
	s_barrier
	ds_read2st64_b32 v[19:20], v1 offset1:4
	ds_read2st64_b32 v[21:22], v1 offset0:8 offset1:12
	v_lshl_add_u32 v1, v49, 2, v52
	s_waitcnt lgkmcnt(0)
	s_barrier
	ds_write_b64 v1, v[17:18]
	v_lshl_add_u32 v1, v48, 2, v51
	ds_write_b64 v1, v[15:16]
	v_lshl_add_u32 v1, v47, 2, v50
	;; [unrolled: 2-line block ×3, first 2 shown]
	ds_write_b64 v1, v[11:12]
	v_lshlrev_b32_e32 v11, 3, v0
	s_waitcnt lgkmcnt(0)
	s_barrier
	ds_read2st64_b64 v[5:8], v11 offset1:4
	ds_read2st64_b64 v[1:4], v11 offset0:8 offset1:12
	s_add_u32 s0, s38, s34
	s_addc_u32 s1, s39, s35
	v_mov_b32_e32 v10, s1
	v_add_co_u32_e64 v9, s[0:1], s0, v27
	v_xor_b32_e32 v15, 0x7fffffff, v19
	v_xor_b32_e32 v14, 0x7fffffff, v20
	;; [unrolled: 1-line block ×4, first 2 shown]
	s_andn2_b64 vcc, exec, s[30:31]
	v_addc_co_u32_e64 v10, s[0:1], 0, v10, s[0:1]
	s_cbranch_vccnz .LBB74_37
; %bb.36:
	s_lshl_b64 s[0:1], s[28:29], 3
	s_add_u32 s0, s42, s0
	s_addc_u32 s1, s43, s1
	v_mov_b32_e32 v16, s1
	v_add_co_u32_e32 v17, vcc, s0, v11
	v_addc_co_u32_e32 v18, vcc, 0, v16, vcc
	v_add_co_u32_e32 v16, vcc, 0x1000, v17
	global_store_dword v[9:10], v15, off
	global_store_dword v[9:10], v14, off offset:1024
	global_store_dword v[9:10], v13, off offset:2048
	;; [unrolled: 1-line block ×3, first 2 shown]
	s_waitcnt lgkmcnt(1)
	global_store_dwordx2 v11, v[5:6], s[0:1]
	global_store_dwordx2 v11, v[7:8], s[0:1] offset:2048
	v_addc_co_u32_e32 v17, vcc, 0, v18, vcc
	s_mov_b64 s[6:7], -1
	s_waitcnt lgkmcnt(0)
	global_store_dwordx2 v[16:17], v[1:2], off
	s_cbranch_execz .LBB74_38
	s_branch .LBB74_51
.LBB74_37:
	s_mov_b64 s[6:7], 0
.LBB74_38:
	v_cmp_gt_u32_e32 vcc, s33, v0
	s_and_saveexec_b64 s[0:1], vcc
	s_cbranch_execz .LBB74_40
; %bb.39:
	global_store_dword v[9:10], v15, off
.LBB74_40:
	s_or_b64 exec, exec, s[0:1]
	v_or_b32_e32 v15, 0x100, v0
	v_cmp_gt_u32_e64 s[0:1], s33, v15
	s_and_saveexec_b64 s[2:3], s[0:1]
	s_cbranch_execz .LBB74_42
; %bb.41:
	global_store_dword v[9:10], v14, off offset:1024
.LBB74_42:
	s_or_b64 exec, exec, s[2:3]
	v_or_b32_e32 v14, 0x200, v0
	v_cmp_gt_u32_e64 s[2:3], s33, v14
	s_and_saveexec_b64 s[4:5], s[2:3]
	s_cbranch_execz .LBB74_44
; %bb.43:
	global_store_dword v[9:10], v13, off offset:2048
.LBB74_44:
	s_or_b64 exec, exec, s[4:5]
	v_or_b32_e32 v0, 0x300, v0
	v_cmp_gt_u32_e64 s[6:7], s33, v0
	s_and_saveexec_b64 s[4:5], s[6:7]
	s_cbranch_execz .LBB74_46
; %bb.45:
	global_store_dword v[9:10], v12, off offset:3072
.LBB74_46:
	s_or_b64 exec, exec, s[4:5]
	s_lshl_b64 s[4:5], s[28:29], 3
	s_add_u32 s4, s42, s4
	s_addc_u32 s5, s43, s5
	v_mov_b32_e32 v0, s5
	v_add_co_u32_e64 v9, s[4:5], s4, v11
	v_addc_co_u32_e64 v10, s[4:5], 0, v0, s[4:5]
	s_and_saveexec_b64 s[4:5], vcc
	s_cbranch_execnz .LBB74_57
; %bb.47:
	s_or_b64 exec, exec, s[4:5]
	s_and_saveexec_b64 s[4:5], s[0:1]
	s_cbranch_execnz .LBB74_58
.LBB74_48:
	s_or_b64 exec, exec, s[4:5]
	s_and_saveexec_b64 s[0:1], s[2:3]
	s_cbranch_execz .LBB74_50
.LBB74_49:
	s_waitcnt lgkmcnt(1)
	v_add_co_u32_e32 v5, vcc, 0x1000, v9
	v_addc_co_u32_e32 v6, vcc, 0, v10, vcc
	s_waitcnt lgkmcnt(0)
	global_store_dwordx2 v[5:6], v[1:2], off
.LBB74_50:
	s_or_b64 exec, exec, s[0:1]
.LBB74_51:
	s_and_saveexec_b64 s[0:1], s[6:7]
	s_cbranch_execnz .LBB74_53
; %bb.52:
	s_endpgm
.LBB74_53:
	s_lshl_b64 s[0:1], s[28:29], 3
	s_add_u32 s0, s42, s0
	s_addc_u32 s1, s43, s1
	v_mov_b32_e32 v0, s1
	s_waitcnt lgkmcnt(0)
	v_add_co_u32_e32 v1, vcc, s0, v11
	v_addc_co_u32_e32 v2, vcc, 0, v0, vcc
	v_add_co_u32_e32 v0, vcc, 0x1000, v1
	v_addc_co_u32_e32 v1, vcc, 0, v2, vcc
	global_store_dwordx2 v[0:1], v[3:4], off offset:2048
	s_endpgm
.LBB74_54:
	global_load_dwordx2 v[19:20], v[7:8], off
	s_or_b64 exec, exec, s[8:9]
                                        ; implicit-def: $vgpr21_vgpr22
	s_and_saveexec_b64 s[8:9], s[0:1]
	s_cbranch_execz .LBB74_13
.LBB74_55:
	global_load_dwordx2 v[21:22], v[7:8], off offset:512
	s_or_b64 exec, exec, s[8:9]
                                        ; implicit-def: $vgpr23_vgpr24
	s_and_saveexec_b64 s[0:1], s[2:3]
	s_cbranch_execz .LBB74_14
.LBB74_56:
	global_load_dwordx2 v[23:24], v[7:8], off offset:1024
	s_or_b64 exec, exec, s[0:1]
                                        ; implicit-def: $vgpr25_vgpr26
	s_and_saveexec_b64 s[0:1], s[6:7]
	s_cbranch_execnz .LBB74_15
	s_branch .LBB74_16
.LBB74_57:
	s_waitcnt lgkmcnt(1)
	global_store_dwordx2 v[9:10], v[5:6], off
	s_or_b64 exec, exec, s[4:5]
	s_and_saveexec_b64 s[4:5], s[0:1]
	s_cbranch_execz .LBB74_48
.LBB74_58:
	s_waitcnt lgkmcnt(1)
	global_store_dwordx2 v[9:10], v[7:8], off offset:2048
	s_or_b64 exec, exec, s[4:5]
	s_and_saveexec_b64 s[0:1], s[2:3]
	s_cbranch_execnz .LBB74_49
	s_branch .LBB74_50
	.section	.rodata,"a",@progbits
	.p2align	6, 0x0
	.amdhsa_kernel _ZN7rocprim17ROCPRIM_304000_NS6detail28radix_sort_block_sort_kernelINS1_36wrapped_radix_sort_block_sort_configINS0_13kernel_configILj256ELj4ELj4294967295EEEiN2at4cuda3cub6detail10OpaqueTypeILi8EEEEELb1EPKiPiPKSB_PSB_NS0_19identity_decomposerEEEvT1_T2_T3_T4_jT5_jj
		.amdhsa_group_segment_fixed_size 8192
		.amdhsa_private_segment_fixed_size 0
		.amdhsa_kernarg_size 304
		.amdhsa_user_sgpr_count 6
		.amdhsa_user_sgpr_private_segment_buffer 1
		.amdhsa_user_sgpr_dispatch_ptr 0
		.amdhsa_user_sgpr_queue_ptr 0
		.amdhsa_user_sgpr_kernarg_segment_ptr 1
		.amdhsa_user_sgpr_dispatch_id 0
		.amdhsa_user_sgpr_flat_scratch_init 0
		.amdhsa_user_sgpr_private_segment_size 0
		.amdhsa_uses_dynamic_stack 0
		.amdhsa_system_sgpr_private_segment_wavefront_offset 0
		.amdhsa_system_sgpr_workgroup_id_x 1
		.amdhsa_system_sgpr_workgroup_id_y 0
		.amdhsa_system_sgpr_workgroup_id_z 0
		.amdhsa_system_sgpr_workgroup_info 0
		.amdhsa_system_vgpr_workitem_id 2
		.amdhsa_next_free_vgpr 53
		.amdhsa_next_free_sgpr 61
		.amdhsa_reserve_vcc 1
		.amdhsa_reserve_flat_scratch 0
		.amdhsa_float_round_mode_32 0
		.amdhsa_float_round_mode_16_64 0
		.amdhsa_float_denorm_mode_32 3
		.amdhsa_float_denorm_mode_16_64 3
		.amdhsa_dx10_clamp 1
		.amdhsa_ieee_mode 1
		.amdhsa_fp16_overflow 0
		.amdhsa_exception_fp_ieee_invalid_op 0
		.amdhsa_exception_fp_denorm_src 0
		.amdhsa_exception_fp_ieee_div_zero 0
		.amdhsa_exception_fp_ieee_overflow 0
		.amdhsa_exception_fp_ieee_underflow 0
		.amdhsa_exception_fp_ieee_inexact 0
		.amdhsa_exception_int_div_zero 0
	.end_amdhsa_kernel
	.section	.text._ZN7rocprim17ROCPRIM_304000_NS6detail28radix_sort_block_sort_kernelINS1_36wrapped_radix_sort_block_sort_configINS0_13kernel_configILj256ELj4ELj4294967295EEEiN2at4cuda3cub6detail10OpaqueTypeILi8EEEEELb1EPKiPiPKSB_PSB_NS0_19identity_decomposerEEEvT1_T2_T3_T4_jT5_jj,"axG",@progbits,_ZN7rocprim17ROCPRIM_304000_NS6detail28radix_sort_block_sort_kernelINS1_36wrapped_radix_sort_block_sort_configINS0_13kernel_configILj256ELj4ELj4294967295EEEiN2at4cuda3cub6detail10OpaqueTypeILi8EEEEELb1EPKiPiPKSB_PSB_NS0_19identity_decomposerEEEvT1_T2_T3_T4_jT5_jj,comdat
.Lfunc_end74:
	.size	_ZN7rocprim17ROCPRIM_304000_NS6detail28radix_sort_block_sort_kernelINS1_36wrapped_radix_sort_block_sort_configINS0_13kernel_configILj256ELj4ELj4294967295EEEiN2at4cuda3cub6detail10OpaqueTypeILi8EEEEELb1EPKiPiPKSB_PSB_NS0_19identity_decomposerEEEvT1_T2_T3_T4_jT5_jj, .Lfunc_end74-_ZN7rocprim17ROCPRIM_304000_NS6detail28radix_sort_block_sort_kernelINS1_36wrapped_radix_sort_block_sort_configINS0_13kernel_configILj256ELj4ELj4294967295EEEiN2at4cuda3cub6detail10OpaqueTypeILi8EEEEELb1EPKiPiPKSB_PSB_NS0_19identity_decomposerEEEvT1_T2_T3_T4_jT5_jj
                                        ; -- End function
	.set _ZN7rocprim17ROCPRIM_304000_NS6detail28radix_sort_block_sort_kernelINS1_36wrapped_radix_sort_block_sort_configINS0_13kernel_configILj256ELj4ELj4294967295EEEiN2at4cuda3cub6detail10OpaqueTypeILi8EEEEELb1EPKiPiPKSB_PSB_NS0_19identity_decomposerEEEvT1_T2_T3_T4_jT5_jj.num_vgpr, 53
	.set _ZN7rocprim17ROCPRIM_304000_NS6detail28radix_sort_block_sort_kernelINS1_36wrapped_radix_sort_block_sort_configINS0_13kernel_configILj256ELj4ELj4294967295EEEiN2at4cuda3cub6detail10OpaqueTypeILi8EEEEELb1EPKiPiPKSB_PSB_NS0_19identity_decomposerEEEvT1_T2_T3_T4_jT5_jj.num_agpr, 0
	.set _ZN7rocprim17ROCPRIM_304000_NS6detail28radix_sort_block_sort_kernelINS1_36wrapped_radix_sort_block_sort_configINS0_13kernel_configILj256ELj4ELj4294967295EEEiN2at4cuda3cub6detail10OpaqueTypeILi8EEEEELb1EPKiPiPKSB_PSB_NS0_19identity_decomposerEEEvT1_T2_T3_T4_jT5_jj.numbered_sgpr, 46
	.set _ZN7rocprim17ROCPRIM_304000_NS6detail28radix_sort_block_sort_kernelINS1_36wrapped_radix_sort_block_sort_configINS0_13kernel_configILj256ELj4ELj4294967295EEEiN2at4cuda3cub6detail10OpaqueTypeILi8EEEEELb1EPKiPiPKSB_PSB_NS0_19identity_decomposerEEEvT1_T2_T3_T4_jT5_jj.num_named_barrier, 0
	.set _ZN7rocprim17ROCPRIM_304000_NS6detail28radix_sort_block_sort_kernelINS1_36wrapped_radix_sort_block_sort_configINS0_13kernel_configILj256ELj4ELj4294967295EEEiN2at4cuda3cub6detail10OpaqueTypeILi8EEEEELb1EPKiPiPKSB_PSB_NS0_19identity_decomposerEEEvT1_T2_T3_T4_jT5_jj.private_seg_size, 0
	.set _ZN7rocprim17ROCPRIM_304000_NS6detail28radix_sort_block_sort_kernelINS1_36wrapped_radix_sort_block_sort_configINS0_13kernel_configILj256ELj4ELj4294967295EEEiN2at4cuda3cub6detail10OpaqueTypeILi8EEEEELb1EPKiPiPKSB_PSB_NS0_19identity_decomposerEEEvT1_T2_T3_T4_jT5_jj.uses_vcc, 1
	.set _ZN7rocprim17ROCPRIM_304000_NS6detail28radix_sort_block_sort_kernelINS1_36wrapped_radix_sort_block_sort_configINS0_13kernel_configILj256ELj4ELj4294967295EEEiN2at4cuda3cub6detail10OpaqueTypeILi8EEEEELb1EPKiPiPKSB_PSB_NS0_19identity_decomposerEEEvT1_T2_T3_T4_jT5_jj.uses_flat_scratch, 0
	.set _ZN7rocprim17ROCPRIM_304000_NS6detail28radix_sort_block_sort_kernelINS1_36wrapped_radix_sort_block_sort_configINS0_13kernel_configILj256ELj4ELj4294967295EEEiN2at4cuda3cub6detail10OpaqueTypeILi8EEEEELb1EPKiPiPKSB_PSB_NS0_19identity_decomposerEEEvT1_T2_T3_T4_jT5_jj.has_dyn_sized_stack, 0
	.set _ZN7rocprim17ROCPRIM_304000_NS6detail28radix_sort_block_sort_kernelINS1_36wrapped_radix_sort_block_sort_configINS0_13kernel_configILj256ELj4ELj4294967295EEEiN2at4cuda3cub6detail10OpaqueTypeILi8EEEEELb1EPKiPiPKSB_PSB_NS0_19identity_decomposerEEEvT1_T2_T3_T4_jT5_jj.has_recursion, 0
	.set _ZN7rocprim17ROCPRIM_304000_NS6detail28radix_sort_block_sort_kernelINS1_36wrapped_radix_sort_block_sort_configINS0_13kernel_configILj256ELj4ELj4294967295EEEiN2at4cuda3cub6detail10OpaqueTypeILi8EEEEELb1EPKiPiPKSB_PSB_NS0_19identity_decomposerEEEvT1_T2_T3_T4_jT5_jj.has_indirect_call, 0
	.section	.AMDGPU.csdata,"",@progbits
; Kernel info:
; codeLenInByte = 3844
; TotalNumSgprs: 50
; NumVgprs: 53
; ScratchSize: 0
; MemoryBound: 0
; FloatMode: 240
; IeeeMode: 1
; LDSByteSize: 8192 bytes/workgroup (compile time only)
; SGPRBlocks: 8
; VGPRBlocks: 13
; NumSGPRsForWavesPerEU: 65
; NumVGPRsForWavesPerEU: 53
; Occupancy: 4
; WaveLimiterHint : 1
; COMPUTE_PGM_RSRC2:SCRATCH_EN: 0
; COMPUTE_PGM_RSRC2:USER_SGPR: 6
; COMPUTE_PGM_RSRC2:TRAP_HANDLER: 0
; COMPUTE_PGM_RSRC2:TGID_X_EN: 1
; COMPUTE_PGM_RSRC2:TGID_Y_EN: 0
; COMPUTE_PGM_RSRC2:TGID_Z_EN: 0
; COMPUTE_PGM_RSRC2:TIDIG_COMP_CNT: 2
	.section	.text._ZN7rocprim17ROCPRIM_304000_NS6detail39device_merge_sort_compile_time_verifierINS1_36wrapped_merge_sort_block_sort_configINS1_28merge_sort_block_sort_configILj256ELj4ELNS0_20block_sort_algorithmE0EEEiN2at4cuda3cub6detail10OpaqueTypeILi8EEEEENS1_37wrapped_merge_sort_block_merge_configINS0_14default_configEiSC_EEEEvv,"axG",@progbits,_ZN7rocprim17ROCPRIM_304000_NS6detail39device_merge_sort_compile_time_verifierINS1_36wrapped_merge_sort_block_sort_configINS1_28merge_sort_block_sort_configILj256ELj4ELNS0_20block_sort_algorithmE0EEEiN2at4cuda3cub6detail10OpaqueTypeILi8EEEEENS1_37wrapped_merge_sort_block_merge_configINS0_14default_configEiSC_EEEEvv,comdat
	.protected	_ZN7rocprim17ROCPRIM_304000_NS6detail39device_merge_sort_compile_time_verifierINS1_36wrapped_merge_sort_block_sort_configINS1_28merge_sort_block_sort_configILj256ELj4ELNS0_20block_sort_algorithmE0EEEiN2at4cuda3cub6detail10OpaqueTypeILi8EEEEENS1_37wrapped_merge_sort_block_merge_configINS0_14default_configEiSC_EEEEvv ; -- Begin function _ZN7rocprim17ROCPRIM_304000_NS6detail39device_merge_sort_compile_time_verifierINS1_36wrapped_merge_sort_block_sort_configINS1_28merge_sort_block_sort_configILj256ELj4ELNS0_20block_sort_algorithmE0EEEiN2at4cuda3cub6detail10OpaqueTypeILi8EEEEENS1_37wrapped_merge_sort_block_merge_configINS0_14default_configEiSC_EEEEvv
	.globl	_ZN7rocprim17ROCPRIM_304000_NS6detail39device_merge_sort_compile_time_verifierINS1_36wrapped_merge_sort_block_sort_configINS1_28merge_sort_block_sort_configILj256ELj4ELNS0_20block_sort_algorithmE0EEEiN2at4cuda3cub6detail10OpaqueTypeILi8EEEEENS1_37wrapped_merge_sort_block_merge_configINS0_14default_configEiSC_EEEEvv
	.p2align	8
	.type	_ZN7rocprim17ROCPRIM_304000_NS6detail39device_merge_sort_compile_time_verifierINS1_36wrapped_merge_sort_block_sort_configINS1_28merge_sort_block_sort_configILj256ELj4ELNS0_20block_sort_algorithmE0EEEiN2at4cuda3cub6detail10OpaqueTypeILi8EEEEENS1_37wrapped_merge_sort_block_merge_configINS0_14default_configEiSC_EEEEvv,@function
_ZN7rocprim17ROCPRIM_304000_NS6detail39device_merge_sort_compile_time_verifierINS1_36wrapped_merge_sort_block_sort_configINS1_28merge_sort_block_sort_configILj256ELj4ELNS0_20block_sort_algorithmE0EEEiN2at4cuda3cub6detail10OpaqueTypeILi8EEEEENS1_37wrapped_merge_sort_block_merge_configINS0_14default_configEiSC_EEEEvv: ; @_ZN7rocprim17ROCPRIM_304000_NS6detail39device_merge_sort_compile_time_verifierINS1_36wrapped_merge_sort_block_sort_configINS1_28merge_sort_block_sort_configILj256ELj4ELNS0_20block_sort_algorithmE0EEEiN2at4cuda3cub6detail10OpaqueTypeILi8EEEEENS1_37wrapped_merge_sort_block_merge_configINS0_14default_configEiSC_EEEEvv
; %bb.0:
	s_endpgm
	.section	.rodata,"a",@progbits
	.p2align	6, 0x0
	.amdhsa_kernel _ZN7rocprim17ROCPRIM_304000_NS6detail39device_merge_sort_compile_time_verifierINS1_36wrapped_merge_sort_block_sort_configINS1_28merge_sort_block_sort_configILj256ELj4ELNS0_20block_sort_algorithmE0EEEiN2at4cuda3cub6detail10OpaqueTypeILi8EEEEENS1_37wrapped_merge_sort_block_merge_configINS0_14default_configEiSC_EEEEvv
		.amdhsa_group_segment_fixed_size 0
		.amdhsa_private_segment_fixed_size 0
		.amdhsa_kernarg_size 0
		.amdhsa_user_sgpr_count 4
		.amdhsa_user_sgpr_private_segment_buffer 1
		.amdhsa_user_sgpr_dispatch_ptr 0
		.amdhsa_user_sgpr_queue_ptr 0
		.amdhsa_user_sgpr_kernarg_segment_ptr 0
		.amdhsa_user_sgpr_dispatch_id 0
		.amdhsa_user_sgpr_flat_scratch_init 0
		.amdhsa_user_sgpr_private_segment_size 0
		.amdhsa_uses_dynamic_stack 0
		.amdhsa_system_sgpr_private_segment_wavefront_offset 0
		.amdhsa_system_sgpr_workgroup_id_x 1
		.amdhsa_system_sgpr_workgroup_id_y 0
		.amdhsa_system_sgpr_workgroup_id_z 0
		.amdhsa_system_sgpr_workgroup_info 0
		.amdhsa_system_vgpr_workitem_id 0
		.amdhsa_next_free_vgpr 1
		.amdhsa_next_free_sgpr 0
		.amdhsa_reserve_vcc 0
		.amdhsa_reserve_flat_scratch 0
		.amdhsa_float_round_mode_32 0
		.amdhsa_float_round_mode_16_64 0
		.amdhsa_float_denorm_mode_32 3
		.amdhsa_float_denorm_mode_16_64 3
		.amdhsa_dx10_clamp 1
		.amdhsa_ieee_mode 1
		.amdhsa_fp16_overflow 0
		.amdhsa_exception_fp_ieee_invalid_op 0
		.amdhsa_exception_fp_denorm_src 0
		.amdhsa_exception_fp_ieee_div_zero 0
		.amdhsa_exception_fp_ieee_overflow 0
		.amdhsa_exception_fp_ieee_underflow 0
		.amdhsa_exception_fp_ieee_inexact 0
		.amdhsa_exception_int_div_zero 0
	.end_amdhsa_kernel
	.section	.text._ZN7rocprim17ROCPRIM_304000_NS6detail39device_merge_sort_compile_time_verifierINS1_36wrapped_merge_sort_block_sort_configINS1_28merge_sort_block_sort_configILj256ELj4ELNS0_20block_sort_algorithmE0EEEiN2at4cuda3cub6detail10OpaqueTypeILi8EEEEENS1_37wrapped_merge_sort_block_merge_configINS0_14default_configEiSC_EEEEvv,"axG",@progbits,_ZN7rocprim17ROCPRIM_304000_NS6detail39device_merge_sort_compile_time_verifierINS1_36wrapped_merge_sort_block_sort_configINS1_28merge_sort_block_sort_configILj256ELj4ELNS0_20block_sort_algorithmE0EEEiN2at4cuda3cub6detail10OpaqueTypeILi8EEEEENS1_37wrapped_merge_sort_block_merge_configINS0_14default_configEiSC_EEEEvv,comdat
.Lfunc_end75:
	.size	_ZN7rocprim17ROCPRIM_304000_NS6detail39device_merge_sort_compile_time_verifierINS1_36wrapped_merge_sort_block_sort_configINS1_28merge_sort_block_sort_configILj256ELj4ELNS0_20block_sort_algorithmE0EEEiN2at4cuda3cub6detail10OpaqueTypeILi8EEEEENS1_37wrapped_merge_sort_block_merge_configINS0_14default_configEiSC_EEEEvv, .Lfunc_end75-_ZN7rocprim17ROCPRIM_304000_NS6detail39device_merge_sort_compile_time_verifierINS1_36wrapped_merge_sort_block_sort_configINS1_28merge_sort_block_sort_configILj256ELj4ELNS0_20block_sort_algorithmE0EEEiN2at4cuda3cub6detail10OpaqueTypeILi8EEEEENS1_37wrapped_merge_sort_block_merge_configINS0_14default_configEiSC_EEEEvv
                                        ; -- End function
	.set _ZN7rocprim17ROCPRIM_304000_NS6detail39device_merge_sort_compile_time_verifierINS1_36wrapped_merge_sort_block_sort_configINS1_28merge_sort_block_sort_configILj256ELj4ELNS0_20block_sort_algorithmE0EEEiN2at4cuda3cub6detail10OpaqueTypeILi8EEEEENS1_37wrapped_merge_sort_block_merge_configINS0_14default_configEiSC_EEEEvv.num_vgpr, 0
	.set _ZN7rocprim17ROCPRIM_304000_NS6detail39device_merge_sort_compile_time_verifierINS1_36wrapped_merge_sort_block_sort_configINS1_28merge_sort_block_sort_configILj256ELj4ELNS0_20block_sort_algorithmE0EEEiN2at4cuda3cub6detail10OpaqueTypeILi8EEEEENS1_37wrapped_merge_sort_block_merge_configINS0_14default_configEiSC_EEEEvv.num_agpr, 0
	.set _ZN7rocprim17ROCPRIM_304000_NS6detail39device_merge_sort_compile_time_verifierINS1_36wrapped_merge_sort_block_sort_configINS1_28merge_sort_block_sort_configILj256ELj4ELNS0_20block_sort_algorithmE0EEEiN2at4cuda3cub6detail10OpaqueTypeILi8EEEEENS1_37wrapped_merge_sort_block_merge_configINS0_14default_configEiSC_EEEEvv.numbered_sgpr, 0
	.set _ZN7rocprim17ROCPRIM_304000_NS6detail39device_merge_sort_compile_time_verifierINS1_36wrapped_merge_sort_block_sort_configINS1_28merge_sort_block_sort_configILj256ELj4ELNS0_20block_sort_algorithmE0EEEiN2at4cuda3cub6detail10OpaqueTypeILi8EEEEENS1_37wrapped_merge_sort_block_merge_configINS0_14default_configEiSC_EEEEvv.num_named_barrier, 0
	.set _ZN7rocprim17ROCPRIM_304000_NS6detail39device_merge_sort_compile_time_verifierINS1_36wrapped_merge_sort_block_sort_configINS1_28merge_sort_block_sort_configILj256ELj4ELNS0_20block_sort_algorithmE0EEEiN2at4cuda3cub6detail10OpaqueTypeILi8EEEEENS1_37wrapped_merge_sort_block_merge_configINS0_14default_configEiSC_EEEEvv.private_seg_size, 0
	.set _ZN7rocprim17ROCPRIM_304000_NS6detail39device_merge_sort_compile_time_verifierINS1_36wrapped_merge_sort_block_sort_configINS1_28merge_sort_block_sort_configILj256ELj4ELNS0_20block_sort_algorithmE0EEEiN2at4cuda3cub6detail10OpaqueTypeILi8EEEEENS1_37wrapped_merge_sort_block_merge_configINS0_14default_configEiSC_EEEEvv.uses_vcc, 0
	.set _ZN7rocprim17ROCPRIM_304000_NS6detail39device_merge_sort_compile_time_verifierINS1_36wrapped_merge_sort_block_sort_configINS1_28merge_sort_block_sort_configILj256ELj4ELNS0_20block_sort_algorithmE0EEEiN2at4cuda3cub6detail10OpaqueTypeILi8EEEEENS1_37wrapped_merge_sort_block_merge_configINS0_14default_configEiSC_EEEEvv.uses_flat_scratch, 0
	.set _ZN7rocprim17ROCPRIM_304000_NS6detail39device_merge_sort_compile_time_verifierINS1_36wrapped_merge_sort_block_sort_configINS1_28merge_sort_block_sort_configILj256ELj4ELNS0_20block_sort_algorithmE0EEEiN2at4cuda3cub6detail10OpaqueTypeILi8EEEEENS1_37wrapped_merge_sort_block_merge_configINS0_14default_configEiSC_EEEEvv.has_dyn_sized_stack, 0
	.set _ZN7rocprim17ROCPRIM_304000_NS6detail39device_merge_sort_compile_time_verifierINS1_36wrapped_merge_sort_block_sort_configINS1_28merge_sort_block_sort_configILj256ELj4ELNS0_20block_sort_algorithmE0EEEiN2at4cuda3cub6detail10OpaqueTypeILi8EEEEENS1_37wrapped_merge_sort_block_merge_configINS0_14default_configEiSC_EEEEvv.has_recursion, 0
	.set _ZN7rocprim17ROCPRIM_304000_NS6detail39device_merge_sort_compile_time_verifierINS1_36wrapped_merge_sort_block_sort_configINS1_28merge_sort_block_sort_configILj256ELj4ELNS0_20block_sort_algorithmE0EEEiN2at4cuda3cub6detail10OpaqueTypeILi8EEEEENS1_37wrapped_merge_sort_block_merge_configINS0_14default_configEiSC_EEEEvv.has_indirect_call, 0
	.section	.AMDGPU.csdata,"",@progbits
; Kernel info:
; codeLenInByte = 4
; TotalNumSgprs: 4
; NumVgprs: 0
; ScratchSize: 0
; MemoryBound: 0
; FloatMode: 240
; IeeeMode: 1
; LDSByteSize: 0 bytes/workgroup (compile time only)
; SGPRBlocks: 0
; VGPRBlocks: 0
; NumSGPRsForWavesPerEU: 4
; NumVGPRsForWavesPerEU: 1
; Occupancy: 10
; WaveLimiterHint : 0
; COMPUTE_PGM_RSRC2:SCRATCH_EN: 0
; COMPUTE_PGM_RSRC2:USER_SGPR: 4
; COMPUTE_PGM_RSRC2:TRAP_HANDLER: 0
; COMPUTE_PGM_RSRC2:TGID_X_EN: 1
; COMPUTE_PGM_RSRC2:TGID_Y_EN: 0
; COMPUTE_PGM_RSRC2:TGID_Z_EN: 0
; COMPUTE_PGM_RSRC2:TIDIG_COMP_CNT: 0
	.section	.text._ZN7rocprim17ROCPRIM_304000_NS6detail45device_block_merge_mergepath_partition_kernelINS1_37wrapped_merge_sort_block_merge_configINS0_14default_configEiN2at4cuda3cub6detail10OpaqueTypeILi8EEEEEPijNS1_19radix_merge_compareILb1ELb0EiNS0_19identity_decomposerEEEEEvT0_T1_jPSH_T2_SH_,"axG",@progbits,_ZN7rocprim17ROCPRIM_304000_NS6detail45device_block_merge_mergepath_partition_kernelINS1_37wrapped_merge_sort_block_merge_configINS0_14default_configEiN2at4cuda3cub6detail10OpaqueTypeILi8EEEEEPijNS1_19radix_merge_compareILb1ELb0EiNS0_19identity_decomposerEEEEEvT0_T1_jPSH_T2_SH_,comdat
	.protected	_ZN7rocprim17ROCPRIM_304000_NS6detail45device_block_merge_mergepath_partition_kernelINS1_37wrapped_merge_sort_block_merge_configINS0_14default_configEiN2at4cuda3cub6detail10OpaqueTypeILi8EEEEEPijNS1_19radix_merge_compareILb1ELb0EiNS0_19identity_decomposerEEEEEvT0_T1_jPSH_T2_SH_ ; -- Begin function _ZN7rocprim17ROCPRIM_304000_NS6detail45device_block_merge_mergepath_partition_kernelINS1_37wrapped_merge_sort_block_merge_configINS0_14default_configEiN2at4cuda3cub6detail10OpaqueTypeILi8EEEEEPijNS1_19radix_merge_compareILb1ELb0EiNS0_19identity_decomposerEEEEEvT0_T1_jPSH_T2_SH_
	.globl	_ZN7rocprim17ROCPRIM_304000_NS6detail45device_block_merge_mergepath_partition_kernelINS1_37wrapped_merge_sort_block_merge_configINS0_14default_configEiN2at4cuda3cub6detail10OpaqueTypeILi8EEEEEPijNS1_19radix_merge_compareILb1ELb0EiNS0_19identity_decomposerEEEEEvT0_T1_jPSH_T2_SH_
	.p2align	8
	.type	_ZN7rocprim17ROCPRIM_304000_NS6detail45device_block_merge_mergepath_partition_kernelINS1_37wrapped_merge_sort_block_merge_configINS0_14default_configEiN2at4cuda3cub6detail10OpaqueTypeILi8EEEEEPijNS1_19radix_merge_compareILb1ELb0EiNS0_19identity_decomposerEEEEEvT0_T1_jPSH_T2_SH_,@function
_ZN7rocprim17ROCPRIM_304000_NS6detail45device_block_merge_mergepath_partition_kernelINS1_37wrapped_merge_sort_block_merge_configINS0_14default_configEiN2at4cuda3cub6detail10OpaqueTypeILi8EEEEEPijNS1_19radix_merge_compareILb1ELb0EiNS0_19identity_decomposerEEEEEvT0_T1_jPSH_T2_SH_: ; @_ZN7rocprim17ROCPRIM_304000_NS6detail45device_block_merge_mergepath_partition_kernelINS1_37wrapped_merge_sort_block_merge_configINS0_14default_configEiN2at4cuda3cub6detail10OpaqueTypeILi8EEEEEPijNS1_19radix_merge_compareILb1ELb0EiNS0_19identity_decomposerEEEEEvT0_T1_jPSH_T2_SH_
; %bb.0:
	s_load_dwordx2 s[0:1], s[4:5], 0x8
	v_lshl_or_b32 v0, s6, 7, v0
	s_waitcnt lgkmcnt(0)
	v_cmp_gt_u32_e32 vcc, s1, v0
	s_and_saveexec_b64 s[2:3], vcc
	s_cbranch_execz .LBB76_6
; %bb.1:
	s_load_dword s1, s[4:5], 0x1c
	s_waitcnt lgkmcnt(0)
	s_lshr_b32 s2, s1, 8
	s_and_b32 s2, s2, 0xfffffe
	s_add_i32 s3, s2, -1
	s_sub_i32 s2, 0, s2
	v_and_b32_e32 v1, s2, v0
	v_lshlrev_b32_e32 v3, 9, v1
	v_min_u32_e32 v1, s0, v3
	v_add_u32_e32 v3, s1, v3
	v_min_u32_e32 v3, s0, v3
	v_add_u32_e32 v4, s1, v3
	v_and_b32_e32 v2, s3, v0
	v_min_u32_e32 v4, s0, v4
	v_lshlrev_b32_e32 v2, 9, v2
	v_sub_u32_e32 v5, v4, v1
	v_min_u32_e32 v6, v5, v2
	v_sub_u32_e32 v2, v3, v1
	v_sub_u32_e32 v4, v4, v3
	v_sub_u32_e64 v5, v6, v4 clamp
	v_min_u32_e32 v7, v6, v2
	v_cmp_lt_u32_e32 vcc, v5, v7
	s_and_saveexec_b64 s[0:1], vcc
	s_cbranch_execz .LBB76_5
; %bb.2:
	s_load_dwordx2 s[2:3], s[4:5], 0x0
	v_mov_b32_e32 v4, 0
	v_mov_b32_e32 v2, v4
	v_lshlrev_b64 v[8:9], 2, v[1:2]
	s_waitcnt lgkmcnt(0)
	v_mov_b32_e32 v11, s3
	v_add_co_u32_e32 v2, vcc, s2, v8
	v_addc_co_u32_e32 v8, vcc, v11, v9, vcc
	v_lshlrev_b64 v[9:10], 2, v[3:4]
	v_add_co_u32_e32 v9, vcc, s2, v9
	v_addc_co_u32_e32 v10, vcc, v11, v10, vcc
	s_mov_b64 s[2:3], 0
.LBB76_3:                               ; =>This Inner Loop Header: Depth=1
	v_add_u32_e32 v3, v7, v5
	v_lshrrev_b32_e32 v3, 1, v3
	v_lshlrev_b64 v[13:14], 2, v[3:4]
	v_mov_b32_e32 v12, v4
	v_xad_u32 v11, v3, -1, v6
	v_lshlrev_b64 v[11:12], 2, v[11:12]
	v_add_co_u32_e32 v13, vcc, v2, v13
	v_addc_co_u32_e32 v14, vcc, v8, v14, vcc
	v_add_co_u32_e32 v11, vcc, v9, v11
	v_addc_co_u32_e32 v12, vcc, v10, v12, vcc
	global_load_dword v15, v[13:14], off
	global_load_dword v16, v[11:12], off
	v_add_u32_e32 v11, 1, v3
	s_waitcnt vmcnt(0)
	v_cmp_gt_i32_e32 vcc, v16, v15
	v_cndmask_b32_e32 v7, v7, v3, vcc
	v_cndmask_b32_e32 v5, v11, v5, vcc
	v_cmp_ge_u32_e32 vcc, v5, v7
	s_or_b64 s[2:3], vcc, s[2:3]
	s_andn2_b64 exec, exec, s[2:3]
	s_cbranch_execnz .LBB76_3
; %bb.4:
	s_or_b64 exec, exec, s[2:3]
.LBB76_5:
	s_or_b64 exec, exec, s[0:1]
	s_load_dwordx2 s[0:1], s[4:5], 0x10
	v_add_u32_e32 v2, v5, v1
	v_mov_b32_e32 v1, 0
	v_lshlrev_b64 v[0:1], 2, v[0:1]
	s_waitcnt lgkmcnt(0)
	v_mov_b32_e32 v3, s1
	v_add_co_u32_e32 v0, vcc, s0, v0
	v_addc_co_u32_e32 v1, vcc, v3, v1, vcc
	global_store_dword v[0:1], v2, off
.LBB76_6:
	s_endpgm
	.section	.rodata,"a",@progbits
	.p2align	6, 0x0
	.amdhsa_kernel _ZN7rocprim17ROCPRIM_304000_NS6detail45device_block_merge_mergepath_partition_kernelINS1_37wrapped_merge_sort_block_merge_configINS0_14default_configEiN2at4cuda3cub6detail10OpaqueTypeILi8EEEEEPijNS1_19radix_merge_compareILb1ELb0EiNS0_19identity_decomposerEEEEEvT0_T1_jPSH_T2_SH_
		.amdhsa_group_segment_fixed_size 0
		.amdhsa_private_segment_fixed_size 0
		.amdhsa_kernarg_size 32
		.amdhsa_user_sgpr_count 6
		.amdhsa_user_sgpr_private_segment_buffer 1
		.amdhsa_user_sgpr_dispatch_ptr 0
		.amdhsa_user_sgpr_queue_ptr 0
		.amdhsa_user_sgpr_kernarg_segment_ptr 1
		.amdhsa_user_sgpr_dispatch_id 0
		.amdhsa_user_sgpr_flat_scratch_init 0
		.amdhsa_user_sgpr_private_segment_size 0
		.amdhsa_uses_dynamic_stack 0
		.amdhsa_system_sgpr_private_segment_wavefront_offset 0
		.amdhsa_system_sgpr_workgroup_id_x 1
		.amdhsa_system_sgpr_workgroup_id_y 0
		.amdhsa_system_sgpr_workgroup_id_z 0
		.amdhsa_system_sgpr_workgroup_info 0
		.amdhsa_system_vgpr_workitem_id 0
		.amdhsa_next_free_vgpr 17
		.amdhsa_next_free_sgpr 7
		.amdhsa_reserve_vcc 1
		.amdhsa_reserve_flat_scratch 0
		.amdhsa_float_round_mode_32 0
		.amdhsa_float_round_mode_16_64 0
		.amdhsa_float_denorm_mode_32 3
		.amdhsa_float_denorm_mode_16_64 3
		.amdhsa_dx10_clamp 1
		.amdhsa_ieee_mode 1
		.amdhsa_fp16_overflow 0
		.amdhsa_exception_fp_ieee_invalid_op 0
		.amdhsa_exception_fp_denorm_src 0
		.amdhsa_exception_fp_ieee_div_zero 0
		.amdhsa_exception_fp_ieee_overflow 0
		.amdhsa_exception_fp_ieee_underflow 0
		.amdhsa_exception_fp_ieee_inexact 0
		.amdhsa_exception_int_div_zero 0
	.end_amdhsa_kernel
	.section	.text._ZN7rocprim17ROCPRIM_304000_NS6detail45device_block_merge_mergepath_partition_kernelINS1_37wrapped_merge_sort_block_merge_configINS0_14default_configEiN2at4cuda3cub6detail10OpaqueTypeILi8EEEEEPijNS1_19radix_merge_compareILb1ELb0EiNS0_19identity_decomposerEEEEEvT0_T1_jPSH_T2_SH_,"axG",@progbits,_ZN7rocprim17ROCPRIM_304000_NS6detail45device_block_merge_mergepath_partition_kernelINS1_37wrapped_merge_sort_block_merge_configINS0_14default_configEiN2at4cuda3cub6detail10OpaqueTypeILi8EEEEEPijNS1_19radix_merge_compareILb1ELb0EiNS0_19identity_decomposerEEEEEvT0_T1_jPSH_T2_SH_,comdat
.Lfunc_end76:
	.size	_ZN7rocprim17ROCPRIM_304000_NS6detail45device_block_merge_mergepath_partition_kernelINS1_37wrapped_merge_sort_block_merge_configINS0_14default_configEiN2at4cuda3cub6detail10OpaqueTypeILi8EEEEEPijNS1_19radix_merge_compareILb1ELb0EiNS0_19identity_decomposerEEEEEvT0_T1_jPSH_T2_SH_, .Lfunc_end76-_ZN7rocprim17ROCPRIM_304000_NS6detail45device_block_merge_mergepath_partition_kernelINS1_37wrapped_merge_sort_block_merge_configINS0_14default_configEiN2at4cuda3cub6detail10OpaqueTypeILi8EEEEEPijNS1_19radix_merge_compareILb1ELb0EiNS0_19identity_decomposerEEEEEvT0_T1_jPSH_T2_SH_
                                        ; -- End function
	.set _ZN7rocprim17ROCPRIM_304000_NS6detail45device_block_merge_mergepath_partition_kernelINS1_37wrapped_merge_sort_block_merge_configINS0_14default_configEiN2at4cuda3cub6detail10OpaqueTypeILi8EEEEEPijNS1_19radix_merge_compareILb1ELb0EiNS0_19identity_decomposerEEEEEvT0_T1_jPSH_T2_SH_.num_vgpr, 17
	.set _ZN7rocprim17ROCPRIM_304000_NS6detail45device_block_merge_mergepath_partition_kernelINS1_37wrapped_merge_sort_block_merge_configINS0_14default_configEiN2at4cuda3cub6detail10OpaqueTypeILi8EEEEEPijNS1_19radix_merge_compareILb1ELb0EiNS0_19identity_decomposerEEEEEvT0_T1_jPSH_T2_SH_.num_agpr, 0
	.set _ZN7rocprim17ROCPRIM_304000_NS6detail45device_block_merge_mergepath_partition_kernelINS1_37wrapped_merge_sort_block_merge_configINS0_14default_configEiN2at4cuda3cub6detail10OpaqueTypeILi8EEEEEPijNS1_19radix_merge_compareILb1ELb0EiNS0_19identity_decomposerEEEEEvT0_T1_jPSH_T2_SH_.numbered_sgpr, 7
	.set _ZN7rocprim17ROCPRIM_304000_NS6detail45device_block_merge_mergepath_partition_kernelINS1_37wrapped_merge_sort_block_merge_configINS0_14default_configEiN2at4cuda3cub6detail10OpaqueTypeILi8EEEEEPijNS1_19radix_merge_compareILb1ELb0EiNS0_19identity_decomposerEEEEEvT0_T1_jPSH_T2_SH_.num_named_barrier, 0
	.set _ZN7rocprim17ROCPRIM_304000_NS6detail45device_block_merge_mergepath_partition_kernelINS1_37wrapped_merge_sort_block_merge_configINS0_14default_configEiN2at4cuda3cub6detail10OpaqueTypeILi8EEEEEPijNS1_19radix_merge_compareILb1ELb0EiNS0_19identity_decomposerEEEEEvT0_T1_jPSH_T2_SH_.private_seg_size, 0
	.set _ZN7rocprim17ROCPRIM_304000_NS6detail45device_block_merge_mergepath_partition_kernelINS1_37wrapped_merge_sort_block_merge_configINS0_14default_configEiN2at4cuda3cub6detail10OpaqueTypeILi8EEEEEPijNS1_19radix_merge_compareILb1ELb0EiNS0_19identity_decomposerEEEEEvT0_T1_jPSH_T2_SH_.uses_vcc, 1
	.set _ZN7rocprim17ROCPRIM_304000_NS6detail45device_block_merge_mergepath_partition_kernelINS1_37wrapped_merge_sort_block_merge_configINS0_14default_configEiN2at4cuda3cub6detail10OpaqueTypeILi8EEEEEPijNS1_19radix_merge_compareILb1ELb0EiNS0_19identity_decomposerEEEEEvT0_T1_jPSH_T2_SH_.uses_flat_scratch, 0
	.set _ZN7rocprim17ROCPRIM_304000_NS6detail45device_block_merge_mergepath_partition_kernelINS1_37wrapped_merge_sort_block_merge_configINS0_14default_configEiN2at4cuda3cub6detail10OpaqueTypeILi8EEEEEPijNS1_19radix_merge_compareILb1ELb0EiNS0_19identity_decomposerEEEEEvT0_T1_jPSH_T2_SH_.has_dyn_sized_stack, 0
	.set _ZN7rocprim17ROCPRIM_304000_NS6detail45device_block_merge_mergepath_partition_kernelINS1_37wrapped_merge_sort_block_merge_configINS0_14default_configEiN2at4cuda3cub6detail10OpaqueTypeILi8EEEEEPijNS1_19radix_merge_compareILb1ELb0EiNS0_19identity_decomposerEEEEEvT0_T1_jPSH_T2_SH_.has_recursion, 0
	.set _ZN7rocprim17ROCPRIM_304000_NS6detail45device_block_merge_mergepath_partition_kernelINS1_37wrapped_merge_sort_block_merge_configINS0_14default_configEiN2at4cuda3cub6detail10OpaqueTypeILi8EEEEEPijNS1_19radix_merge_compareILb1ELb0EiNS0_19identity_decomposerEEEEEvT0_T1_jPSH_T2_SH_.has_indirect_call, 0
	.section	.AMDGPU.csdata,"",@progbits
; Kernel info:
; codeLenInByte = 364
; TotalNumSgprs: 11
; NumVgprs: 17
; ScratchSize: 0
; MemoryBound: 0
; FloatMode: 240
; IeeeMode: 1
; LDSByteSize: 0 bytes/workgroup (compile time only)
; SGPRBlocks: 1
; VGPRBlocks: 4
; NumSGPRsForWavesPerEU: 11
; NumVGPRsForWavesPerEU: 17
; Occupancy: 10
; WaveLimiterHint : 0
; COMPUTE_PGM_RSRC2:SCRATCH_EN: 0
; COMPUTE_PGM_RSRC2:USER_SGPR: 6
; COMPUTE_PGM_RSRC2:TRAP_HANDLER: 0
; COMPUTE_PGM_RSRC2:TGID_X_EN: 1
; COMPUTE_PGM_RSRC2:TGID_Y_EN: 0
; COMPUTE_PGM_RSRC2:TGID_Z_EN: 0
; COMPUTE_PGM_RSRC2:TIDIG_COMP_CNT: 0
	.section	.text._ZN7rocprim17ROCPRIM_304000_NS6detail35device_block_merge_mergepath_kernelINS1_37wrapped_merge_sort_block_merge_configINS0_14default_configEiN2at4cuda3cub6detail10OpaqueTypeILi8EEEEEPiSC_PSA_SD_jNS1_19radix_merge_compareILb1ELb0EiNS0_19identity_decomposerEEEEEvT0_T1_T2_T3_T4_SL_jT5_PKSL_NS1_7vsmem_tE,"axG",@progbits,_ZN7rocprim17ROCPRIM_304000_NS6detail35device_block_merge_mergepath_kernelINS1_37wrapped_merge_sort_block_merge_configINS0_14default_configEiN2at4cuda3cub6detail10OpaqueTypeILi8EEEEEPiSC_PSA_SD_jNS1_19radix_merge_compareILb1ELb0EiNS0_19identity_decomposerEEEEEvT0_T1_T2_T3_T4_SL_jT5_PKSL_NS1_7vsmem_tE,comdat
	.protected	_ZN7rocprim17ROCPRIM_304000_NS6detail35device_block_merge_mergepath_kernelINS1_37wrapped_merge_sort_block_merge_configINS0_14default_configEiN2at4cuda3cub6detail10OpaqueTypeILi8EEEEEPiSC_PSA_SD_jNS1_19radix_merge_compareILb1ELb0EiNS0_19identity_decomposerEEEEEvT0_T1_T2_T3_T4_SL_jT5_PKSL_NS1_7vsmem_tE ; -- Begin function _ZN7rocprim17ROCPRIM_304000_NS6detail35device_block_merge_mergepath_kernelINS1_37wrapped_merge_sort_block_merge_configINS0_14default_configEiN2at4cuda3cub6detail10OpaqueTypeILi8EEEEEPiSC_PSA_SD_jNS1_19radix_merge_compareILb1ELb0EiNS0_19identity_decomposerEEEEEvT0_T1_T2_T3_T4_SL_jT5_PKSL_NS1_7vsmem_tE
	.globl	_ZN7rocprim17ROCPRIM_304000_NS6detail35device_block_merge_mergepath_kernelINS1_37wrapped_merge_sort_block_merge_configINS0_14default_configEiN2at4cuda3cub6detail10OpaqueTypeILi8EEEEEPiSC_PSA_SD_jNS1_19radix_merge_compareILb1ELb0EiNS0_19identity_decomposerEEEEEvT0_T1_T2_T3_T4_SL_jT5_PKSL_NS1_7vsmem_tE
	.p2align	8
	.type	_ZN7rocprim17ROCPRIM_304000_NS6detail35device_block_merge_mergepath_kernelINS1_37wrapped_merge_sort_block_merge_configINS0_14default_configEiN2at4cuda3cub6detail10OpaqueTypeILi8EEEEEPiSC_PSA_SD_jNS1_19radix_merge_compareILb1ELb0EiNS0_19identity_decomposerEEEEEvT0_T1_T2_T3_T4_SL_jT5_PKSL_NS1_7vsmem_tE,@function
_ZN7rocprim17ROCPRIM_304000_NS6detail35device_block_merge_mergepath_kernelINS1_37wrapped_merge_sort_block_merge_configINS0_14default_configEiN2at4cuda3cub6detail10OpaqueTypeILi8EEEEEPiSC_PSA_SD_jNS1_19radix_merge_compareILb1ELb0EiNS0_19identity_decomposerEEEEEvT0_T1_T2_T3_T4_SL_jT5_PKSL_NS1_7vsmem_tE: ; @_ZN7rocprim17ROCPRIM_304000_NS6detail35device_block_merge_mergepath_kernelINS1_37wrapped_merge_sort_block_merge_configINS0_14default_configEiN2at4cuda3cub6detail10OpaqueTypeILi8EEEEEPiSC_PSA_SD_jNS1_19radix_merge_compareILb1ELb0EiNS0_19identity_decomposerEEEEEvT0_T1_T2_T3_T4_SL_jT5_PKSL_NS1_7vsmem_tE
; %bb.0:
	s_load_dwordx2 s[26:27], s[4:5], 0x40
	s_load_dwordx4 s[16:19], s[4:5], 0x20
	s_add_u32 s2, s4, 64
	s_addc_u32 s3, s5, 0
	s_waitcnt lgkmcnt(0)
	s_mul_i32 s0, s27, s8
	s_add_i32 s0, s0, s7
	s_mul_i32 s0, s0, s26
	s_add_i32 s0, s0, s6
	s_cmp_ge_u32 s0, s18
	s_cbranch_scc1 .LBB77_69
; %bb.1:
	s_load_dwordx8 s[8:15], s[4:5], 0x0
	s_load_dwordx2 s[18:19], s[4:5], 0x30
	s_lshr_b32 s27, s16, 9
	s_cmp_lg_u32 s0, s27
	s_mov_b32 s1, 0
	s_cselect_b64 s[20:21], -1, 0
	s_lshl_b64 s[4:5], s[0:1], 2
	s_waitcnt lgkmcnt(0)
	s_add_u32 s4, s18, s4
	s_addc_u32 s5, s19, s5
	s_load_dwordx2 s[22:23], s[4:5], 0x0
	s_lshr_b32 s4, s17, 8
	s_and_b32 s4, s4, 0xfffffe
	s_sub_i32 s4, 0, s4
	s_and_b32 s5, s0, s4
	s_lshl_b32 s7, s5, 9
	s_lshl_b32 s18, s0, 9
	;; [unrolled: 1-line block ×3, first 2 shown]
	s_sub_i32 s19, s18, s7
	s_add_i32 s5, s5, s17
	s_add_i32 s19, s5, s19
	s_waitcnt lgkmcnt(0)
	s_sub_i32 s24, s19, s22
	s_sub_i32 s19, s19, s23
	;; [unrolled: 1-line block ×3, first 2 shown]
	s_min_u32 s24, s16, s24
	s_addk_i32 s19, 0x200
	s_or_b32 s4, s0, s4
	s_min_u32 s7, s16, s5
	s_add_i32 s5, s5, s17
	s_cmp_eq_u32 s4, -1
	s_cselect_b32 s4, s5, s19
	s_cselect_b32 s5, s7, s23
	s_min_u32 s4, s4, s16
	s_mov_b32 s23, s1
	s_sub_i32 s19, s5, s22
	s_sub_i32 s28, s4, s24
	s_lshl_b64 s[30:31], s[22:23], 2
	s_add_u32 s5, s8, s30
	s_mov_b32 s25, s1
	s_addc_u32 s7, s9, s31
	s_lshl_b64 s[30:31], s[24:25], 2
	s_add_u32 s4, s8, s30
	v_mov_b32_e32 v6, 0
	global_load_dword v1, v6, s[2:3] offset:14
	s_addc_u32 s8, s9, s31
	s_cmp_lt_u32 s6, s26
	s_cselect_b32 s1, 12, 18
	s_add_u32 s2, s2, s1
	s_addc_u32 s3, s3, 0
	global_load_ushort v2, v6, s[2:3]
	s_cmp_eq_u32 s0, s27
	v_cmp_gt_u32_e32 vcc, s19, v0
	v_lshlrev_b32_e32 v9, 2, v0
	s_waitcnt vmcnt(1)
	v_lshrrev_b32_e32 v3, 16, v1
	v_and_b32_e32 v1, 0xffff, v1
	v_mul_lo_u32 v1, v1, v3
	s_waitcnt vmcnt(0)
	v_mul_lo_u32 v7, v1, v2
	v_add_u32_e32 v5, v7, v0
	s_cbranch_scc1 .LBB77_3
; %bb.2:
	v_mov_b32_e32 v1, s7
	v_add_co_u32_e64 v3, s[0:1], s5, v9
	v_subrev_u32_e32 v2, s19, v0
	v_addc_co_u32_e64 v1, s[0:1], 0, v1, s[0:1]
	v_lshlrev_b32_e32 v2, 2, v2
	v_mov_b32_e32 v4, s8
	v_add_co_u32_e64 v8, s[0:1], s4, v2
	v_addc_co_u32_e64 v2, s[0:1], 0, v4, s[0:1]
	v_cndmask_b32_e32 v2, v2, v1, vcc
	v_cndmask_b32_e32 v1, v8, v3, vcc
	global_load_dword v1, v[1:2], off
	v_lshlrev_b64 v[2:3], 2, v[5:6]
	v_mov_b32_e32 v4, s7
	v_add_co_u32_e32 v8, vcc, s5, v2
	v_addc_co_u32_e32 v4, vcc, v4, v3, vcc
	v_subrev_co_u32_e32 v2, vcc, s19, v5
	v_mov_b32_e32 v3, v6
	v_lshlrev_b64 v[2:3], 2, v[2:3]
	v_mov_b32_e32 v10, s8
	v_add_co_u32_e64 v2, s[0:1], s4, v2
	v_addc_co_u32_e64 v3, s[0:1], v10, v3, s[0:1]
	v_cndmask_b32_e32 v3, v3, v4, vcc
	v_cndmask_b32_e32 v2, v2, v8, vcc
	v_add_u32_e32 v10, v5, v7
	v_mov_b32_e32 v11, v6
	global_load_dword v2, v[2:3], off
	v_lshlrev_b64 v[3:4], 2, v[10:11]
	v_mov_b32_e32 v8, s7
	v_add_co_u32_e32 v11, vcc, s5, v3
	v_addc_co_u32_e32 v8, vcc, v8, v4, vcc
	v_subrev_co_u32_e32 v3, vcc, s19, v10
	v_mov_b32_e32 v4, v6
	v_lshlrev_b64 v[3:4], 2, v[3:4]
	v_mov_b32_e32 v12, s8
	v_add_co_u32_e64 v3, s[0:1], s4, v3
	v_cndmask_b32_e32 v3, v3, v11, vcc
	v_add_u32_e32 v10, v10, v7
	v_mov_b32_e32 v11, v6
	v_addc_co_u32_e64 v4, s[0:1], v12, v4, s[0:1]
	v_lshlrev_b64 v[11:12], 2, v[10:11]
	v_cndmask_b32_e32 v4, v4, v8, vcc
	global_load_dword v3, v[3:4], off
	v_mov_b32_e32 v4, s7
	v_add_co_u32_e32 v8, vcc, s5, v11
	v_addc_co_u32_e32 v4, vcc, v4, v12, vcc
	v_subrev_co_u32_e32 v10, vcc, s19, v10
	v_mov_b32_e32 v11, v6
	v_lshlrev_b64 v[10:11], 2, v[10:11]
	v_mov_b32_e32 v6, s8
	v_add_co_u32_e64 v10, s[0:1], s4, v10
	v_addc_co_u32_e64 v6, s[0:1], v6, v11, s[0:1]
	v_cndmask_b32_e32 v11, v6, v4, vcc
	v_cndmask_b32_e32 v10, v10, v8, vcc
	global_load_dword v4, v[10:11], off
	s_add_i32 s17, s28, s19
	s_cbranch_execz .LBB77_4
	s_branch .LBB77_13
.LBB77_3:
                                        ; implicit-def: $vgpr1_vgpr2_vgpr3_vgpr4
                                        ; implicit-def: $sgpr17
.LBB77_4:
	s_add_i32 s17, s28, s19
	s_waitcnt vmcnt(3)
	v_mov_b32_e32 v1, 0
	v_cmp_gt_u32_e32 vcc, s17, v0
	s_waitcnt vmcnt(2)
	v_mov_b32_e32 v2, v1
	s_waitcnt vmcnt(1)
	v_mov_b32_e32 v3, v1
	;; [unrolled: 2-line block ×3, first 2 shown]
	s_and_saveexec_b64 s[0:1], vcc
	s_cbranch_execz .LBB77_6
; %bb.5:
	v_mov_b32_e32 v2, s7
	v_add_co_u32_e32 v4, vcc, s5, v9
	v_subrev_u32_e32 v3, s19, v0
	v_addc_co_u32_e32 v2, vcc, 0, v2, vcc
	v_lshlrev_b32_e32 v3, 2, v3
	v_mov_b32_e32 v6, s8
	v_add_co_u32_e32 v8, vcc, s4, v3
	v_addc_co_u32_e32 v3, vcc, 0, v6, vcc
	v_cmp_gt_u32_e32 vcc, s19, v0
	v_cndmask_b32_e32 v3, v3, v2, vcc
	v_cndmask_b32_e32 v2, v8, v4, vcc
	global_load_dword v10, v[2:3], off
	v_mov_b32_e32 v11, v1
	v_mov_b32_e32 v12, v1
	;; [unrolled: 1-line block ×3, first 2 shown]
	s_waitcnt vmcnt(0)
	v_mov_b32_e32 v1, v10
	v_mov_b32_e32 v2, v11
	;; [unrolled: 1-line block ×4, first 2 shown]
.LBB77_6:
	s_or_b64 exec, exec, s[0:1]
	v_cmp_gt_u32_e32 vcc, s17, v5
	s_and_saveexec_b64 s[2:3], vcc
	s_cbranch_execz .LBB77_8
; %bb.7:
	v_mov_b32_e32 v6, 0
	v_lshlrev_b64 v[10:11], 2, v[5:6]
	v_mov_b32_e32 v2, s7
	v_add_co_u32_e32 v8, vcc, s5, v10
	v_addc_co_u32_e32 v2, vcc, v2, v11, vcc
	v_subrev_co_u32_e32 v10, vcc, s19, v5
	v_mov_b32_e32 v11, v6
	v_lshlrev_b64 v[10:11], 2, v[10:11]
	v_mov_b32_e32 v6, s8
	v_add_co_u32_e64 v10, s[0:1], s4, v10
	v_addc_co_u32_e64 v6, s[0:1], v6, v11, s[0:1]
	v_cndmask_b32_e32 v11, v6, v2, vcc
	v_cndmask_b32_e32 v10, v10, v8, vcc
	global_load_dword v2, v[10:11], off
.LBB77_8:
	s_or_b64 exec, exec, s[2:3]
	v_add_u32_e32 v5, v5, v7
	v_cmp_gt_u32_e32 vcc, s17, v5
	s_and_saveexec_b64 s[2:3], vcc
	s_cbranch_execz .LBB77_10
; %bb.9:
	v_mov_b32_e32 v6, 0
	v_lshlrev_b64 v[10:11], 2, v[5:6]
	v_mov_b32_e32 v3, s7
	v_add_co_u32_e32 v8, vcc, s5, v10
	v_addc_co_u32_e32 v3, vcc, v3, v11, vcc
	v_subrev_co_u32_e32 v10, vcc, s19, v5
	v_mov_b32_e32 v11, v6
	v_lshlrev_b64 v[10:11], 2, v[10:11]
	v_mov_b32_e32 v6, s8
	v_add_co_u32_e64 v10, s[0:1], s4, v10
	v_addc_co_u32_e64 v6, s[0:1], v6, v11, s[0:1]
	v_cndmask_b32_e32 v11, v6, v3, vcc
	v_cndmask_b32_e32 v10, v10, v8, vcc
	global_load_dword v3, v[10:11], off
.LBB77_10:
	s_or_b64 exec, exec, s[2:3]
	v_add_u32_e32 v5, v5, v7
	v_cmp_gt_u32_e32 vcc, s17, v5
	s_and_saveexec_b64 s[2:3], vcc
	s_cbranch_execz .LBB77_12
; %bb.11:
	v_mov_b32_e32 v6, 0
	v_lshlrev_b64 v[7:8], 2, v[5:6]
	v_mov_b32_e32 v4, s7
	v_add_co_u32_e32 v7, vcc, s5, v7
	v_addc_co_u32_e32 v8, vcc, v4, v8, vcc
	v_subrev_co_u32_e32 v5, vcc, s19, v5
	v_lshlrev_b64 v[4:5], 2, v[5:6]
	v_mov_b32_e32 v6, s8
	v_add_co_u32_e64 v4, s[0:1], s4, v4
	v_addc_co_u32_e64 v5, s[0:1], v6, v5, s[0:1]
	v_cndmask_b32_e32 v5, v5, v8, vcc
	v_cndmask_b32_e32 v4, v4, v7, vcc
	global_load_dword v4, v[4:5], off
.LBB77_12:
	s_or_b64 exec, exec, s[2:3]
.LBB77_13:
	v_min_u32_e32 v6, s17, v9
	v_sub_u32_e64 v5, v6, s28 clamp
	v_min_u32_e32 v7, s19, v6
	v_cmp_lt_u32_e32 vcc, v5, v7
	s_waitcnt vmcnt(0)
	ds_write2st64_b32 v9, v1, v2 offset1:2
	ds_write2st64_b32 v9, v3, v4 offset0:4 offset1:6
	s_waitcnt lgkmcnt(0)
	s_barrier
	s_and_saveexec_b64 s[0:1], vcc
	s_cbranch_execz .LBB77_17
; %bb.14:
	v_lshlrev_b32_e32 v8, 2, v6
	v_lshl_add_u32 v8, s19, 2, v8
	s_mov_b64 s[2:3], 0
.LBB77_15:                              ; =>This Inner Loop Header: Depth=1
	v_add_u32_e32 v10, v7, v5
	v_lshrrev_b32_e32 v10, 1, v10
	v_not_b32_e32 v11, v10
	v_lshlrev_b32_e32 v12, 2, v10
	v_lshl_add_u32 v11, v11, 2, v8
	ds_read_b32 v12, v12
	ds_read_b32 v11, v11
	v_add_u32_e32 v13, 1, v10
	s_waitcnt lgkmcnt(0)
	v_cmp_gt_i32_e32 vcc, v11, v12
	v_cndmask_b32_e32 v7, v7, v10, vcc
	v_cndmask_b32_e32 v5, v13, v5, vcc
	v_cmp_ge_u32_e32 vcc, v5, v7
	s_or_b64 s[2:3], vcc, s[2:3]
	s_andn2_b64 exec, exec, s[2:3]
	s_cbranch_execnz .LBB77_15
; %bb.16:
	s_or_b64 exec, exec, s[2:3]
.LBB77_17:
	s_or_b64 exec, exec, s[0:1]
	v_sub_u32_e32 v6, v6, v5
	v_add_u32_e32 v6, s19, v6
	v_cmp_ge_u32_e32 vcc, s19, v5
	v_cmp_ge_u32_e64 s[0:1], s17, v6
	s_or_b64 s[0:1], vcc, s[0:1]
	v_mov_b32_e32 v10, 0
	v_mov_b32_e32 v11, 0
	;; [unrolled: 1-line block ×4, first 2 shown]
	s_and_saveexec_b64 s[8:9], s[0:1]
	s_cbranch_execz .LBB77_23
; %bb.18:
	v_cmp_gt_u32_e32 vcc, s19, v5
                                        ; implicit-def: $vgpr1
	s_and_saveexec_b64 s[0:1], vcc
; %bb.19:
	v_lshlrev_b32_e32 v1, 2, v5
	ds_read_b32 v1, v1
; %bb.20:
	s_or_b64 exec, exec, s[0:1]
	v_cmp_le_u32_e64 s[0:1], s17, v6
	v_cmp_gt_u32_e64 s[2:3], s17, v6
                                        ; implicit-def: $vgpr2
	s_and_saveexec_b64 s[4:5], s[2:3]
; %bb.21:
	v_lshlrev_b32_e32 v2, 2, v6
	ds_read_b32 v2, v2
; %bb.22:
	s_or_b64 exec, exec, s[4:5]
	s_waitcnt lgkmcnt(0)
	v_cmp_le_i32_e64 s[2:3], v2, v1
	s_and_b64 s[2:3], vcc, s[2:3]
	s_or_b64 vcc, s[0:1], s[2:3]
	v_mov_b32_e32 v3, s17
	v_mov_b32_e32 v4, s19
	v_cndmask_b32_e32 v13, v6, v5, vcc
	v_cndmask_b32_e32 v7, v3, v4, vcc
	v_add_u32_e32 v8, 1, v13
	v_add_u32_e32 v7, -1, v7
	v_min_u32_e32 v7, v8, v7
	v_lshlrev_b32_e32 v7, 2, v7
	ds_read_b32 v7, v7
	v_cndmask_b32_e32 v5, v5, v8, vcc
	v_cndmask_b32_e32 v6, v8, v6, vcc
	v_cmp_gt_u32_e64 s[2:3], s19, v5
	v_cmp_le_u32_e64 s[0:1], s17, v6
	s_waitcnt lgkmcnt(0)
	v_cndmask_b32_e32 v10, v7, v2, vcc
	v_cndmask_b32_e32 v7, v1, v7, vcc
	v_cmp_le_i32_e64 s[4:5], v10, v7
	s_and_b64 s[2:3], s[2:3], s[4:5]
	s_or_b64 s[0:1], s[0:1], s[2:3]
	v_cndmask_b32_e64 v12, v6, v5, s[0:1]
	v_cndmask_b32_e64 v8, v3, v4, s[0:1]
	v_add_u32_e32 v11, 1, v12
	v_add_u32_e32 v8, -1, v8
	v_min_u32_e32 v8, v11, v8
	v_lshlrev_b32_e32 v8, 2, v8
	ds_read_b32 v8, v8
	v_cndmask_b32_e64 v5, v5, v11, s[0:1]
	v_cndmask_b32_e64 v6, v11, v6, s[0:1]
	v_cmp_gt_u32_e64 s[4:5], s19, v5
	v_cmp_le_u32_e64 s[2:3], s17, v6
	s_waitcnt lgkmcnt(0)
	v_cndmask_b32_e64 v14, v8, v10, s[0:1]
	v_cndmask_b32_e64 v8, v7, v8, s[0:1]
	v_cmp_le_i32_e64 s[6:7], v14, v8
	s_and_b64 s[4:5], s[4:5], s[6:7]
	s_or_b64 s[2:3], s[2:3], s[4:5]
	v_cndmask_b32_e64 v11, v6, v5, s[2:3]
	v_cndmask_b32_e64 v3, v3, v4, s[2:3]
	v_add_u32_e32 v4, 1, v11
	v_add_u32_e32 v3, -1, v3
	v_min_u32_e32 v3, v4, v3
	v_lshlrev_b32_e32 v3, 2, v3
	ds_read_b32 v15, v3
	v_cndmask_b32_e32 v1, v2, v1, vcc
	v_cndmask_b32_e64 v2, v10, v7, s[0:1]
	v_cndmask_b32_e64 v3, v14, v8, s[2:3]
	;; [unrolled: 1-line block ×3, first 2 shown]
	s_waitcnt lgkmcnt(0)
	v_cndmask_b32_e64 v7, v15, v14, s[2:3]
	v_cndmask_b32_e64 v8, v8, v15, s[2:3]
	;; [unrolled: 1-line block ×3, first 2 shown]
	v_cmp_gt_u32_e64 s[0:1], s19, v4
	v_cmp_le_i32_e64 s[2:3], v7, v8
	v_cmp_le_u32_e32 vcc, s17, v6
	s_and_b64 s[0:1], s[0:1], s[2:3]
	s_or_b64 vcc, vcc, s[0:1]
	v_cndmask_b32_e32 v10, v6, v4, vcc
	v_cndmask_b32_e32 v4, v7, v8, vcc
.LBB77_23:
	s_or_b64 exec, exec, s[8:9]
	s_lshl_b64 s[0:1], s[22:23], 3
	s_add_u32 s8, s12, s0
	s_addc_u32 s9, s13, s1
	s_lshl_b64 s[0:1], s[24:25], 3
	s_add_u32 s6, s12, s0
	v_cndmask_b32_e64 v5, 0, 1, s[20:21]
	s_addc_u32 s7, s13, s1
	v_cmp_gt_u32_e64 s[4:5], s19, v0
	v_cmp_ne_u32_e64 s[0:1], 1, v5
	s_andn2_b64 vcc, exec, s[20:21]
	v_cmp_le_u32_e64 s[2:3], s19, v0
	s_barrier
	s_cbranch_vccnz .LBB77_25
; %bb.24:
	v_lshlrev_b32_e32 v8, 3, v0
	v_mov_b32_e32 v5, s9
	v_add_co_u32_e32 v7, vcc, s8, v8
	v_subrev_u32_e32 v6, s19, v0
	v_addc_co_u32_e32 v5, vcc, 0, v5, vcc
	v_lshlrev_b32_e32 v6, 3, v6
	v_mov_b32_e32 v14, s7
	v_add_co_u32_e32 v15, vcc, s6, v6
	v_addc_co_u32_e32 v6, vcc, 0, v14, vcc
	v_cndmask_b32_e64 v6, v6, v5, s[4:5]
	v_cndmask_b32_e64 v5, v15, v7, s[4:5]
	global_load_dwordx2 v[15:16], v[5:6], off
	v_or_b32_e32 v5, 0x80, v0
	v_subrev_u32_e32 v6, s19, v5
	v_min_u32_e32 v6, v5, v6
	v_cmp_gt_u32_e32 vcc, s19, v5
	v_mov_b32_e32 v22, s6
	v_mov_b32_e32 v23, s8
	;; [unrolled: 1-line block ×4, first 2 shown]
	v_cndmask_b32_e32 v5, v22, v23, vcc
	v_lshlrev_b32_e32 v6, 3, v6
	v_cndmask_b32_e32 v14, v7, v21, vcc
	v_add_co_u32_e32 v5, vcc, v5, v6
	v_addc_co_u32_e32 v6, vcc, 0, v14, vcc
	global_load_dwordx2 v[17:18], v[5:6], off
	v_or_b32_e32 v5, 0x100, v0
	v_subrev_u32_e32 v6, s19, v5
	v_min_u32_e32 v6, v5, v6
	v_cmp_gt_u32_e32 vcc, s19, v5
	v_cndmask_b32_e32 v5, v22, v23, vcc
	v_lshlrev_b32_e32 v6, 3, v6
	v_cndmask_b32_e32 v14, v7, v21, vcc
	v_add_co_u32_e32 v5, vcc, v5, v6
	v_addc_co_u32_e32 v6, vcc, 0, v14, vcc
	global_load_dwordx2 v[19:20], v[5:6], off
	v_or_b32_e32 v14, 0x180, v0
	v_subrev_u32_e32 v5, s19, v14
	v_cmp_gt_u32_e32 vcc, s19, v14
	v_cndmask_b32_e32 v6, v7, v21, vcc
	v_min_u32_e32 v7, v14, v5
	v_cndmask_b32_e32 v5, v22, v23, vcc
	s_mov_b64 s[4:5], -1
	s_waitcnt vmcnt(1)
	ds_write2st64_b64 v8, v[15:16], v[17:18] offset1:2
	s_waitcnt vmcnt(0)
	ds_write_b64 v8, v[19:20] offset:2048
	s_cbranch_execz .LBB77_26
	s_branch .LBB77_43
.LBB77_25:
	s_mov_b64 s[4:5], 0
                                        ; implicit-def: $vgpr14
                                        ; implicit-def: $vgpr5_vgpr6
                                        ; implicit-def: $vgpr7
.LBB77_26:
	s_and_saveexec_b64 s[4:5], s[2:3]
	s_xor_b64 s[2:3], exec, s[4:5]
	s_cbranch_execz .LBB77_30
; %bb.27:
	v_subrev_u32_e32 v5, s19, v0
	v_cmp_gt_u32_e32 vcc, s28, v5
	s_and_saveexec_b64 s[4:5], vcc
	s_cbranch_execz .LBB77_29
; %bb.28:
	v_lshlrev_b32_e32 v5, 3, v5
	global_load_dwordx2 v[5:6], v5, s[6:7]
	v_add_u32_e32 v7, v9, v9
	s_waitcnt vmcnt(0)
	ds_write_b64 v7, v[5:6]
.LBB77_29:
	s_or_b64 exec, exec, s[4:5]
.LBB77_30:
	s_or_saveexec_b64 s[2:3], s[2:3]
	v_add_u32_e32 v7, v9, v9
	s_xor_b64 exec, exec, s[2:3]
	s_cbranch_execz .LBB77_32
; %bb.31:
	v_lshlrev_b32_e32 v5, 3, v0
	global_load_dwordx2 v[5:6], v5, s[8:9]
	s_waitcnt vmcnt(0)
	ds_write_b64 v7, v[5:6]
.LBB77_32:
	s_or_b64 exec, exec, s[2:3]
	v_or_b32_e32 v8, 0x80, v0
	v_mov_b32_e32 v5, s22
	v_cmp_le_u32_e32 vcc, s19, v8
	s_mov_b64 s[2:3], -1
	v_mov_b32_e32 v6, s23
	s_and_saveexec_b64 s[4:5], vcc
; %bb.33:
	v_subrev_u32_e32 v8, s19, v8
	v_cmp_gt_u32_e32 vcc, s28, v8
	v_mov_b32_e32 v5, s24
	v_mov_b32_e32 v6, s25
	s_orn2_b64 s[2:3], vcc, exec
; %bb.34:
	s_or_b64 exec, exec, s[4:5]
	s_and_saveexec_b64 s[4:5], s[2:3]
	s_cbranch_execz .LBB77_36
; %bb.35:
	v_lshlrev_b64 v[5:6], 3, v[5:6]
	v_mov_b32_e32 v14, s13
	v_add_co_u32_e32 v5, vcc, s12, v5
	v_addc_co_u32_e32 v6, vcc, v14, v6, vcc
	v_lshlrev_b32_e32 v8, 3, v8
	v_add_co_u32_e32 v5, vcc, v5, v8
	v_addc_co_u32_e32 v6, vcc, 0, v6, vcc
	global_load_dwordx2 v[5:6], v[5:6], off
	s_waitcnt vmcnt(0)
	ds_write_b64 v7, v[5:6] offset:1024
.LBB77_36:
	s_or_b64 exec, exec, s[4:5]
	v_or_b32_e32 v8, 0x100, v0
	v_mov_b32_e32 v5, s22
	v_cmp_le_u32_e32 vcc, s19, v8
	s_mov_b64 s[2:3], -1
	v_mov_b32_e32 v6, s23
	s_and_saveexec_b64 s[4:5], vcc
; %bb.37:
	v_subrev_u32_e32 v8, s19, v8
	v_cmp_gt_u32_e32 vcc, s28, v8
	v_mov_b32_e32 v5, s24
	v_mov_b32_e32 v6, s25
	s_orn2_b64 s[2:3], vcc, exec
; %bb.38:
	s_or_b64 exec, exec, s[4:5]
	s_and_saveexec_b64 s[4:5], s[2:3]
	s_cbranch_execz .LBB77_40
; %bb.39:
	v_lshlrev_b64 v[5:6], 3, v[5:6]
	v_mov_b32_e32 v14, s13
	v_add_co_u32_e32 v5, vcc, s12, v5
	v_addc_co_u32_e32 v6, vcc, v14, v6, vcc
	v_lshlrev_b32_e32 v8, 3, v8
	v_add_co_u32_e32 v5, vcc, v5, v8
	v_addc_co_u32_e32 v6, vcc, 0, v6, vcc
	global_load_dwordx2 v[5:6], v[5:6], off
	s_waitcnt vmcnt(0)
	ds_write_b64 v7, v[5:6] offset:2048
.LBB77_40:
	s_or_b64 exec, exec, s[4:5]
	v_or_b32_e32 v14, 0x180, v0
	v_mov_b32_e32 v5, s8
	v_cmp_le_u32_e32 vcc, s19, v14
	s_mov_b64 s[4:5], -1
	v_mov_b32_e32 v6, s9
	v_mov_b32_e32 v7, v14
	s_and_saveexec_b64 s[2:3], vcc
; %bb.41:
	v_subrev_u32_e32 v7, s19, v14
	v_cmp_gt_u32_e32 vcc, s28, v7
	v_mov_b32_e32 v5, s6
	v_mov_b32_e32 v6, s7
	s_orn2_b64 s[4:5], vcc, exec
; %bb.42:
	s_or_b64 exec, exec, s[2:3]
.LBB77_43:
	s_and_saveexec_b64 s[2:3], s[4:5]
	s_cbranch_execz .LBB77_45
; %bb.44:
	v_mov_b32_e32 v8, 0
	v_lshlrev_b64 v[7:8], 3, v[7:8]
	v_add_co_u32_e32 v5, vcc, v5, v7
	v_addc_co_u32_e32 v6, vcc, v6, v8, vcc
	global_load_dwordx2 v[5:6], v[5:6], off
	v_lshlrev_b32_e32 v7, 3, v14
	s_waitcnt vmcnt(0)
	ds_write_b64 v7, v[5:6]
.LBB77_45:
	s_or_b64 exec, exec, s[2:3]
	s_and_b64 vcc, exec, s[0:1]
	v_add_u32_e32 v5, s18, v9
	s_waitcnt lgkmcnt(0)
	s_barrier
	s_cbranch_vccnz .LBB77_47
; %bb.46:
	v_lshlrev_b32_e32 v14, 3, v13
	v_lshlrev_b32_e32 v16, 3, v12
	;; [unrolled: 1-line block ×3, first 2 shown]
	v_mov_b32_e32 v6, 0
	ds_read_b64 v[14:15], v14
	ds_read_b64 v[16:17], v16
	;; [unrolled: 1-line block ×3, first 2 shown]
	v_lshlrev_b64 v[7:8], 3, v[5:6]
	v_mov_b32_e32 v20, s15
	v_add_co_u32_e32 v7, vcc, s14, v7
	v_addc_co_u32_e32 v8, vcc, v20, v8, vcc
	s_mov_b64 s[0:1], -1
	s_waitcnt lgkmcnt(1)
	global_store_dwordx4 v[7:8], v[14:17], off
	s_waitcnt lgkmcnt(0)
	global_store_dwordx2 v[7:8], v[18:19], off offset:16
	s_cbranch_execz .LBB77_48
	s_branch .LBB77_57
.LBB77_47:
	s_mov_b64 s[0:1], 0
.LBB77_48:
	v_cmp_gt_u32_e32 vcc, s17, v9
	s_and_saveexec_b64 s[2:3], vcc
	s_cbranch_execz .LBB77_50
; %bb.49:
	v_lshlrev_b32_e32 v8, 3, v13
	v_mov_b32_e32 v6, 0
	ds_read_b64 v[13:14], v8
	v_lshlrev_b64 v[6:7], 3, v[5:6]
	v_mov_b32_e32 v15, s15
	v_add_co_u32_e32 v6, vcc, s14, v6
	v_addc_co_u32_e32 v7, vcc, v15, v7, vcc
	s_waitcnt lgkmcnt(0)
	global_store_dwordx2 v[6:7], v[13:14], off
.LBB77_50:
	s_or_b64 exec, exec, s[2:3]
	v_or_b32_e32 v6, 1, v9
	v_cmp_gt_u32_e32 vcc, s17, v6
	s_and_saveexec_b64 s[2:3], vcc
	s_cbranch_execz .LBB77_52
; %bb.51:
	v_lshlrev_b32_e32 v8, 3, v12
	v_mov_b32_e32 v6, 0
	ds_read_b64 v[12:13], v8
	v_lshlrev_b64 v[6:7], 3, v[5:6]
	v_mov_b32_e32 v14, s15
	v_add_co_u32_e32 v6, vcc, s14, v6
	v_addc_co_u32_e32 v7, vcc, v14, v7, vcc
	s_waitcnt lgkmcnt(0)
	global_store_dwordx2 v[6:7], v[12:13], off offset:8
.LBB77_52:
	s_or_b64 exec, exec, s[2:3]
	v_or_b32_e32 v6, 2, v9
	v_cmp_gt_u32_e32 vcc, s17, v6
	s_and_saveexec_b64 s[2:3], vcc
	s_cbranch_execz .LBB77_54
; %bb.53:
	v_lshlrev_b32_e32 v8, 3, v11
	v_mov_b32_e32 v6, 0
	ds_read_b64 v[11:12], v8
	v_lshlrev_b64 v[6:7], 3, v[5:6]
	v_mov_b32_e32 v13, s15
	v_add_co_u32_e32 v6, vcc, s14, v6
	v_addc_co_u32_e32 v7, vcc, v13, v7, vcc
	s_waitcnt lgkmcnt(0)
	global_store_dwordx2 v[6:7], v[11:12], off offset:16
.LBB77_54:
	s_or_b64 exec, exec, s[2:3]
	v_or_b32_e32 v6, 3, v9
	v_cmp_gt_u32_e32 vcc, s17, v6
	s_and_saveexec_b64 s[2:3], vcc
; %bb.55:
	v_mov_b32_e32 v6, 0
	s_or_b64 s[0:1], s[0:1], exec
; %bb.56:
	s_or_b64 exec, exec, s[2:3]
.LBB77_57:
	s_and_saveexec_b64 s[2:3], s[0:1]
	s_cbranch_execz .LBB77_59
; %bb.58:
	v_lshlrev_b32_e32 v7, 3, v10
	ds_read_b64 v[7:8], v7
	v_lshlrev_b64 v[5:6], 3, v[5:6]
	v_mov_b32_e32 v10, s15
	v_add_co_u32_e32 v5, vcc, s14, v5
	v_addc_co_u32_e32 v6, vcc, v10, v6, vcc
	s_waitcnt lgkmcnt(0)
	global_store_dwordx2 v[5:6], v[7:8], off offset:24
.LBB77_59:
	s_or_b64 exec, exec, s[2:3]
	v_lshrrev_b32_e32 v5, 3, v0
	v_lshlrev_b32_e32 v6, 2, v9
	v_lshl_add_u32 v6, v5, 2, v6
	s_waitcnt vmcnt(0)
	s_barrier
	s_barrier
	ds_write2_b32 v6, v1, v2 offset1:1
	ds_write2_b32 v6, v3, v4 offset0:2 offset1:3
	v_and_b32_e32 v1, 12, v5
	v_or_b32_e32 v5, 0x80, v0
	v_add_u32_e32 v7, v1, v9
	v_lshrrev_b32_e32 v1, 3, v5
	v_and_b32_e32 v1, 28, v1
	v_or_b32_e32 v4, 0x100, v0
	s_mov_b32 s19, 0
	v_add_u32_e32 v8, v1, v9
	v_lshrrev_b32_e32 v1, 3, v4
	s_lshl_b64 s[0:1], s[18:19], 2
	v_and_b32_e32 v1, 44, v1
	v_or_b32_e32 v3, 0x180, v0
	s_add_u32 s0, s10, s0
	v_add_u32_e32 v10, v1, v9
	v_lshrrev_b32_e32 v1, 3, v3
	s_addc_u32 s1, s11, s1
	v_and_b32_e32 v1, 60, v1
	v_add_u32_e32 v11, v1, v9
	v_mov_b32_e32 v2, s1
	v_add_co_u32_e32 v1, vcc, s0, v9
	v_addc_co_u32_e32 v2, vcc, 0, v2, vcc
	s_and_b64 vcc, exec, s[20:21]
	s_waitcnt lgkmcnt(0)
	s_cbranch_vccz .LBB77_61
; %bb.60:
	s_barrier
	ds_read_b32 v9, v7
	ds_read_b32 v12, v8 offset:512
	ds_read_b32 v13, v10 offset:1024
	;; [unrolled: 1-line block ×3, first 2 shown]
	s_waitcnt lgkmcnt(3)
	global_store_dword v[1:2], v9, off
	s_waitcnt lgkmcnt(2)
	global_store_dword v[1:2], v12, off offset:512
	s_waitcnt lgkmcnt(1)
	global_store_dword v[1:2], v13, off offset:1024
	s_mov_b64 s[0:1], -1
	s_cbranch_execz .LBB77_62
	s_branch .LBB77_67
.LBB77_61:
	s_mov_b64 s[0:1], 0
                                        ; implicit-def: $vgpr6
.LBB77_62:
	s_waitcnt vmcnt(0) lgkmcnt(0)
	s_barrier
	ds_read_b32 v9, v8 offset:512
	ds_read_b32 v8, v10 offset:1024
	;; [unrolled: 1-line block ×3, first 2 shown]
	s_sub_i32 s2, s16, s18
	v_cmp_gt_u32_e32 vcc, s2, v0
	s_and_saveexec_b64 s[0:1], vcc
	s_cbranch_execnz .LBB77_70
; %bb.63:
	s_or_b64 exec, exec, s[0:1]
	v_cmp_gt_u32_e32 vcc, s2, v5
	s_and_saveexec_b64 s[0:1], vcc
	s_cbranch_execnz .LBB77_71
.LBB77_64:
	s_or_b64 exec, exec, s[0:1]
	v_cmp_gt_u32_e32 vcc, s2, v4
	s_and_saveexec_b64 s[0:1], vcc
	s_cbranch_execz .LBB77_66
.LBB77_65:
	s_waitcnt lgkmcnt(1)
	global_store_dword v[1:2], v8, off offset:1024
.LBB77_66:
	s_or_b64 exec, exec, s[0:1]
	v_cmp_gt_u32_e64 s[0:1], s2, v3
.LBB77_67:
	s_and_saveexec_b64 s[2:3], s[0:1]
	s_cbranch_execz .LBB77_69
; %bb.68:
	s_waitcnt lgkmcnt(0)
	global_store_dword v[1:2], v6, off offset:1536
.LBB77_69:
	s_endpgm
.LBB77_70:
	ds_read_b32 v0, v7
	s_waitcnt lgkmcnt(0)
	global_store_dword v[1:2], v0, off
	s_or_b64 exec, exec, s[0:1]
	v_cmp_gt_u32_e32 vcc, s2, v5
	s_and_saveexec_b64 s[0:1], vcc
	s_cbranch_execz .LBB77_64
.LBB77_71:
	s_waitcnt lgkmcnt(2)
	global_store_dword v[1:2], v9, off offset:512
	s_or_b64 exec, exec, s[0:1]
	v_cmp_gt_u32_e32 vcc, s2, v4
	s_and_saveexec_b64 s[0:1], vcc
	s_cbranch_execnz .LBB77_65
	s_branch .LBB77_66
	.section	.rodata,"a",@progbits
	.p2align	6, 0x0
	.amdhsa_kernel _ZN7rocprim17ROCPRIM_304000_NS6detail35device_block_merge_mergepath_kernelINS1_37wrapped_merge_sort_block_merge_configINS0_14default_configEiN2at4cuda3cub6detail10OpaqueTypeILi8EEEEEPiSC_PSA_SD_jNS1_19radix_merge_compareILb1ELb0EiNS0_19identity_decomposerEEEEEvT0_T1_T2_T3_T4_SL_jT5_PKSL_NS1_7vsmem_tE
		.amdhsa_group_segment_fixed_size 4112
		.amdhsa_private_segment_fixed_size 0
		.amdhsa_kernarg_size 320
		.amdhsa_user_sgpr_count 6
		.amdhsa_user_sgpr_private_segment_buffer 1
		.amdhsa_user_sgpr_dispatch_ptr 0
		.amdhsa_user_sgpr_queue_ptr 0
		.amdhsa_user_sgpr_kernarg_segment_ptr 1
		.amdhsa_user_sgpr_dispatch_id 0
		.amdhsa_user_sgpr_flat_scratch_init 0
		.amdhsa_user_sgpr_private_segment_size 0
		.amdhsa_uses_dynamic_stack 0
		.amdhsa_system_sgpr_private_segment_wavefront_offset 0
		.amdhsa_system_sgpr_workgroup_id_x 1
		.amdhsa_system_sgpr_workgroup_id_y 1
		.amdhsa_system_sgpr_workgroup_id_z 1
		.amdhsa_system_sgpr_workgroup_info 0
		.amdhsa_system_vgpr_workitem_id 0
		.amdhsa_next_free_vgpr 29
		.amdhsa_next_free_sgpr 61
		.amdhsa_reserve_vcc 1
		.amdhsa_reserve_flat_scratch 0
		.amdhsa_float_round_mode_32 0
		.amdhsa_float_round_mode_16_64 0
		.amdhsa_float_denorm_mode_32 3
		.amdhsa_float_denorm_mode_16_64 3
		.amdhsa_dx10_clamp 1
		.amdhsa_ieee_mode 1
		.amdhsa_fp16_overflow 0
		.amdhsa_exception_fp_ieee_invalid_op 0
		.amdhsa_exception_fp_denorm_src 0
		.amdhsa_exception_fp_ieee_div_zero 0
		.amdhsa_exception_fp_ieee_overflow 0
		.amdhsa_exception_fp_ieee_underflow 0
		.amdhsa_exception_fp_ieee_inexact 0
		.amdhsa_exception_int_div_zero 0
	.end_amdhsa_kernel
	.section	.text._ZN7rocprim17ROCPRIM_304000_NS6detail35device_block_merge_mergepath_kernelINS1_37wrapped_merge_sort_block_merge_configINS0_14default_configEiN2at4cuda3cub6detail10OpaqueTypeILi8EEEEEPiSC_PSA_SD_jNS1_19radix_merge_compareILb1ELb0EiNS0_19identity_decomposerEEEEEvT0_T1_T2_T3_T4_SL_jT5_PKSL_NS1_7vsmem_tE,"axG",@progbits,_ZN7rocprim17ROCPRIM_304000_NS6detail35device_block_merge_mergepath_kernelINS1_37wrapped_merge_sort_block_merge_configINS0_14default_configEiN2at4cuda3cub6detail10OpaqueTypeILi8EEEEEPiSC_PSA_SD_jNS1_19radix_merge_compareILb1ELb0EiNS0_19identity_decomposerEEEEEvT0_T1_T2_T3_T4_SL_jT5_PKSL_NS1_7vsmem_tE,comdat
.Lfunc_end77:
	.size	_ZN7rocprim17ROCPRIM_304000_NS6detail35device_block_merge_mergepath_kernelINS1_37wrapped_merge_sort_block_merge_configINS0_14default_configEiN2at4cuda3cub6detail10OpaqueTypeILi8EEEEEPiSC_PSA_SD_jNS1_19radix_merge_compareILb1ELb0EiNS0_19identity_decomposerEEEEEvT0_T1_T2_T3_T4_SL_jT5_PKSL_NS1_7vsmem_tE, .Lfunc_end77-_ZN7rocprim17ROCPRIM_304000_NS6detail35device_block_merge_mergepath_kernelINS1_37wrapped_merge_sort_block_merge_configINS0_14default_configEiN2at4cuda3cub6detail10OpaqueTypeILi8EEEEEPiSC_PSA_SD_jNS1_19radix_merge_compareILb1ELb0EiNS0_19identity_decomposerEEEEEvT0_T1_T2_T3_T4_SL_jT5_PKSL_NS1_7vsmem_tE
                                        ; -- End function
	.set _ZN7rocprim17ROCPRIM_304000_NS6detail35device_block_merge_mergepath_kernelINS1_37wrapped_merge_sort_block_merge_configINS0_14default_configEiN2at4cuda3cub6detail10OpaqueTypeILi8EEEEEPiSC_PSA_SD_jNS1_19radix_merge_compareILb1ELb0EiNS0_19identity_decomposerEEEEEvT0_T1_T2_T3_T4_SL_jT5_PKSL_NS1_7vsmem_tE.num_vgpr, 24
	.set _ZN7rocprim17ROCPRIM_304000_NS6detail35device_block_merge_mergepath_kernelINS1_37wrapped_merge_sort_block_merge_configINS0_14default_configEiN2at4cuda3cub6detail10OpaqueTypeILi8EEEEEPiSC_PSA_SD_jNS1_19radix_merge_compareILb1ELb0EiNS0_19identity_decomposerEEEEEvT0_T1_T2_T3_T4_SL_jT5_PKSL_NS1_7vsmem_tE.num_agpr, 0
	.set _ZN7rocprim17ROCPRIM_304000_NS6detail35device_block_merge_mergepath_kernelINS1_37wrapped_merge_sort_block_merge_configINS0_14default_configEiN2at4cuda3cub6detail10OpaqueTypeILi8EEEEEPiSC_PSA_SD_jNS1_19radix_merge_compareILb1ELb0EiNS0_19identity_decomposerEEEEEvT0_T1_T2_T3_T4_SL_jT5_PKSL_NS1_7vsmem_tE.numbered_sgpr, 32
	.set _ZN7rocprim17ROCPRIM_304000_NS6detail35device_block_merge_mergepath_kernelINS1_37wrapped_merge_sort_block_merge_configINS0_14default_configEiN2at4cuda3cub6detail10OpaqueTypeILi8EEEEEPiSC_PSA_SD_jNS1_19radix_merge_compareILb1ELb0EiNS0_19identity_decomposerEEEEEvT0_T1_T2_T3_T4_SL_jT5_PKSL_NS1_7vsmem_tE.num_named_barrier, 0
	.set _ZN7rocprim17ROCPRIM_304000_NS6detail35device_block_merge_mergepath_kernelINS1_37wrapped_merge_sort_block_merge_configINS0_14default_configEiN2at4cuda3cub6detail10OpaqueTypeILi8EEEEEPiSC_PSA_SD_jNS1_19radix_merge_compareILb1ELb0EiNS0_19identity_decomposerEEEEEvT0_T1_T2_T3_T4_SL_jT5_PKSL_NS1_7vsmem_tE.private_seg_size, 0
	.set _ZN7rocprim17ROCPRIM_304000_NS6detail35device_block_merge_mergepath_kernelINS1_37wrapped_merge_sort_block_merge_configINS0_14default_configEiN2at4cuda3cub6detail10OpaqueTypeILi8EEEEEPiSC_PSA_SD_jNS1_19radix_merge_compareILb1ELb0EiNS0_19identity_decomposerEEEEEvT0_T1_T2_T3_T4_SL_jT5_PKSL_NS1_7vsmem_tE.uses_vcc, 1
	.set _ZN7rocprim17ROCPRIM_304000_NS6detail35device_block_merge_mergepath_kernelINS1_37wrapped_merge_sort_block_merge_configINS0_14default_configEiN2at4cuda3cub6detail10OpaqueTypeILi8EEEEEPiSC_PSA_SD_jNS1_19radix_merge_compareILb1ELb0EiNS0_19identity_decomposerEEEEEvT0_T1_T2_T3_T4_SL_jT5_PKSL_NS1_7vsmem_tE.uses_flat_scratch, 0
	.set _ZN7rocprim17ROCPRIM_304000_NS6detail35device_block_merge_mergepath_kernelINS1_37wrapped_merge_sort_block_merge_configINS0_14default_configEiN2at4cuda3cub6detail10OpaqueTypeILi8EEEEEPiSC_PSA_SD_jNS1_19radix_merge_compareILb1ELb0EiNS0_19identity_decomposerEEEEEvT0_T1_T2_T3_T4_SL_jT5_PKSL_NS1_7vsmem_tE.has_dyn_sized_stack, 0
	.set _ZN7rocprim17ROCPRIM_304000_NS6detail35device_block_merge_mergepath_kernelINS1_37wrapped_merge_sort_block_merge_configINS0_14default_configEiN2at4cuda3cub6detail10OpaqueTypeILi8EEEEEPiSC_PSA_SD_jNS1_19radix_merge_compareILb1ELb0EiNS0_19identity_decomposerEEEEEvT0_T1_T2_T3_T4_SL_jT5_PKSL_NS1_7vsmem_tE.has_recursion, 0
	.set _ZN7rocprim17ROCPRIM_304000_NS6detail35device_block_merge_mergepath_kernelINS1_37wrapped_merge_sort_block_merge_configINS0_14default_configEiN2at4cuda3cub6detail10OpaqueTypeILi8EEEEEPiSC_PSA_SD_jNS1_19radix_merge_compareILb1ELb0EiNS0_19identity_decomposerEEEEEvT0_T1_T2_T3_T4_SL_jT5_PKSL_NS1_7vsmem_tE.has_indirect_call, 0
	.section	.AMDGPU.csdata,"",@progbits
; Kernel info:
; codeLenInByte = 3272
; TotalNumSgprs: 36
; NumVgprs: 24
; ScratchSize: 0
; MemoryBound: 0
; FloatMode: 240
; IeeeMode: 1
; LDSByteSize: 4112 bytes/workgroup (compile time only)
; SGPRBlocks: 8
; VGPRBlocks: 7
; NumSGPRsForWavesPerEU: 65
; NumVGPRsForWavesPerEU: 29
; Occupancy: 8
; WaveLimiterHint : 1
; COMPUTE_PGM_RSRC2:SCRATCH_EN: 0
; COMPUTE_PGM_RSRC2:USER_SGPR: 6
; COMPUTE_PGM_RSRC2:TRAP_HANDLER: 0
; COMPUTE_PGM_RSRC2:TGID_X_EN: 1
; COMPUTE_PGM_RSRC2:TGID_Y_EN: 1
; COMPUTE_PGM_RSRC2:TGID_Z_EN: 1
; COMPUTE_PGM_RSRC2:TIDIG_COMP_CNT: 0
	.section	.text._ZN7rocprim17ROCPRIM_304000_NS6detail33device_block_merge_oddeven_kernelINS1_37wrapped_merge_sort_block_merge_configINS0_14default_configEiN2at4cuda3cub6detail10OpaqueTypeILi8EEEEEPiSC_PSA_SD_jNS1_19radix_merge_compareILb1ELb0EiNS0_19identity_decomposerEEEEEvT0_T1_T2_T3_T4_SL_T5_,"axG",@progbits,_ZN7rocprim17ROCPRIM_304000_NS6detail33device_block_merge_oddeven_kernelINS1_37wrapped_merge_sort_block_merge_configINS0_14default_configEiN2at4cuda3cub6detail10OpaqueTypeILi8EEEEEPiSC_PSA_SD_jNS1_19radix_merge_compareILb1ELb0EiNS0_19identity_decomposerEEEEEvT0_T1_T2_T3_T4_SL_T5_,comdat
	.protected	_ZN7rocprim17ROCPRIM_304000_NS6detail33device_block_merge_oddeven_kernelINS1_37wrapped_merge_sort_block_merge_configINS0_14default_configEiN2at4cuda3cub6detail10OpaqueTypeILi8EEEEEPiSC_PSA_SD_jNS1_19radix_merge_compareILb1ELb0EiNS0_19identity_decomposerEEEEEvT0_T1_T2_T3_T4_SL_T5_ ; -- Begin function _ZN7rocprim17ROCPRIM_304000_NS6detail33device_block_merge_oddeven_kernelINS1_37wrapped_merge_sort_block_merge_configINS0_14default_configEiN2at4cuda3cub6detail10OpaqueTypeILi8EEEEEPiSC_PSA_SD_jNS1_19radix_merge_compareILb1ELb0EiNS0_19identity_decomposerEEEEEvT0_T1_T2_T3_T4_SL_T5_
	.globl	_ZN7rocprim17ROCPRIM_304000_NS6detail33device_block_merge_oddeven_kernelINS1_37wrapped_merge_sort_block_merge_configINS0_14default_configEiN2at4cuda3cub6detail10OpaqueTypeILi8EEEEEPiSC_PSA_SD_jNS1_19radix_merge_compareILb1ELb0EiNS0_19identity_decomposerEEEEEvT0_T1_T2_T3_T4_SL_T5_
	.p2align	8
	.type	_ZN7rocprim17ROCPRIM_304000_NS6detail33device_block_merge_oddeven_kernelINS1_37wrapped_merge_sort_block_merge_configINS0_14default_configEiN2at4cuda3cub6detail10OpaqueTypeILi8EEEEEPiSC_PSA_SD_jNS1_19radix_merge_compareILb1ELb0EiNS0_19identity_decomposerEEEEEvT0_T1_T2_T3_T4_SL_T5_,@function
_ZN7rocprim17ROCPRIM_304000_NS6detail33device_block_merge_oddeven_kernelINS1_37wrapped_merge_sort_block_merge_configINS0_14default_configEiN2at4cuda3cub6detail10OpaqueTypeILi8EEEEEPiSC_PSA_SD_jNS1_19radix_merge_compareILb1ELb0EiNS0_19identity_decomposerEEEEEvT0_T1_T2_T3_T4_SL_T5_: ; @_ZN7rocprim17ROCPRIM_304000_NS6detail33device_block_merge_oddeven_kernelINS1_37wrapped_merge_sort_block_merge_configINS0_14default_configEiN2at4cuda3cub6detail10OpaqueTypeILi8EEEEEPiSC_PSA_SD_jNS1_19radix_merge_compareILb1ELb0EiNS0_19identity_decomposerEEEEEvT0_T1_T2_T3_T4_SL_T5_
; %bb.0:
	s_load_dwordx2 s[18:19], s[4:5], 0x20
	s_waitcnt lgkmcnt(0)
	s_lshr_b32 s0, s18, 7
	s_cmp_eq_u32 s6, s0
	s_cselect_b64 s[16:17], -1, 0
	s_cmp_lg_u32 s6, s0
	s_cselect_b64 s[0:1], -1, 0
	s_lshl_b32 s20, s6, 7
	s_sub_i32 s2, s18, s20
	v_cmp_gt_u32_e64 s[2:3], s2, v0
	s_or_b64 s[0:1], s[0:1], s[2:3]
	s_and_saveexec_b64 s[8:9], s[0:1]
	s_cbranch_execz .LBB78_24
; %bb.1:
	s_load_dwordx8 s[8:15], s[4:5], 0x0
	s_mov_b32 s21, 0
	s_lshl_b64 s[0:1], s[20:21], 2
	v_lshlrev_b32_e32 v4, 3, v0
	v_lshlrev_b32_e32 v3, 2, v0
	s_waitcnt lgkmcnt(0)
	s_add_u32 s0, s8, s0
	s_addc_u32 s1, s9, s1
	s_lshl_b64 s[4:5], s[20:21], 3
	s_add_u32 s4, s12, s4
	s_addc_u32 s5, s13, s5
	global_load_dwordx2 v[1:2], v4, s[4:5]
	global_load_dword v5, v3, s[0:1]
	s_lshr_b32 s0, s19, 7
	s_sub_i32 s1, 0, s0
	s_and_b32 s1, s6, s1
	s_and_b32 s0, s1, s0
	s_lshl_b32 s13, s1, 7
	s_sub_i32 s6, 0, s19
	s_cmp_eq_u32 s0, 0
	s_cselect_b64 s[0:1], -1, 0
	s_and_b64 s[4:5], s[0:1], exec
	s_cselect_b32 s6, s19, s6
	s_add_i32 s6, s6, s13
	s_mov_b64 s[4:5], -1
	s_cmp_gt_u32 s18, s6
	v_add_u32_e32 v3, s20, v0
	s_cbranch_scc1 .LBB78_9
; %bb.2:
	s_and_b64 vcc, exec, s[16:17]
	s_cbranch_vccz .LBB78_6
; %bb.3:
	v_cmp_gt_u32_e32 vcc, s18, v3
	s_and_saveexec_b64 s[4:5], vcc
	s_cbranch_execz .LBB78_5
; %bb.4:
	v_mov_b32_e32 v4, 0
	v_lshlrev_b64 v[6:7], 3, v[3:4]
	v_mov_b32_e32 v0, s15
	v_add_co_u32_e32 v6, vcc, s14, v6
	v_lshlrev_b64 v[8:9], 2, v[3:4]
	v_addc_co_u32_e32 v7, vcc, v0, v7, vcc
	v_mov_b32_e32 v0, s11
	v_add_co_u32_e32 v8, vcc, s10, v8
	v_addc_co_u32_e32 v9, vcc, v0, v9, vcc
	s_waitcnt vmcnt(0)
	global_store_dword v[8:9], v5, off
	global_store_dwordx2 v[6:7], v[1:2], off
.LBB78_5:
	s_or_b64 exec, exec, s[4:5]
	s_mov_b64 s[4:5], 0
.LBB78_6:
	s_andn2_b64 vcc, exec, s[4:5]
	s_cbranch_vccnz .LBB78_8
; %bb.7:
	v_mov_b32_e32 v4, 0
	v_lshlrev_b64 v[6:7], 2, v[3:4]
	v_mov_b32_e32 v0, s11
	v_add_co_u32_e32 v6, vcc, s10, v6
	v_lshlrev_b64 v[8:9], 3, v[3:4]
	v_addc_co_u32_e32 v7, vcc, v0, v7, vcc
	v_mov_b32_e32 v0, s15
	v_add_co_u32_e32 v8, vcc, s14, v8
	v_addc_co_u32_e32 v9, vcc, v0, v9, vcc
	s_waitcnt vmcnt(0)
	global_store_dword v[6:7], v5, off
	global_store_dwordx2 v[8:9], v[1:2], off
.LBB78_8:
	s_mov_b64 s[4:5], 0
.LBB78_9:
	s_andn2_b64 vcc, exec, s[4:5]
	s_cbranch_vccnz .LBB78_24
; %bb.10:
	s_min_u32 s7, s6, s18
	s_add_i32 s4, s7, s19
	s_min_u32 s12, s4, s18
	s_min_u32 s4, s13, s7
	s_add_i32 s13, s13, s7
	v_subrev_u32_e32 v0, s13, v3
	v_add_u32_e32 v0, s4, v0
	s_andn2_b64 vcc, exec, s[16:17]
	s_mov_b64 s[4:5], -1
	s_cbranch_vccnz .LBB78_18
; %bb.11:
	s_and_saveexec_b64 s[4:5], s[2:3]
	s_cbranch_execz .LBB78_17
; %bb.12:
	s_cmp_ge_u32 s6, s12
	v_mov_b32_e32 v6, s7
	s_cbranch_scc1 .LBB78_16
; %bb.13:
	s_mov_b64 s[2:3], 0
	v_mov_b32_e32 v7, s12
	v_mov_b32_e32 v6, s7
	;; [unrolled: 1-line block ×4, first 2 shown]
.LBB78_14:                              ; =>This Inner Loop Header: Depth=1
	v_add_u32_e32 v3, v6, v7
	v_lshrrev_b32_e32 v3, 1, v3
	v_lshlrev_b64 v[9:10], 2, v[3:4]
	v_add_co_u32_e32 v9, vcc, s8, v9
	v_addc_co_u32_e32 v10, vcc, v8, v10, vcc
	global_load_dword v9, v[9:10], off
	v_add_u32_e32 v10, 1, v3
	s_waitcnt vmcnt(0)
	v_cmp_gt_i32_e32 vcc, v9, v5
	v_cndmask_b32_e64 v11, 0, 1, vcc
	v_cmp_le_i32_e32 vcc, v5, v9
	v_cndmask_b32_e64 v9, 0, 1, vcc
	v_cndmask_b32_e64 v9, v9, v11, s[0:1]
	v_and_b32_e32 v9, 1, v9
	v_cmp_eq_u32_e32 vcc, 1, v9
	v_cndmask_b32_e32 v7, v3, v7, vcc
	v_cndmask_b32_e32 v6, v6, v10, vcc
	v_cmp_ge_u32_e32 vcc, v6, v7
	s_or_b64 s[2:3], vcc, s[2:3]
	s_andn2_b64 exec, exec, s[2:3]
	s_cbranch_execnz .LBB78_14
; %bb.15:
	s_or_b64 exec, exec, s[2:3]
.LBB78_16:
	v_add_u32_e32 v3, v6, v0
	v_mov_b32_e32 v4, 0
	v_lshlrev_b64 v[6:7], 2, v[3:4]
	v_mov_b32_e32 v8, s11
	v_add_co_u32_e32 v6, vcc, s10, v6
	v_lshlrev_b64 v[3:4], 3, v[3:4]
	v_addc_co_u32_e32 v7, vcc, v8, v7, vcc
	s_waitcnt vmcnt(0)
	global_store_dword v[6:7], v5, off
	v_mov_b32_e32 v6, s15
	v_add_co_u32_e32 v3, vcc, s14, v3
	v_addc_co_u32_e32 v4, vcc, v6, v4, vcc
	global_store_dwordx2 v[3:4], v[1:2], off
.LBB78_17:
	s_or_b64 exec, exec, s[4:5]
	s_mov_b64 s[4:5], 0
.LBB78_18:
	s_andn2_b64 vcc, exec, s[4:5]
	s_cbranch_vccnz .LBB78_24
; %bb.19:
	s_cmp_ge_u32 s6, s12
	v_mov_b32_e32 v6, s7
	s_cbranch_scc1 .LBB78_23
; %bb.20:
	s_mov_b64 s[2:3], 0
	v_mov_b32_e32 v7, s12
	v_mov_b32_e32 v6, s7
	;; [unrolled: 1-line block ×4, first 2 shown]
.LBB78_21:                              ; =>This Inner Loop Header: Depth=1
	v_add_u32_e32 v3, v6, v7
	v_lshrrev_b32_e32 v3, 1, v3
	v_lshlrev_b64 v[9:10], 2, v[3:4]
	v_add_co_u32_e32 v9, vcc, s8, v9
	v_addc_co_u32_e32 v10, vcc, v8, v10, vcc
	global_load_dword v9, v[9:10], off
	v_add_u32_e32 v10, 1, v3
	s_waitcnt vmcnt(0)
	v_cmp_gt_i32_e32 vcc, v9, v5
	v_cndmask_b32_e64 v11, 0, 1, vcc
	v_cmp_le_i32_e32 vcc, v5, v9
	v_cndmask_b32_e64 v9, 0, 1, vcc
	v_cndmask_b32_e64 v9, v9, v11, s[0:1]
	v_and_b32_e32 v9, 1, v9
	v_cmp_eq_u32_e32 vcc, 1, v9
	v_cndmask_b32_e32 v7, v3, v7, vcc
	v_cndmask_b32_e32 v6, v6, v10, vcc
	v_cmp_ge_u32_e32 vcc, v6, v7
	s_or_b64 s[2:3], vcc, s[2:3]
	s_andn2_b64 exec, exec, s[2:3]
	s_cbranch_execnz .LBB78_21
; %bb.22:
	s_or_b64 exec, exec, s[2:3]
.LBB78_23:
	v_add_u32_e32 v3, v6, v0
	v_mov_b32_e32 v4, 0
	v_lshlrev_b64 v[6:7], 2, v[3:4]
	v_mov_b32_e32 v0, s11
	v_add_co_u32_e32 v6, vcc, s10, v6
	v_lshlrev_b64 v[3:4], 3, v[3:4]
	v_addc_co_u32_e32 v7, vcc, v0, v7, vcc
	v_mov_b32_e32 v0, s15
	v_add_co_u32_e32 v3, vcc, s14, v3
	v_addc_co_u32_e32 v4, vcc, v0, v4, vcc
	s_waitcnt vmcnt(0)
	global_store_dword v[6:7], v5, off
	global_store_dwordx2 v[3:4], v[1:2], off
.LBB78_24:
	s_endpgm
	.section	.rodata,"a",@progbits
	.p2align	6, 0x0
	.amdhsa_kernel _ZN7rocprim17ROCPRIM_304000_NS6detail33device_block_merge_oddeven_kernelINS1_37wrapped_merge_sort_block_merge_configINS0_14default_configEiN2at4cuda3cub6detail10OpaqueTypeILi8EEEEEPiSC_PSA_SD_jNS1_19radix_merge_compareILb1ELb0EiNS0_19identity_decomposerEEEEEvT0_T1_T2_T3_T4_SL_T5_
		.amdhsa_group_segment_fixed_size 0
		.amdhsa_private_segment_fixed_size 0
		.amdhsa_kernarg_size 44
		.amdhsa_user_sgpr_count 6
		.amdhsa_user_sgpr_private_segment_buffer 1
		.amdhsa_user_sgpr_dispatch_ptr 0
		.amdhsa_user_sgpr_queue_ptr 0
		.amdhsa_user_sgpr_kernarg_segment_ptr 1
		.amdhsa_user_sgpr_dispatch_id 0
		.amdhsa_user_sgpr_flat_scratch_init 0
		.amdhsa_user_sgpr_private_segment_size 0
		.amdhsa_uses_dynamic_stack 0
		.amdhsa_system_sgpr_private_segment_wavefront_offset 0
		.amdhsa_system_sgpr_workgroup_id_x 1
		.amdhsa_system_sgpr_workgroup_id_y 0
		.amdhsa_system_sgpr_workgroup_id_z 0
		.amdhsa_system_sgpr_workgroup_info 0
		.amdhsa_system_vgpr_workitem_id 0
		.amdhsa_next_free_vgpr 12
		.amdhsa_next_free_sgpr 22
		.amdhsa_reserve_vcc 1
		.amdhsa_reserve_flat_scratch 0
		.amdhsa_float_round_mode_32 0
		.amdhsa_float_round_mode_16_64 0
		.amdhsa_float_denorm_mode_32 3
		.amdhsa_float_denorm_mode_16_64 3
		.amdhsa_dx10_clamp 1
		.amdhsa_ieee_mode 1
		.amdhsa_fp16_overflow 0
		.amdhsa_exception_fp_ieee_invalid_op 0
		.amdhsa_exception_fp_denorm_src 0
		.amdhsa_exception_fp_ieee_div_zero 0
		.amdhsa_exception_fp_ieee_overflow 0
		.amdhsa_exception_fp_ieee_underflow 0
		.amdhsa_exception_fp_ieee_inexact 0
		.amdhsa_exception_int_div_zero 0
	.end_amdhsa_kernel
	.section	.text._ZN7rocprim17ROCPRIM_304000_NS6detail33device_block_merge_oddeven_kernelINS1_37wrapped_merge_sort_block_merge_configINS0_14default_configEiN2at4cuda3cub6detail10OpaqueTypeILi8EEEEEPiSC_PSA_SD_jNS1_19radix_merge_compareILb1ELb0EiNS0_19identity_decomposerEEEEEvT0_T1_T2_T3_T4_SL_T5_,"axG",@progbits,_ZN7rocprim17ROCPRIM_304000_NS6detail33device_block_merge_oddeven_kernelINS1_37wrapped_merge_sort_block_merge_configINS0_14default_configEiN2at4cuda3cub6detail10OpaqueTypeILi8EEEEEPiSC_PSA_SD_jNS1_19radix_merge_compareILb1ELb0EiNS0_19identity_decomposerEEEEEvT0_T1_T2_T3_T4_SL_T5_,comdat
.Lfunc_end78:
	.size	_ZN7rocprim17ROCPRIM_304000_NS6detail33device_block_merge_oddeven_kernelINS1_37wrapped_merge_sort_block_merge_configINS0_14default_configEiN2at4cuda3cub6detail10OpaqueTypeILi8EEEEEPiSC_PSA_SD_jNS1_19radix_merge_compareILb1ELb0EiNS0_19identity_decomposerEEEEEvT0_T1_T2_T3_T4_SL_T5_, .Lfunc_end78-_ZN7rocprim17ROCPRIM_304000_NS6detail33device_block_merge_oddeven_kernelINS1_37wrapped_merge_sort_block_merge_configINS0_14default_configEiN2at4cuda3cub6detail10OpaqueTypeILi8EEEEEPiSC_PSA_SD_jNS1_19radix_merge_compareILb1ELb0EiNS0_19identity_decomposerEEEEEvT0_T1_T2_T3_T4_SL_T5_
                                        ; -- End function
	.set _ZN7rocprim17ROCPRIM_304000_NS6detail33device_block_merge_oddeven_kernelINS1_37wrapped_merge_sort_block_merge_configINS0_14default_configEiN2at4cuda3cub6detail10OpaqueTypeILi8EEEEEPiSC_PSA_SD_jNS1_19radix_merge_compareILb1ELb0EiNS0_19identity_decomposerEEEEEvT0_T1_T2_T3_T4_SL_T5_.num_vgpr, 12
	.set _ZN7rocprim17ROCPRIM_304000_NS6detail33device_block_merge_oddeven_kernelINS1_37wrapped_merge_sort_block_merge_configINS0_14default_configEiN2at4cuda3cub6detail10OpaqueTypeILi8EEEEEPiSC_PSA_SD_jNS1_19radix_merge_compareILb1ELb0EiNS0_19identity_decomposerEEEEEvT0_T1_T2_T3_T4_SL_T5_.num_agpr, 0
	.set _ZN7rocprim17ROCPRIM_304000_NS6detail33device_block_merge_oddeven_kernelINS1_37wrapped_merge_sort_block_merge_configINS0_14default_configEiN2at4cuda3cub6detail10OpaqueTypeILi8EEEEEPiSC_PSA_SD_jNS1_19radix_merge_compareILb1ELb0EiNS0_19identity_decomposerEEEEEvT0_T1_T2_T3_T4_SL_T5_.numbered_sgpr, 22
	.set _ZN7rocprim17ROCPRIM_304000_NS6detail33device_block_merge_oddeven_kernelINS1_37wrapped_merge_sort_block_merge_configINS0_14default_configEiN2at4cuda3cub6detail10OpaqueTypeILi8EEEEEPiSC_PSA_SD_jNS1_19radix_merge_compareILb1ELb0EiNS0_19identity_decomposerEEEEEvT0_T1_T2_T3_T4_SL_T5_.num_named_barrier, 0
	.set _ZN7rocprim17ROCPRIM_304000_NS6detail33device_block_merge_oddeven_kernelINS1_37wrapped_merge_sort_block_merge_configINS0_14default_configEiN2at4cuda3cub6detail10OpaqueTypeILi8EEEEEPiSC_PSA_SD_jNS1_19radix_merge_compareILb1ELb0EiNS0_19identity_decomposerEEEEEvT0_T1_T2_T3_T4_SL_T5_.private_seg_size, 0
	.set _ZN7rocprim17ROCPRIM_304000_NS6detail33device_block_merge_oddeven_kernelINS1_37wrapped_merge_sort_block_merge_configINS0_14default_configEiN2at4cuda3cub6detail10OpaqueTypeILi8EEEEEPiSC_PSA_SD_jNS1_19radix_merge_compareILb1ELb0EiNS0_19identity_decomposerEEEEEvT0_T1_T2_T3_T4_SL_T5_.uses_vcc, 1
	.set _ZN7rocprim17ROCPRIM_304000_NS6detail33device_block_merge_oddeven_kernelINS1_37wrapped_merge_sort_block_merge_configINS0_14default_configEiN2at4cuda3cub6detail10OpaqueTypeILi8EEEEEPiSC_PSA_SD_jNS1_19radix_merge_compareILb1ELb0EiNS0_19identity_decomposerEEEEEvT0_T1_T2_T3_T4_SL_T5_.uses_flat_scratch, 0
	.set _ZN7rocprim17ROCPRIM_304000_NS6detail33device_block_merge_oddeven_kernelINS1_37wrapped_merge_sort_block_merge_configINS0_14default_configEiN2at4cuda3cub6detail10OpaqueTypeILi8EEEEEPiSC_PSA_SD_jNS1_19radix_merge_compareILb1ELb0EiNS0_19identity_decomposerEEEEEvT0_T1_T2_T3_T4_SL_T5_.has_dyn_sized_stack, 0
	.set _ZN7rocprim17ROCPRIM_304000_NS6detail33device_block_merge_oddeven_kernelINS1_37wrapped_merge_sort_block_merge_configINS0_14default_configEiN2at4cuda3cub6detail10OpaqueTypeILi8EEEEEPiSC_PSA_SD_jNS1_19radix_merge_compareILb1ELb0EiNS0_19identity_decomposerEEEEEvT0_T1_T2_T3_T4_SL_T5_.has_recursion, 0
	.set _ZN7rocprim17ROCPRIM_304000_NS6detail33device_block_merge_oddeven_kernelINS1_37wrapped_merge_sort_block_merge_configINS0_14default_configEiN2at4cuda3cub6detail10OpaqueTypeILi8EEEEEPiSC_PSA_SD_jNS1_19radix_merge_compareILb1ELb0EiNS0_19identity_decomposerEEEEEvT0_T1_T2_T3_T4_SL_T5_.has_indirect_call, 0
	.section	.AMDGPU.csdata,"",@progbits
; Kernel info:
; codeLenInByte = 844
; TotalNumSgprs: 26
; NumVgprs: 12
; ScratchSize: 0
; MemoryBound: 0
; FloatMode: 240
; IeeeMode: 1
; LDSByteSize: 0 bytes/workgroup (compile time only)
; SGPRBlocks: 3
; VGPRBlocks: 2
; NumSGPRsForWavesPerEU: 26
; NumVGPRsForWavesPerEU: 12
; Occupancy: 10
; WaveLimiterHint : 0
; COMPUTE_PGM_RSRC2:SCRATCH_EN: 0
; COMPUTE_PGM_RSRC2:USER_SGPR: 6
; COMPUTE_PGM_RSRC2:TRAP_HANDLER: 0
; COMPUTE_PGM_RSRC2:TGID_X_EN: 1
; COMPUTE_PGM_RSRC2:TGID_Y_EN: 0
; COMPUTE_PGM_RSRC2:TGID_Z_EN: 0
; COMPUTE_PGM_RSRC2:TIDIG_COMP_CNT: 0
	.section	.text._ZN7rocprim17ROCPRIM_304000_NS6detail16transform_kernelINS1_24wrapped_transform_configINS0_14default_configEiEEiPiS6_NS0_8identityIiEEEEvT1_mT2_T3_,"axG",@progbits,_ZN7rocprim17ROCPRIM_304000_NS6detail16transform_kernelINS1_24wrapped_transform_configINS0_14default_configEiEEiPiS6_NS0_8identityIiEEEEvT1_mT2_T3_,comdat
	.protected	_ZN7rocprim17ROCPRIM_304000_NS6detail16transform_kernelINS1_24wrapped_transform_configINS0_14default_configEiEEiPiS6_NS0_8identityIiEEEEvT1_mT2_T3_ ; -- Begin function _ZN7rocprim17ROCPRIM_304000_NS6detail16transform_kernelINS1_24wrapped_transform_configINS0_14default_configEiEEiPiS6_NS0_8identityIiEEEEvT1_mT2_T3_
	.globl	_ZN7rocprim17ROCPRIM_304000_NS6detail16transform_kernelINS1_24wrapped_transform_configINS0_14default_configEiEEiPiS6_NS0_8identityIiEEEEvT1_mT2_T3_
	.p2align	8
	.type	_ZN7rocprim17ROCPRIM_304000_NS6detail16transform_kernelINS1_24wrapped_transform_configINS0_14default_configEiEEiPiS6_NS0_8identityIiEEEEvT1_mT2_T3_,@function
_ZN7rocprim17ROCPRIM_304000_NS6detail16transform_kernelINS1_24wrapped_transform_configINS0_14default_configEiEEiPiS6_NS0_8identityIiEEEEvT1_mT2_T3_: ; @_ZN7rocprim17ROCPRIM_304000_NS6detail16transform_kernelINS1_24wrapped_transform_configINS0_14default_configEiEEiPiS6_NS0_8identityIiEEEEvT1_mT2_T3_
; %bb.0:
	s_load_dword s7, s[4:5], 0x20
	s_load_dwordx4 s[0:3], s[4:5], 0x0
	s_load_dwordx2 s[8:9], s[4:5], 0x10
	s_lshl_b32 s10, s6, 11
	s_mov_b32 s11, 0
	s_waitcnt lgkmcnt(0)
	s_add_i32 s7, s7, -1
	s_lshl_b64 s[4:5], s[10:11], 2
	s_add_u32 s0, s0, s4
	s_addc_u32 s1, s1, s5
	v_lshlrev_b32_e32 v5, 2, v0
	v_mov_b32_e32 v2, s1
	v_add_co_u32_e32 v1, vcc, s0, v5
	s_cmp_lg_u32 s6, s7
	v_addc_co_u32_e32 v2, vcc, 0, v2, vcc
	s_cbranch_scc0 .LBB79_2
; %bb.1:
	v_add_co_u32_e32 v3, vcc, 0x1000, v1
	global_load_dword v6, v[1:2], off
	v_addc_co_u32_e32 v4, vcc, 0, v2, vcc
	global_load_dword v3, v[3:4], off
	s_add_u32 s0, s8, s4
	s_addc_u32 s1, s9, s5
	s_mov_b64 s[6:7], -1
	s_waitcnt vmcnt(1)
	global_store_dword v5, v6, s[0:1]
	s_cbranch_execz .LBB79_3
	s_branch .LBB79_10
.LBB79_2:
	s_mov_b64 s[6:7], 0
                                        ; implicit-def: $vgpr3
.LBB79_3:
	s_sub_i32 s10, s2, s10
	s_waitcnt vmcnt(1)
	v_mov_b32_e32 v3, 0
	v_cmp_gt_u32_e64 s[0:1], s10, v0
	v_mov_b32_e32 v4, v3
	s_and_saveexec_b64 s[2:3], s[0:1]
	s_cbranch_execz .LBB79_5
; %bb.4:
	global_load_dword v6, v[1:2], off
	v_mov_b32_e32 v7, v3
	s_waitcnt vmcnt(0)
	v_mov_b32_e32 v3, v6
	v_mov_b32_e32 v4, v7
.LBB79_5:
	s_or_b64 exec, exec, s[2:3]
	v_or_b32_e32 v0, 0x400, v0
	v_cmp_gt_u32_e64 s[2:3], s10, v0
	s_and_saveexec_b64 s[10:11], s[2:3]
	s_cbranch_execnz .LBB79_13
; %bb.6:
	s_or_b64 exec, exec, s[10:11]
	v_cndmask_b32_e64 v0, 0, v3, s[0:1]
	s_and_saveexec_b64 s[10:11], s[0:1]
	s_cbranch_execnz .LBB79_14
.LBB79_7:
	s_or_b64 exec, exec, s[10:11]
                                        ; implicit-def: $vgpr3
	s_and_saveexec_b64 s[0:1], s[2:3]
	s_cbranch_execz .LBB79_9
.LBB79_8:
	s_waitcnt vmcnt(0)
	v_cndmask_b32_e64 v3, 0, v4, s[2:3]
	s_or_b64 s[6:7], s[6:7], exec
.LBB79_9:
	s_or_b64 exec, exec, s[0:1]
.LBB79_10:
	s_and_saveexec_b64 s[0:1], s[6:7]
	s_cbranch_execnz .LBB79_12
; %bb.11:
	s_endpgm
.LBB79_12:
	s_add_u32 s0, s8, s4
	s_addc_u32 s1, s9, s5
	v_mov_b32_e32 v0, s1
	v_add_co_u32_e32 v1, vcc, s0, v5
	v_addc_co_u32_e32 v2, vcc, 0, v0, vcc
	v_add_co_u32_e32 v0, vcc, 0x1000, v1
	v_addc_co_u32_e32 v1, vcc, 0, v2, vcc
	s_waitcnt vmcnt(1)
	global_store_dword v[0:1], v3, off
	s_endpgm
.LBB79_13:
	v_add_co_u32_e32 v0, vcc, 0x1000, v1
	v_addc_co_u32_e32 v1, vcc, 0, v2, vcc
	global_load_dword v4, v[0:1], off
	s_or_b64 exec, exec, s[10:11]
	v_cndmask_b32_e64 v0, 0, v3, s[0:1]
	s_and_saveexec_b64 s[10:11], s[0:1]
	s_cbranch_execz .LBB79_7
.LBB79_14:
	s_add_u32 s0, s8, s4
	s_addc_u32 s1, s9, s5
	global_store_dword v5, v0, s[0:1]
	s_or_b64 exec, exec, s[10:11]
                                        ; implicit-def: $vgpr3
	s_and_saveexec_b64 s[0:1], s[2:3]
	s_cbranch_execnz .LBB79_8
	s_branch .LBB79_9
	.section	.rodata,"a",@progbits
	.p2align	6, 0x0
	.amdhsa_kernel _ZN7rocprim17ROCPRIM_304000_NS6detail16transform_kernelINS1_24wrapped_transform_configINS0_14default_configEiEEiPiS6_NS0_8identityIiEEEEvT1_mT2_T3_
		.amdhsa_group_segment_fixed_size 0
		.amdhsa_private_segment_fixed_size 0
		.amdhsa_kernarg_size 288
		.amdhsa_user_sgpr_count 6
		.amdhsa_user_sgpr_private_segment_buffer 1
		.amdhsa_user_sgpr_dispatch_ptr 0
		.amdhsa_user_sgpr_queue_ptr 0
		.amdhsa_user_sgpr_kernarg_segment_ptr 1
		.amdhsa_user_sgpr_dispatch_id 0
		.amdhsa_user_sgpr_flat_scratch_init 0
		.amdhsa_user_sgpr_private_segment_size 0
		.amdhsa_uses_dynamic_stack 0
		.amdhsa_system_sgpr_private_segment_wavefront_offset 0
		.amdhsa_system_sgpr_workgroup_id_x 1
		.amdhsa_system_sgpr_workgroup_id_y 0
		.amdhsa_system_sgpr_workgroup_id_z 0
		.amdhsa_system_sgpr_workgroup_info 0
		.amdhsa_system_vgpr_workitem_id 0
		.amdhsa_next_free_vgpr 8
		.amdhsa_next_free_sgpr 12
		.amdhsa_reserve_vcc 1
		.amdhsa_reserve_flat_scratch 0
		.amdhsa_float_round_mode_32 0
		.amdhsa_float_round_mode_16_64 0
		.amdhsa_float_denorm_mode_32 3
		.amdhsa_float_denorm_mode_16_64 3
		.amdhsa_dx10_clamp 1
		.amdhsa_ieee_mode 1
		.amdhsa_fp16_overflow 0
		.amdhsa_exception_fp_ieee_invalid_op 0
		.amdhsa_exception_fp_denorm_src 0
		.amdhsa_exception_fp_ieee_div_zero 0
		.amdhsa_exception_fp_ieee_overflow 0
		.amdhsa_exception_fp_ieee_underflow 0
		.amdhsa_exception_fp_ieee_inexact 0
		.amdhsa_exception_int_div_zero 0
	.end_amdhsa_kernel
	.section	.text._ZN7rocprim17ROCPRIM_304000_NS6detail16transform_kernelINS1_24wrapped_transform_configINS0_14default_configEiEEiPiS6_NS0_8identityIiEEEEvT1_mT2_T3_,"axG",@progbits,_ZN7rocprim17ROCPRIM_304000_NS6detail16transform_kernelINS1_24wrapped_transform_configINS0_14default_configEiEEiPiS6_NS0_8identityIiEEEEvT1_mT2_T3_,comdat
.Lfunc_end79:
	.size	_ZN7rocprim17ROCPRIM_304000_NS6detail16transform_kernelINS1_24wrapped_transform_configINS0_14default_configEiEEiPiS6_NS0_8identityIiEEEEvT1_mT2_T3_, .Lfunc_end79-_ZN7rocprim17ROCPRIM_304000_NS6detail16transform_kernelINS1_24wrapped_transform_configINS0_14default_configEiEEiPiS6_NS0_8identityIiEEEEvT1_mT2_T3_
                                        ; -- End function
	.set _ZN7rocprim17ROCPRIM_304000_NS6detail16transform_kernelINS1_24wrapped_transform_configINS0_14default_configEiEEiPiS6_NS0_8identityIiEEEEvT1_mT2_T3_.num_vgpr, 8
	.set _ZN7rocprim17ROCPRIM_304000_NS6detail16transform_kernelINS1_24wrapped_transform_configINS0_14default_configEiEEiPiS6_NS0_8identityIiEEEEvT1_mT2_T3_.num_agpr, 0
	.set _ZN7rocprim17ROCPRIM_304000_NS6detail16transform_kernelINS1_24wrapped_transform_configINS0_14default_configEiEEiPiS6_NS0_8identityIiEEEEvT1_mT2_T3_.numbered_sgpr, 12
	.set _ZN7rocprim17ROCPRIM_304000_NS6detail16transform_kernelINS1_24wrapped_transform_configINS0_14default_configEiEEiPiS6_NS0_8identityIiEEEEvT1_mT2_T3_.num_named_barrier, 0
	.set _ZN7rocprim17ROCPRIM_304000_NS6detail16transform_kernelINS1_24wrapped_transform_configINS0_14default_configEiEEiPiS6_NS0_8identityIiEEEEvT1_mT2_T3_.private_seg_size, 0
	.set _ZN7rocprim17ROCPRIM_304000_NS6detail16transform_kernelINS1_24wrapped_transform_configINS0_14default_configEiEEiPiS6_NS0_8identityIiEEEEvT1_mT2_T3_.uses_vcc, 1
	.set _ZN7rocprim17ROCPRIM_304000_NS6detail16transform_kernelINS1_24wrapped_transform_configINS0_14default_configEiEEiPiS6_NS0_8identityIiEEEEvT1_mT2_T3_.uses_flat_scratch, 0
	.set _ZN7rocprim17ROCPRIM_304000_NS6detail16transform_kernelINS1_24wrapped_transform_configINS0_14default_configEiEEiPiS6_NS0_8identityIiEEEEvT1_mT2_T3_.has_dyn_sized_stack, 0
	.set _ZN7rocprim17ROCPRIM_304000_NS6detail16transform_kernelINS1_24wrapped_transform_configINS0_14default_configEiEEiPiS6_NS0_8identityIiEEEEvT1_mT2_T3_.has_recursion, 0
	.set _ZN7rocprim17ROCPRIM_304000_NS6detail16transform_kernelINS1_24wrapped_transform_configINS0_14default_configEiEEiPiS6_NS0_8identityIiEEEEvT1_mT2_T3_.has_indirect_call, 0
	.section	.AMDGPU.csdata,"",@progbits
; Kernel info:
; codeLenInByte = 408
; TotalNumSgprs: 16
; NumVgprs: 8
; ScratchSize: 0
; MemoryBound: 0
; FloatMode: 240
; IeeeMode: 1
; LDSByteSize: 0 bytes/workgroup (compile time only)
; SGPRBlocks: 1
; VGPRBlocks: 1
; NumSGPRsForWavesPerEU: 16
; NumVGPRsForWavesPerEU: 8
; Occupancy: 10
; WaveLimiterHint : 1
; COMPUTE_PGM_RSRC2:SCRATCH_EN: 0
; COMPUTE_PGM_RSRC2:USER_SGPR: 6
; COMPUTE_PGM_RSRC2:TRAP_HANDLER: 0
; COMPUTE_PGM_RSRC2:TGID_X_EN: 1
; COMPUTE_PGM_RSRC2:TGID_Y_EN: 0
; COMPUTE_PGM_RSRC2:TGID_Z_EN: 0
; COMPUTE_PGM_RSRC2:TIDIG_COMP_CNT: 0
	.section	.text._ZN7rocprim17ROCPRIM_304000_NS6detail45device_block_merge_mergepath_partition_kernelINS1_37wrapped_merge_sort_block_merge_configINS0_14default_configEiN2at4cuda3cub6detail10OpaqueTypeILi8EEEEEPijNS1_19radix_merge_compareILb1ELb1EiNS0_19identity_decomposerEEEEEvT0_T1_jPSH_T2_SH_,"axG",@progbits,_ZN7rocprim17ROCPRIM_304000_NS6detail45device_block_merge_mergepath_partition_kernelINS1_37wrapped_merge_sort_block_merge_configINS0_14default_configEiN2at4cuda3cub6detail10OpaqueTypeILi8EEEEEPijNS1_19radix_merge_compareILb1ELb1EiNS0_19identity_decomposerEEEEEvT0_T1_jPSH_T2_SH_,comdat
	.protected	_ZN7rocprim17ROCPRIM_304000_NS6detail45device_block_merge_mergepath_partition_kernelINS1_37wrapped_merge_sort_block_merge_configINS0_14default_configEiN2at4cuda3cub6detail10OpaqueTypeILi8EEEEEPijNS1_19radix_merge_compareILb1ELb1EiNS0_19identity_decomposerEEEEEvT0_T1_jPSH_T2_SH_ ; -- Begin function _ZN7rocprim17ROCPRIM_304000_NS6detail45device_block_merge_mergepath_partition_kernelINS1_37wrapped_merge_sort_block_merge_configINS0_14default_configEiN2at4cuda3cub6detail10OpaqueTypeILi8EEEEEPijNS1_19radix_merge_compareILb1ELb1EiNS0_19identity_decomposerEEEEEvT0_T1_jPSH_T2_SH_
	.globl	_ZN7rocprim17ROCPRIM_304000_NS6detail45device_block_merge_mergepath_partition_kernelINS1_37wrapped_merge_sort_block_merge_configINS0_14default_configEiN2at4cuda3cub6detail10OpaqueTypeILi8EEEEEPijNS1_19radix_merge_compareILb1ELb1EiNS0_19identity_decomposerEEEEEvT0_T1_jPSH_T2_SH_
	.p2align	8
	.type	_ZN7rocprim17ROCPRIM_304000_NS6detail45device_block_merge_mergepath_partition_kernelINS1_37wrapped_merge_sort_block_merge_configINS0_14default_configEiN2at4cuda3cub6detail10OpaqueTypeILi8EEEEEPijNS1_19radix_merge_compareILb1ELb1EiNS0_19identity_decomposerEEEEEvT0_T1_jPSH_T2_SH_,@function
_ZN7rocprim17ROCPRIM_304000_NS6detail45device_block_merge_mergepath_partition_kernelINS1_37wrapped_merge_sort_block_merge_configINS0_14default_configEiN2at4cuda3cub6detail10OpaqueTypeILi8EEEEEPijNS1_19radix_merge_compareILb1ELb1EiNS0_19identity_decomposerEEEEEvT0_T1_jPSH_T2_SH_: ; @_ZN7rocprim17ROCPRIM_304000_NS6detail45device_block_merge_mergepath_partition_kernelINS1_37wrapped_merge_sort_block_merge_configINS0_14default_configEiN2at4cuda3cub6detail10OpaqueTypeILi8EEEEEPijNS1_19radix_merge_compareILb1ELb1EiNS0_19identity_decomposerEEEEEvT0_T1_jPSH_T2_SH_
; %bb.0:
	s_load_dwordx2 s[2:3], s[4:5], 0x8
	v_lshl_or_b32 v0, s6, 7, v0
	s_waitcnt lgkmcnt(0)
	v_cmp_gt_u32_e32 vcc, s3, v0
	s_and_saveexec_b64 s[0:1], vcc
	s_cbranch_execz .LBB80_6
; %bb.1:
	s_load_dwordx2 s[0:1], s[4:5], 0x18
	s_waitcnt lgkmcnt(0)
	s_lshr_b32 s3, s1, 8
	s_and_b32 s3, s3, 0xfffffe
	s_add_i32 s6, s3, -1
	s_sub_i32 s3, 0, s3
	v_and_b32_e32 v1, s3, v0
	v_lshlrev_b32_e32 v3, 9, v1
	v_min_u32_e32 v1, s2, v3
	v_add_u32_e32 v3, s1, v3
	v_min_u32_e32 v3, s2, v3
	v_add_u32_e32 v4, s1, v3
	v_and_b32_e32 v2, s6, v0
	v_min_u32_e32 v4, s2, v4
	v_lshlrev_b32_e32 v2, 9, v2
	v_sub_u32_e32 v5, v4, v1
	v_min_u32_e32 v6, v5, v2
	v_sub_u32_e32 v2, v3, v1
	v_sub_u32_e32 v4, v4, v3
	v_sub_u32_e64 v5, v6, v4 clamp
	v_min_u32_e32 v7, v6, v2
	v_cmp_lt_u32_e32 vcc, v5, v7
	s_and_saveexec_b64 s[2:3], vcc
	s_cbranch_execz .LBB80_5
; %bb.2:
	s_load_dwordx2 s[6:7], s[4:5], 0x0
	v_mov_b32_e32 v4, 0
	v_mov_b32_e32 v2, v4
	v_lshlrev_b64 v[8:9], 2, v[1:2]
	s_waitcnt lgkmcnt(0)
	v_mov_b32_e32 v11, s7
	v_add_co_u32_e32 v2, vcc, s6, v8
	v_addc_co_u32_e32 v8, vcc, v11, v9, vcc
	v_lshlrev_b64 v[9:10], 2, v[3:4]
	v_add_co_u32_e32 v9, vcc, s6, v9
	v_addc_co_u32_e32 v10, vcc, v11, v10, vcc
	s_mov_b64 s[6:7], 0
.LBB80_3:                               ; =>This Inner Loop Header: Depth=1
	v_add_u32_e32 v3, v7, v5
	v_lshrrev_b32_e32 v3, 1, v3
	v_lshlrev_b64 v[13:14], 2, v[3:4]
	v_mov_b32_e32 v12, v4
	v_xad_u32 v11, v3, -1, v6
	v_lshlrev_b64 v[11:12], 2, v[11:12]
	v_add_co_u32_e32 v13, vcc, v2, v13
	v_addc_co_u32_e32 v14, vcc, v8, v14, vcc
	v_add_co_u32_e32 v11, vcc, v9, v11
	v_addc_co_u32_e32 v12, vcc, v10, v12, vcc
	global_load_dword v15, v[13:14], off
	global_load_dword v16, v[11:12], off
	v_add_u32_e32 v11, 1, v3
	s_waitcnt vmcnt(1)
	v_and_b32_e32 v12, s0, v15
	s_waitcnt vmcnt(0)
	v_and_b32_e32 v13, s0, v16
	v_cmp_gt_i32_e32 vcc, v13, v12
	v_cndmask_b32_e32 v7, v7, v3, vcc
	v_cndmask_b32_e32 v5, v11, v5, vcc
	v_cmp_ge_u32_e32 vcc, v5, v7
	s_or_b64 s[6:7], vcc, s[6:7]
	s_andn2_b64 exec, exec, s[6:7]
	s_cbranch_execnz .LBB80_3
; %bb.4:
	s_or_b64 exec, exec, s[6:7]
.LBB80_5:
	s_or_b64 exec, exec, s[2:3]
	s_load_dwordx2 s[0:1], s[4:5], 0x10
	v_add_u32_e32 v2, v5, v1
	v_mov_b32_e32 v1, 0
	v_lshlrev_b64 v[0:1], 2, v[0:1]
	s_waitcnt lgkmcnt(0)
	v_mov_b32_e32 v3, s1
	v_add_co_u32_e32 v0, vcc, s0, v0
	v_addc_co_u32_e32 v1, vcc, v3, v1, vcc
	global_store_dword v[0:1], v2, off
.LBB80_6:
	s_endpgm
	.section	.rodata,"a",@progbits
	.p2align	6, 0x0
	.amdhsa_kernel _ZN7rocprim17ROCPRIM_304000_NS6detail45device_block_merge_mergepath_partition_kernelINS1_37wrapped_merge_sort_block_merge_configINS0_14default_configEiN2at4cuda3cub6detail10OpaqueTypeILi8EEEEEPijNS1_19radix_merge_compareILb1ELb1EiNS0_19identity_decomposerEEEEEvT0_T1_jPSH_T2_SH_
		.amdhsa_group_segment_fixed_size 0
		.amdhsa_private_segment_fixed_size 0
		.amdhsa_kernarg_size 32
		.amdhsa_user_sgpr_count 6
		.amdhsa_user_sgpr_private_segment_buffer 1
		.amdhsa_user_sgpr_dispatch_ptr 0
		.amdhsa_user_sgpr_queue_ptr 0
		.amdhsa_user_sgpr_kernarg_segment_ptr 1
		.amdhsa_user_sgpr_dispatch_id 0
		.amdhsa_user_sgpr_flat_scratch_init 0
		.amdhsa_user_sgpr_private_segment_size 0
		.amdhsa_uses_dynamic_stack 0
		.amdhsa_system_sgpr_private_segment_wavefront_offset 0
		.amdhsa_system_sgpr_workgroup_id_x 1
		.amdhsa_system_sgpr_workgroup_id_y 0
		.amdhsa_system_sgpr_workgroup_id_z 0
		.amdhsa_system_sgpr_workgroup_info 0
		.amdhsa_system_vgpr_workitem_id 0
		.amdhsa_next_free_vgpr 17
		.amdhsa_next_free_sgpr 8
		.amdhsa_reserve_vcc 1
		.amdhsa_reserve_flat_scratch 0
		.amdhsa_float_round_mode_32 0
		.amdhsa_float_round_mode_16_64 0
		.amdhsa_float_denorm_mode_32 3
		.amdhsa_float_denorm_mode_16_64 3
		.amdhsa_dx10_clamp 1
		.amdhsa_ieee_mode 1
		.amdhsa_fp16_overflow 0
		.amdhsa_exception_fp_ieee_invalid_op 0
		.amdhsa_exception_fp_denorm_src 0
		.amdhsa_exception_fp_ieee_div_zero 0
		.amdhsa_exception_fp_ieee_overflow 0
		.amdhsa_exception_fp_ieee_underflow 0
		.amdhsa_exception_fp_ieee_inexact 0
		.amdhsa_exception_int_div_zero 0
	.end_amdhsa_kernel
	.section	.text._ZN7rocprim17ROCPRIM_304000_NS6detail45device_block_merge_mergepath_partition_kernelINS1_37wrapped_merge_sort_block_merge_configINS0_14default_configEiN2at4cuda3cub6detail10OpaqueTypeILi8EEEEEPijNS1_19radix_merge_compareILb1ELb1EiNS0_19identity_decomposerEEEEEvT0_T1_jPSH_T2_SH_,"axG",@progbits,_ZN7rocprim17ROCPRIM_304000_NS6detail45device_block_merge_mergepath_partition_kernelINS1_37wrapped_merge_sort_block_merge_configINS0_14default_configEiN2at4cuda3cub6detail10OpaqueTypeILi8EEEEEPijNS1_19radix_merge_compareILb1ELb1EiNS0_19identity_decomposerEEEEEvT0_T1_jPSH_T2_SH_,comdat
.Lfunc_end80:
	.size	_ZN7rocprim17ROCPRIM_304000_NS6detail45device_block_merge_mergepath_partition_kernelINS1_37wrapped_merge_sort_block_merge_configINS0_14default_configEiN2at4cuda3cub6detail10OpaqueTypeILi8EEEEEPijNS1_19radix_merge_compareILb1ELb1EiNS0_19identity_decomposerEEEEEvT0_T1_jPSH_T2_SH_, .Lfunc_end80-_ZN7rocprim17ROCPRIM_304000_NS6detail45device_block_merge_mergepath_partition_kernelINS1_37wrapped_merge_sort_block_merge_configINS0_14default_configEiN2at4cuda3cub6detail10OpaqueTypeILi8EEEEEPijNS1_19radix_merge_compareILb1ELb1EiNS0_19identity_decomposerEEEEEvT0_T1_jPSH_T2_SH_
                                        ; -- End function
	.set _ZN7rocprim17ROCPRIM_304000_NS6detail45device_block_merge_mergepath_partition_kernelINS1_37wrapped_merge_sort_block_merge_configINS0_14default_configEiN2at4cuda3cub6detail10OpaqueTypeILi8EEEEEPijNS1_19radix_merge_compareILb1ELb1EiNS0_19identity_decomposerEEEEEvT0_T1_jPSH_T2_SH_.num_vgpr, 17
	.set _ZN7rocprim17ROCPRIM_304000_NS6detail45device_block_merge_mergepath_partition_kernelINS1_37wrapped_merge_sort_block_merge_configINS0_14default_configEiN2at4cuda3cub6detail10OpaqueTypeILi8EEEEEPijNS1_19radix_merge_compareILb1ELb1EiNS0_19identity_decomposerEEEEEvT0_T1_jPSH_T2_SH_.num_agpr, 0
	.set _ZN7rocprim17ROCPRIM_304000_NS6detail45device_block_merge_mergepath_partition_kernelINS1_37wrapped_merge_sort_block_merge_configINS0_14default_configEiN2at4cuda3cub6detail10OpaqueTypeILi8EEEEEPijNS1_19radix_merge_compareILb1ELb1EiNS0_19identity_decomposerEEEEEvT0_T1_jPSH_T2_SH_.numbered_sgpr, 8
	.set _ZN7rocprim17ROCPRIM_304000_NS6detail45device_block_merge_mergepath_partition_kernelINS1_37wrapped_merge_sort_block_merge_configINS0_14default_configEiN2at4cuda3cub6detail10OpaqueTypeILi8EEEEEPijNS1_19radix_merge_compareILb1ELb1EiNS0_19identity_decomposerEEEEEvT0_T1_jPSH_T2_SH_.num_named_barrier, 0
	.set _ZN7rocprim17ROCPRIM_304000_NS6detail45device_block_merge_mergepath_partition_kernelINS1_37wrapped_merge_sort_block_merge_configINS0_14default_configEiN2at4cuda3cub6detail10OpaqueTypeILi8EEEEEPijNS1_19radix_merge_compareILb1ELb1EiNS0_19identity_decomposerEEEEEvT0_T1_jPSH_T2_SH_.private_seg_size, 0
	.set _ZN7rocprim17ROCPRIM_304000_NS6detail45device_block_merge_mergepath_partition_kernelINS1_37wrapped_merge_sort_block_merge_configINS0_14default_configEiN2at4cuda3cub6detail10OpaqueTypeILi8EEEEEPijNS1_19radix_merge_compareILb1ELb1EiNS0_19identity_decomposerEEEEEvT0_T1_jPSH_T2_SH_.uses_vcc, 1
	.set _ZN7rocprim17ROCPRIM_304000_NS6detail45device_block_merge_mergepath_partition_kernelINS1_37wrapped_merge_sort_block_merge_configINS0_14default_configEiN2at4cuda3cub6detail10OpaqueTypeILi8EEEEEPijNS1_19radix_merge_compareILb1ELb1EiNS0_19identity_decomposerEEEEEvT0_T1_jPSH_T2_SH_.uses_flat_scratch, 0
	.set _ZN7rocprim17ROCPRIM_304000_NS6detail45device_block_merge_mergepath_partition_kernelINS1_37wrapped_merge_sort_block_merge_configINS0_14default_configEiN2at4cuda3cub6detail10OpaqueTypeILi8EEEEEPijNS1_19radix_merge_compareILb1ELb1EiNS0_19identity_decomposerEEEEEvT0_T1_jPSH_T2_SH_.has_dyn_sized_stack, 0
	.set _ZN7rocprim17ROCPRIM_304000_NS6detail45device_block_merge_mergepath_partition_kernelINS1_37wrapped_merge_sort_block_merge_configINS0_14default_configEiN2at4cuda3cub6detail10OpaqueTypeILi8EEEEEPijNS1_19radix_merge_compareILb1ELb1EiNS0_19identity_decomposerEEEEEvT0_T1_jPSH_T2_SH_.has_recursion, 0
	.set _ZN7rocprim17ROCPRIM_304000_NS6detail45device_block_merge_mergepath_partition_kernelINS1_37wrapped_merge_sort_block_merge_configINS0_14default_configEiN2at4cuda3cub6detail10OpaqueTypeILi8EEEEEPijNS1_19radix_merge_compareILb1ELb1EiNS0_19identity_decomposerEEEEEvT0_T1_jPSH_T2_SH_.has_indirect_call, 0
	.section	.AMDGPU.csdata,"",@progbits
; Kernel info:
; codeLenInByte = 376
; TotalNumSgprs: 12
; NumVgprs: 17
; ScratchSize: 0
; MemoryBound: 0
; FloatMode: 240
; IeeeMode: 1
; LDSByteSize: 0 bytes/workgroup (compile time only)
; SGPRBlocks: 1
; VGPRBlocks: 4
; NumSGPRsForWavesPerEU: 12
; NumVGPRsForWavesPerEU: 17
; Occupancy: 10
; WaveLimiterHint : 0
; COMPUTE_PGM_RSRC2:SCRATCH_EN: 0
; COMPUTE_PGM_RSRC2:USER_SGPR: 6
; COMPUTE_PGM_RSRC2:TRAP_HANDLER: 0
; COMPUTE_PGM_RSRC2:TGID_X_EN: 1
; COMPUTE_PGM_RSRC2:TGID_Y_EN: 0
; COMPUTE_PGM_RSRC2:TGID_Z_EN: 0
; COMPUTE_PGM_RSRC2:TIDIG_COMP_CNT: 0
	.section	.text._ZN7rocprim17ROCPRIM_304000_NS6detail35device_block_merge_mergepath_kernelINS1_37wrapped_merge_sort_block_merge_configINS0_14default_configEiN2at4cuda3cub6detail10OpaqueTypeILi8EEEEEPiSC_PSA_SD_jNS1_19radix_merge_compareILb1ELb1EiNS0_19identity_decomposerEEEEEvT0_T1_T2_T3_T4_SL_jT5_PKSL_NS1_7vsmem_tE,"axG",@progbits,_ZN7rocprim17ROCPRIM_304000_NS6detail35device_block_merge_mergepath_kernelINS1_37wrapped_merge_sort_block_merge_configINS0_14default_configEiN2at4cuda3cub6detail10OpaqueTypeILi8EEEEEPiSC_PSA_SD_jNS1_19radix_merge_compareILb1ELb1EiNS0_19identity_decomposerEEEEEvT0_T1_T2_T3_T4_SL_jT5_PKSL_NS1_7vsmem_tE,comdat
	.protected	_ZN7rocprim17ROCPRIM_304000_NS6detail35device_block_merge_mergepath_kernelINS1_37wrapped_merge_sort_block_merge_configINS0_14default_configEiN2at4cuda3cub6detail10OpaqueTypeILi8EEEEEPiSC_PSA_SD_jNS1_19radix_merge_compareILb1ELb1EiNS0_19identity_decomposerEEEEEvT0_T1_T2_T3_T4_SL_jT5_PKSL_NS1_7vsmem_tE ; -- Begin function _ZN7rocprim17ROCPRIM_304000_NS6detail35device_block_merge_mergepath_kernelINS1_37wrapped_merge_sort_block_merge_configINS0_14default_configEiN2at4cuda3cub6detail10OpaqueTypeILi8EEEEEPiSC_PSA_SD_jNS1_19radix_merge_compareILb1ELb1EiNS0_19identity_decomposerEEEEEvT0_T1_T2_T3_T4_SL_jT5_PKSL_NS1_7vsmem_tE
	.globl	_ZN7rocprim17ROCPRIM_304000_NS6detail35device_block_merge_mergepath_kernelINS1_37wrapped_merge_sort_block_merge_configINS0_14default_configEiN2at4cuda3cub6detail10OpaqueTypeILi8EEEEEPiSC_PSA_SD_jNS1_19radix_merge_compareILb1ELb1EiNS0_19identity_decomposerEEEEEvT0_T1_T2_T3_T4_SL_jT5_PKSL_NS1_7vsmem_tE
	.p2align	8
	.type	_ZN7rocprim17ROCPRIM_304000_NS6detail35device_block_merge_mergepath_kernelINS1_37wrapped_merge_sort_block_merge_configINS0_14default_configEiN2at4cuda3cub6detail10OpaqueTypeILi8EEEEEPiSC_PSA_SD_jNS1_19radix_merge_compareILb1ELb1EiNS0_19identity_decomposerEEEEEvT0_T1_T2_T3_T4_SL_jT5_PKSL_NS1_7vsmem_tE,@function
_ZN7rocprim17ROCPRIM_304000_NS6detail35device_block_merge_mergepath_kernelINS1_37wrapped_merge_sort_block_merge_configINS0_14default_configEiN2at4cuda3cub6detail10OpaqueTypeILi8EEEEEPiSC_PSA_SD_jNS1_19radix_merge_compareILb1ELb1EiNS0_19identity_decomposerEEEEEvT0_T1_T2_T3_T4_SL_jT5_PKSL_NS1_7vsmem_tE: ; @_ZN7rocprim17ROCPRIM_304000_NS6detail35device_block_merge_mergepath_kernelINS1_37wrapped_merge_sort_block_merge_configINS0_14default_configEiN2at4cuda3cub6detail10OpaqueTypeILi8EEEEEPiSC_PSA_SD_jNS1_19radix_merge_compareILb1ELb1EiNS0_19identity_decomposerEEEEEvT0_T1_T2_T3_T4_SL_jT5_PKSL_NS1_7vsmem_tE
; %bb.0:
	s_load_dwordx2 s[26:27], s[4:5], 0x40
	s_load_dwordx4 s[16:19], s[4:5], 0x20
	s_add_u32 s2, s4, 64
	s_addc_u32 s3, s5, 0
	s_waitcnt lgkmcnt(0)
	s_mul_i32 s0, s27, s8
	s_add_i32 s0, s0, s7
	s_mul_i32 s0, s0, s26
	s_add_i32 s0, s0, s6
	s_cmp_ge_u32 s0, s18
	s_cbranch_scc1 .LBB81_69
; %bb.1:
	s_load_dwordx8 s[8:15], s[4:5], 0x0
	s_load_dwordx2 s[22:23], s[4:5], 0x30
	s_lshr_b32 s27, s16, 9
	s_cmp_lg_u32 s0, s27
	s_mov_b32 s1, 0
	s_cselect_b64 s[20:21], -1, 0
	s_lshl_b64 s[4:5], s[0:1], 2
	s_waitcnt lgkmcnt(0)
	s_add_u32 s4, s22, s4
	s_addc_u32 s5, s23, s5
	s_load_dwordx2 s[22:23], s[4:5], 0x0
	s_lshr_b32 s4, s17, 8
	s_and_b32 s4, s4, 0xfffffe
	s_sub_i32 s4, 0, s4
	s_and_b32 s5, s0, s4
	s_lshl_b32 s7, s5, 9
	s_lshl_b32 s18, s0, 9
	;; [unrolled: 1-line block ×3, first 2 shown]
	s_sub_i32 s24, s18, s7
	s_add_i32 s5, s5, s17
	s_add_i32 s25, s5, s24
	s_waitcnt lgkmcnt(0)
	s_sub_i32 s24, s25, s22
	s_sub_i32 s25, s25, s23
	;; [unrolled: 1-line block ×3, first 2 shown]
	s_min_u32 s24, s16, s24
	s_addk_i32 s25, 0x200
	s_or_b32 s4, s0, s4
	s_min_u32 s7, s16, s5
	s_add_i32 s5, s5, s17
	s_cmp_eq_u32 s4, -1
	s_cselect_b32 s4, s5, s25
	s_cselect_b32 s5, s7, s23
	s_min_u32 s4, s4, s16
	s_mov_b32 s23, s1
	s_sub_i32 s28, s5, s22
	s_sub_i32 s29, s4, s24
	s_lshl_b64 s[30:31], s[22:23], 2
	s_add_u32 s5, s8, s30
	s_mov_b32 s25, s1
	s_addc_u32 s7, s9, s31
	s_lshl_b64 s[30:31], s[24:25], 2
	s_add_u32 s4, s8, s30
	v_mov_b32_e32 v6, 0
	global_load_dword v1, v6, s[2:3] offset:14
	s_addc_u32 s8, s9, s31
	s_cmp_lt_u32 s6, s26
	s_cselect_b32 s1, 12, 18
	s_add_u32 s2, s2, s1
	s_addc_u32 s3, s3, 0
	global_load_ushort v2, v6, s[2:3]
	s_cmp_eq_u32 s0, s27
	v_cmp_gt_u32_e32 vcc, s28, v0
	v_lshlrev_b32_e32 v9, 2, v0
	s_waitcnt vmcnt(1)
	v_lshrrev_b32_e32 v3, 16, v1
	v_and_b32_e32 v1, 0xffff, v1
	v_mul_lo_u32 v1, v1, v3
	s_waitcnt vmcnt(0)
	v_mul_lo_u32 v7, v1, v2
	v_add_u32_e32 v5, v7, v0
	s_cbranch_scc1 .LBB81_3
; %bb.2:
	v_mov_b32_e32 v1, s7
	v_add_co_u32_e64 v3, s[0:1], s5, v9
	v_subrev_u32_e32 v2, s28, v0
	v_addc_co_u32_e64 v1, s[0:1], 0, v1, s[0:1]
	v_lshlrev_b32_e32 v2, 2, v2
	v_mov_b32_e32 v4, s8
	v_add_co_u32_e64 v8, s[0:1], s4, v2
	v_addc_co_u32_e64 v2, s[0:1], 0, v4, s[0:1]
	v_cndmask_b32_e32 v2, v2, v1, vcc
	v_cndmask_b32_e32 v1, v8, v3, vcc
	global_load_dword v1, v[1:2], off
	v_lshlrev_b64 v[2:3], 2, v[5:6]
	v_mov_b32_e32 v4, s7
	v_add_co_u32_e32 v8, vcc, s5, v2
	v_addc_co_u32_e32 v4, vcc, v4, v3, vcc
	v_subrev_co_u32_e32 v2, vcc, s28, v5
	v_mov_b32_e32 v3, v6
	v_lshlrev_b64 v[2:3], 2, v[2:3]
	v_mov_b32_e32 v10, s8
	v_add_co_u32_e64 v2, s[0:1], s4, v2
	v_addc_co_u32_e64 v3, s[0:1], v10, v3, s[0:1]
	v_cndmask_b32_e32 v3, v3, v4, vcc
	v_cndmask_b32_e32 v2, v2, v8, vcc
	v_add_u32_e32 v10, v5, v7
	v_mov_b32_e32 v11, v6
	global_load_dword v2, v[2:3], off
	v_lshlrev_b64 v[3:4], 2, v[10:11]
	v_mov_b32_e32 v8, s7
	v_add_co_u32_e32 v11, vcc, s5, v3
	v_addc_co_u32_e32 v8, vcc, v8, v4, vcc
	v_subrev_co_u32_e32 v3, vcc, s28, v10
	v_mov_b32_e32 v4, v6
	v_lshlrev_b64 v[3:4], 2, v[3:4]
	v_mov_b32_e32 v12, s8
	v_add_co_u32_e64 v3, s[0:1], s4, v3
	v_cndmask_b32_e32 v3, v3, v11, vcc
	v_add_u32_e32 v10, v10, v7
	v_mov_b32_e32 v11, v6
	v_addc_co_u32_e64 v4, s[0:1], v12, v4, s[0:1]
	v_lshlrev_b64 v[11:12], 2, v[10:11]
	v_cndmask_b32_e32 v4, v4, v8, vcc
	global_load_dword v3, v[3:4], off
	v_mov_b32_e32 v4, s7
	v_add_co_u32_e32 v8, vcc, s5, v11
	v_addc_co_u32_e32 v4, vcc, v4, v12, vcc
	v_subrev_co_u32_e32 v10, vcc, s28, v10
	v_mov_b32_e32 v11, v6
	v_lshlrev_b64 v[10:11], 2, v[10:11]
	v_mov_b32_e32 v6, s8
	v_add_co_u32_e64 v10, s[0:1], s4, v10
	v_addc_co_u32_e64 v6, s[0:1], v6, v11, s[0:1]
	v_cndmask_b32_e32 v11, v6, v4, vcc
	v_cndmask_b32_e32 v10, v10, v8, vcc
	global_load_dword v4, v[10:11], off
	s_add_i32 s17, s29, s28
	s_cbranch_execz .LBB81_4
	s_branch .LBB81_13
.LBB81_3:
                                        ; implicit-def: $vgpr1_vgpr2_vgpr3_vgpr4
                                        ; implicit-def: $sgpr17
.LBB81_4:
	s_add_i32 s17, s29, s28
	s_waitcnt vmcnt(3)
	v_mov_b32_e32 v1, 0
	v_cmp_gt_u32_e32 vcc, s17, v0
	s_waitcnt vmcnt(2)
	v_mov_b32_e32 v2, v1
	s_waitcnt vmcnt(1)
	v_mov_b32_e32 v3, v1
	;; [unrolled: 2-line block ×3, first 2 shown]
	s_and_saveexec_b64 s[0:1], vcc
	s_cbranch_execz .LBB81_6
; %bb.5:
	v_mov_b32_e32 v2, s7
	v_add_co_u32_e32 v4, vcc, s5, v9
	v_subrev_u32_e32 v3, s28, v0
	v_addc_co_u32_e32 v2, vcc, 0, v2, vcc
	v_lshlrev_b32_e32 v3, 2, v3
	v_mov_b32_e32 v6, s8
	v_add_co_u32_e32 v8, vcc, s4, v3
	v_addc_co_u32_e32 v3, vcc, 0, v6, vcc
	v_cmp_gt_u32_e32 vcc, s28, v0
	v_cndmask_b32_e32 v3, v3, v2, vcc
	v_cndmask_b32_e32 v2, v8, v4, vcc
	global_load_dword v10, v[2:3], off
	v_mov_b32_e32 v11, v1
	v_mov_b32_e32 v12, v1
	;; [unrolled: 1-line block ×3, first 2 shown]
	s_waitcnt vmcnt(0)
	v_mov_b32_e32 v1, v10
	v_mov_b32_e32 v2, v11
	;; [unrolled: 1-line block ×4, first 2 shown]
.LBB81_6:
	s_or_b64 exec, exec, s[0:1]
	v_cmp_gt_u32_e32 vcc, s17, v5
	s_and_saveexec_b64 s[2:3], vcc
	s_cbranch_execz .LBB81_8
; %bb.7:
	v_mov_b32_e32 v6, 0
	v_lshlrev_b64 v[10:11], 2, v[5:6]
	v_mov_b32_e32 v2, s7
	v_add_co_u32_e32 v8, vcc, s5, v10
	v_addc_co_u32_e32 v2, vcc, v2, v11, vcc
	v_subrev_co_u32_e32 v10, vcc, s28, v5
	v_mov_b32_e32 v11, v6
	v_lshlrev_b64 v[10:11], 2, v[10:11]
	v_mov_b32_e32 v6, s8
	v_add_co_u32_e64 v10, s[0:1], s4, v10
	v_addc_co_u32_e64 v6, s[0:1], v6, v11, s[0:1]
	v_cndmask_b32_e32 v11, v6, v2, vcc
	v_cndmask_b32_e32 v10, v10, v8, vcc
	global_load_dword v2, v[10:11], off
.LBB81_8:
	s_or_b64 exec, exec, s[2:3]
	v_add_u32_e32 v5, v5, v7
	v_cmp_gt_u32_e32 vcc, s17, v5
	s_and_saveexec_b64 s[2:3], vcc
	s_cbranch_execz .LBB81_10
; %bb.9:
	v_mov_b32_e32 v6, 0
	v_lshlrev_b64 v[10:11], 2, v[5:6]
	v_mov_b32_e32 v3, s7
	v_add_co_u32_e32 v8, vcc, s5, v10
	v_addc_co_u32_e32 v3, vcc, v3, v11, vcc
	v_subrev_co_u32_e32 v10, vcc, s28, v5
	v_mov_b32_e32 v11, v6
	v_lshlrev_b64 v[10:11], 2, v[10:11]
	v_mov_b32_e32 v6, s8
	v_add_co_u32_e64 v10, s[0:1], s4, v10
	v_addc_co_u32_e64 v6, s[0:1], v6, v11, s[0:1]
	v_cndmask_b32_e32 v11, v6, v3, vcc
	v_cndmask_b32_e32 v10, v10, v8, vcc
	global_load_dword v3, v[10:11], off
.LBB81_10:
	s_or_b64 exec, exec, s[2:3]
	v_add_u32_e32 v5, v5, v7
	v_cmp_gt_u32_e32 vcc, s17, v5
	s_and_saveexec_b64 s[2:3], vcc
	s_cbranch_execz .LBB81_12
; %bb.11:
	v_mov_b32_e32 v6, 0
	v_lshlrev_b64 v[7:8], 2, v[5:6]
	v_mov_b32_e32 v4, s7
	v_add_co_u32_e32 v7, vcc, s5, v7
	v_addc_co_u32_e32 v8, vcc, v4, v8, vcc
	v_subrev_co_u32_e32 v5, vcc, s28, v5
	v_lshlrev_b64 v[4:5], 2, v[5:6]
	v_mov_b32_e32 v6, s8
	v_add_co_u32_e64 v4, s[0:1], s4, v4
	v_addc_co_u32_e64 v5, s[0:1], v6, v5, s[0:1]
	v_cndmask_b32_e32 v5, v5, v8, vcc
	v_cndmask_b32_e32 v4, v4, v7, vcc
	global_load_dword v4, v[4:5], off
.LBB81_12:
	s_or_b64 exec, exec, s[2:3]
.LBB81_13:
	v_min_u32_e32 v6, s17, v9
	v_sub_u32_e64 v5, v6, s29 clamp
	v_min_u32_e32 v7, s28, v6
	v_cmp_lt_u32_e32 vcc, v5, v7
	s_waitcnt vmcnt(0)
	ds_write2st64_b32 v9, v1, v2 offset1:2
	ds_write2st64_b32 v9, v3, v4 offset0:4 offset1:6
	s_waitcnt lgkmcnt(0)
	s_barrier
	s_and_saveexec_b64 s[0:1], vcc
	s_cbranch_execz .LBB81_17
; %bb.14:
	v_lshlrev_b32_e32 v8, 2, v6
	v_lshl_add_u32 v8, s28, 2, v8
	s_mov_b64 s[2:3], 0
.LBB81_15:                              ; =>This Inner Loop Header: Depth=1
	v_add_u32_e32 v10, v7, v5
	v_lshrrev_b32_e32 v10, 1, v10
	v_not_b32_e32 v11, v10
	v_lshlrev_b32_e32 v12, 2, v10
	v_lshl_add_u32 v11, v11, 2, v8
	ds_read_b32 v12, v12
	ds_read_b32 v11, v11
	v_add_u32_e32 v13, 1, v10
	s_waitcnt lgkmcnt(1)
	v_and_b32_e32 v12, s19, v12
	s_waitcnt lgkmcnt(0)
	v_and_b32_e32 v11, s19, v11
	v_cmp_gt_i32_e32 vcc, v11, v12
	v_cndmask_b32_e32 v7, v7, v10, vcc
	v_cndmask_b32_e32 v5, v13, v5, vcc
	v_cmp_ge_u32_e32 vcc, v5, v7
	s_or_b64 s[2:3], vcc, s[2:3]
	s_andn2_b64 exec, exec, s[2:3]
	s_cbranch_execnz .LBB81_15
; %bb.16:
	s_or_b64 exec, exec, s[2:3]
.LBB81_17:
	s_or_b64 exec, exec, s[0:1]
	v_sub_u32_e32 v6, v6, v5
	v_add_u32_e32 v6, s28, v6
	v_cmp_ge_u32_e32 vcc, s28, v5
	v_cmp_ge_u32_e64 s[0:1], s17, v6
	s_or_b64 s[0:1], vcc, s[0:1]
	v_mov_b32_e32 v10, 0
	v_mov_b32_e32 v11, 0
	;; [unrolled: 1-line block ×4, first 2 shown]
	s_and_saveexec_b64 s[8:9], s[0:1]
	s_cbranch_execz .LBB81_23
; %bb.18:
	v_cmp_gt_u32_e32 vcc, s28, v5
                                        ; implicit-def: $vgpr1
	s_and_saveexec_b64 s[0:1], vcc
; %bb.19:
	v_lshlrev_b32_e32 v1, 2, v5
	ds_read_b32 v1, v1
; %bb.20:
	s_or_b64 exec, exec, s[0:1]
	v_cmp_le_u32_e64 s[0:1], s17, v6
	v_cmp_gt_u32_e64 s[2:3], s17, v6
                                        ; implicit-def: $vgpr2
	s_and_saveexec_b64 s[4:5], s[2:3]
; %bb.21:
	v_lshlrev_b32_e32 v2, 2, v6
	ds_read_b32 v2, v2
; %bb.22:
	s_or_b64 exec, exec, s[4:5]
	s_waitcnt lgkmcnt(0)
	v_and_b32_e32 v3, s19, v2
	v_and_b32_e32 v4, s19, v1
	v_cmp_le_i32_e64 s[2:3], v3, v4
	s_and_b64 s[2:3], vcc, s[2:3]
	s_or_b64 vcc, s[0:1], s[2:3]
	v_mov_b32_e32 v3, s17
	v_mov_b32_e32 v4, s28
	v_cndmask_b32_e32 v13, v6, v5, vcc
	v_cndmask_b32_e32 v7, v3, v4, vcc
	v_add_u32_e32 v8, 1, v13
	v_add_u32_e32 v7, -1, v7
	v_min_u32_e32 v7, v8, v7
	v_lshlrev_b32_e32 v7, 2, v7
	ds_read_b32 v7, v7
	v_cndmask_b32_e32 v6, v8, v6, vcc
	v_cndmask_b32_e32 v5, v5, v8, vcc
	v_cmp_gt_u32_e64 s[2:3], s28, v5
	v_cmp_le_u32_e64 s[0:1], s17, v6
	s_waitcnt lgkmcnt(0)
	v_cndmask_b32_e32 v10, v7, v2, vcc
	v_cndmask_b32_e32 v7, v1, v7, vcc
	v_and_b32_e32 v8, s19, v10
	v_and_b32_e32 v11, s19, v7
	v_cmp_le_i32_e64 s[4:5], v8, v11
	s_and_b64 s[2:3], s[2:3], s[4:5]
	s_or_b64 s[0:1], s[0:1], s[2:3]
	v_cndmask_b32_e64 v12, v6, v5, s[0:1]
	v_cndmask_b32_e64 v8, v3, v4, s[0:1]
	v_add_u32_e32 v11, 1, v12
	v_add_u32_e32 v8, -1, v8
	v_min_u32_e32 v8, v11, v8
	v_lshlrev_b32_e32 v8, 2, v8
	ds_read_b32 v8, v8
	v_cndmask_b32_e64 v6, v11, v6, s[0:1]
	v_cndmask_b32_e64 v5, v5, v11, s[0:1]
	v_cmp_gt_u32_e64 s[4:5], s28, v5
	v_cmp_le_u32_e64 s[2:3], s17, v6
	s_waitcnt lgkmcnt(0)
	v_cndmask_b32_e64 v14, v8, v10, s[0:1]
	v_cndmask_b32_e64 v8, v7, v8, s[0:1]
	v_and_b32_e32 v11, s19, v14
	v_and_b32_e32 v15, s19, v8
	v_cmp_le_i32_e64 s[6:7], v11, v15
	s_and_b64 s[4:5], s[4:5], s[6:7]
	s_or_b64 s[2:3], s[2:3], s[4:5]
	v_cndmask_b32_e64 v11, v6, v5, s[2:3]
	v_cndmask_b32_e64 v3, v3, v4, s[2:3]
	v_add_u32_e32 v4, 1, v11
	v_add_u32_e32 v3, -1, v3
	v_min_u32_e32 v3, v4, v3
	v_lshlrev_b32_e32 v3, 2, v3
	ds_read_b32 v15, v3
	v_cndmask_b32_e32 v1, v2, v1, vcc
	v_cndmask_b32_e64 v2, v10, v7, s[0:1]
	v_cndmask_b32_e64 v3, v14, v8, s[2:3]
	;; [unrolled: 1-line block ×3, first 2 shown]
	s_waitcnt lgkmcnt(0)
	v_cndmask_b32_e64 v7, v15, v14, s[2:3]
	v_cndmask_b32_e64 v8, v8, v15, s[2:3]
	;; [unrolled: 1-line block ×3, first 2 shown]
	v_and_b32_e32 v5, s19, v7
	v_and_b32_e32 v10, s19, v8
	v_cmp_gt_u32_e64 s[0:1], s28, v4
	v_cmp_le_i32_e64 s[2:3], v5, v10
	v_cmp_le_u32_e32 vcc, s17, v6
	s_and_b64 s[0:1], s[0:1], s[2:3]
	s_or_b64 vcc, vcc, s[0:1]
	v_cndmask_b32_e32 v10, v6, v4, vcc
	v_cndmask_b32_e32 v4, v7, v8, vcc
.LBB81_23:
	s_or_b64 exec, exec, s[8:9]
	s_lshl_b64 s[0:1], s[22:23], 3
	s_add_u32 s8, s12, s0
	s_addc_u32 s9, s13, s1
	s_lshl_b64 s[0:1], s[24:25], 3
	s_add_u32 s6, s12, s0
	v_cndmask_b32_e64 v5, 0, 1, s[20:21]
	s_addc_u32 s7, s13, s1
	v_cmp_gt_u32_e64 s[4:5], s28, v0
	v_cmp_ne_u32_e64 s[0:1], 1, v5
	s_andn2_b64 vcc, exec, s[20:21]
	v_cmp_le_u32_e64 s[2:3], s28, v0
	s_barrier
	s_cbranch_vccnz .LBB81_25
; %bb.24:
	v_lshlrev_b32_e32 v8, 3, v0
	v_mov_b32_e32 v5, s9
	v_add_co_u32_e32 v7, vcc, s8, v8
	v_subrev_u32_e32 v6, s28, v0
	v_addc_co_u32_e32 v5, vcc, 0, v5, vcc
	v_lshlrev_b32_e32 v6, 3, v6
	v_mov_b32_e32 v14, s7
	v_add_co_u32_e32 v15, vcc, s6, v6
	v_addc_co_u32_e32 v6, vcc, 0, v14, vcc
	v_cndmask_b32_e64 v6, v6, v5, s[4:5]
	v_cndmask_b32_e64 v5, v15, v7, s[4:5]
	global_load_dwordx2 v[15:16], v[5:6], off
	v_or_b32_e32 v5, 0x80, v0
	v_subrev_u32_e32 v6, s28, v5
	v_min_u32_e32 v6, v5, v6
	v_cmp_gt_u32_e32 vcc, s28, v5
	v_mov_b32_e32 v22, s6
	v_mov_b32_e32 v23, s8
	v_mov_b32_e32 v7, s7
	v_mov_b32_e32 v21, s9
	v_cndmask_b32_e32 v5, v22, v23, vcc
	v_lshlrev_b32_e32 v6, 3, v6
	v_cndmask_b32_e32 v14, v7, v21, vcc
	v_add_co_u32_e32 v5, vcc, v5, v6
	v_addc_co_u32_e32 v6, vcc, 0, v14, vcc
	global_load_dwordx2 v[17:18], v[5:6], off
	v_or_b32_e32 v5, 0x100, v0
	v_subrev_u32_e32 v6, s28, v5
	v_min_u32_e32 v6, v5, v6
	v_cmp_gt_u32_e32 vcc, s28, v5
	v_cndmask_b32_e32 v5, v22, v23, vcc
	v_lshlrev_b32_e32 v6, 3, v6
	v_cndmask_b32_e32 v14, v7, v21, vcc
	v_add_co_u32_e32 v5, vcc, v5, v6
	v_addc_co_u32_e32 v6, vcc, 0, v14, vcc
	global_load_dwordx2 v[19:20], v[5:6], off
	v_or_b32_e32 v14, 0x180, v0
	v_subrev_u32_e32 v5, s28, v14
	v_cmp_gt_u32_e32 vcc, s28, v14
	v_cndmask_b32_e32 v6, v7, v21, vcc
	v_min_u32_e32 v7, v14, v5
	v_cndmask_b32_e32 v5, v22, v23, vcc
	s_mov_b64 s[4:5], -1
	s_waitcnt vmcnt(1)
	ds_write2st64_b64 v8, v[15:16], v[17:18] offset1:2
	s_waitcnt vmcnt(0)
	ds_write_b64 v8, v[19:20] offset:2048
	s_cbranch_execz .LBB81_26
	s_branch .LBB81_43
.LBB81_25:
	s_mov_b64 s[4:5], 0
                                        ; implicit-def: $vgpr14
                                        ; implicit-def: $vgpr5_vgpr6
                                        ; implicit-def: $vgpr7
.LBB81_26:
	s_and_saveexec_b64 s[4:5], s[2:3]
	s_xor_b64 s[2:3], exec, s[4:5]
	s_cbranch_execz .LBB81_30
; %bb.27:
	v_subrev_u32_e32 v5, s28, v0
	v_cmp_gt_u32_e32 vcc, s29, v5
	s_and_saveexec_b64 s[4:5], vcc
	s_cbranch_execz .LBB81_29
; %bb.28:
	v_lshlrev_b32_e32 v5, 3, v5
	global_load_dwordx2 v[5:6], v5, s[6:7]
	v_add_u32_e32 v7, v9, v9
	s_waitcnt vmcnt(0)
	ds_write_b64 v7, v[5:6]
.LBB81_29:
	s_or_b64 exec, exec, s[4:5]
.LBB81_30:
	s_or_saveexec_b64 s[2:3], s[2:3]
	v_add_u32_e32 v7, v9, v9
	s_xor_b64 exec, exec, s[2:3]
	s_cbranch_execz .LBB81_32
; %bb.31:
	v_lshlrev_b32_e32 v5, 3, v0
	global_load_dwordx2 v[5:6], v5, s[8:9]
	s_waitcnt vmcnt(0)
	ds_write_b64 v7, v[5:6]
.LBB81_32:
	s_or_b64 exec, exec, s[2:3]
	v_or_b32_e32 v8, 0x80, v0
	v_mov_b32_e32 v5, s22
	v_cmp_le_u32_e32 vcc, s28, v8
	s_mov_b64 s[2:3], -1
	v_mov_b32_e32 v6, s23
	s_and_saveexec_b64 s[4:5], vcc
; %bb.33:
	v_subrev_u32_e32 v8, s28, v8
	v_cmp_gt_u32_e32 vcc, s29, v8
	v_mov_b32_e32 v5, s24
	v_mov_b32_e32 v6, s25
	s_orn2_b64 s[2:3], vcc, exec
; %bb.34:
	s_or_b64 exec, exec, s[4:5]
	s_and_saveexec_b64 s[4:5], s[2:3]
	s_cbranch_execz .LBB81_36
; %bb.35:
	v_lshlrev_b64 v[5:6], 3, v[5:6]
	v_mov_b32_e32 v14, s13
	v_add_co_u32_e32 v5, vcc, s12, v5
	v_addc_co_u32_e32 v6, vcc, v14, v6, vcc
	v_lshlrev_b32_e32 v8, 3, v8
	v_add_co_u32_e32 v5, vcc, v5, v8
	v_addc_co_u32_e32 v6, vcc, 0, v6, vcc
	global_load_dwordx2 v[5:6], v[5:6], off
	s_waitcnt vmcnt(0)
	ds_write_b64 v7, v[5:6] offset:1024
.LBB81_36:
	s_or_b64 exec, exec, s[4:5]
	v_or_b32_e32 v8, 0x100, v0
	v_mov_b32_e32 v5, s22
	v_cmp_le_u32_e32 vcc, s28, v8
	s_mov_b64 s[2:3], -1
	v_mov_b32_e32 v6, s23
	s_and_saveexec_b64 s[4:5], vcc
; %bb.37:
	v_subrev_u32_e32 v8, s28, v8
	v_cmp_gt_u32_e32 vcc, s29, v8
	v_mov_b32_e32 v5, s24
	v_mov_b32_e32 v6, s25
	s_orn2_b64 s[2:3], vcc, exec
; %bb.38:
	s_or_b64 exec, exec, s[4:5]
	s_and_saveexec_b64 s[4:5], s[2:3]
	s_cbranch_execz .LBB81_40
; %bb.39:
	v_lshlrev_b64 v[5:6], 3, v[5:6]
	v_mov_b32_e32 v14, s13
	v_add_co_u32_e32 v5, vcc, s12, v5
	v_addc_co_u32_e32 v6, vcc, v14, v6, vcc
	v_lshlrev_b32_e32 v8, 3, v8
	v_add_co_u32_e32 v5, vcc, v5, v8
	v_addc_co_u32_e32 v6, vcc, 0, v6, vcc
	global_load_dwordx2 v[5:6], v[5:6], off
	s_waitcnt vmcnt(0)
	ds_write_b64 v7, v[5:6] offset:2048
.LBB81_40:
	s_or_b64 exec, exec, s[4:5]
	v_or_b32_e32 v14, 0x180, v0
	v_mov_b32_e32 v5, s8
	v_cmp_le_u32_e32 vcc, s28, v14
	s_mov_b64 s[4:5], -1
	v_mov_b32_e32 v6, s9
	v_mov_b32_e32 v7, v14
	s_and_saveexec_b64 s[2:3], vcc
; %bb.41:
	v_subrev_u32_e32 v7, s28, v14
	v_cmp_gt_u32_e32 vcc, s29, v7
	v_mov_b32_e32 v5, s6
	v_mov_b32_e32 v6, s7
	s_orn2_b64 s[4:5], vcc, exec
; %bb.42:
	s_or_b64 exec, exec, s[2:3]
.LBB81_43:
	s_and_saveexec_b64 s[2:3], s[4:5]
	s_cbranch_execz .LBB81_45
; %bb.44:
	v_mov_b32_e32 v8, 0
	v_lshlrev_b64 v[7:8], 3, v[7:8]
	v_add_co_u32_e32 v5, vcc, v5, v7
	v_addc_co_u32_e32 v6, vcc, v6, v8, vcc
	global_load_dwordx2 v[5:6], v[5:6], off
	v_lshlrev_b32_e32 v7, 3, v14
	s_waitcnt vmcnt(0)
	ds_write_b64 v7, v[5:6]
.LBB81_45:
	s_or_b64 exec, exec, s[2:3]
	s_and_b64 vcc, exec, s[0:1]
	v_add_u32_e32 v5, s18, v9
	s_waitcnt lgkmcnt(0)
	s_barrier
	s_cbranch_vccnz .LBB81_47
; %bb.46:
	v_lshlrev_b32_e32 v14, 3, v13
	v_lshlrev_b32_e32 v16, 3, v12
	v_lshlrev_b32_e32 v18, 3, v11
	v_mov_b32_e32 v6, 0
	ds_read_b64 v[14:15], v14
	ds_read_b64 v[16:17], v16
	;; [unrolled: 1-line block ×3, first 2 shown]
	v_lshlrev_b64 v[7:8], 3, v[5:6]
	v_mov_b32_e32 v20, s15
	v_add_co_u32_e32 v7, vcc, s14, v7
	v_addc_co_u32_e32 v8, vcc, v20, v8, vcc
	s_mov_b64 s[0:1], -1
	s_waitcnt lgkmcnt(1)
	global_store_dwordx4 v[7:8], v[14:17], off
	s_waitcnt lgkmcnt(0)
	global_store_dwordx2 v[7:8], v[18:19], off offset:16
	s_cbranch_execz .LBB81_48
	s_branch .LBB81_57
.LBB81_47:
	s_mov_b64 s[0:1], 0
.LBB81_48:
	v_cmp_gt_u32_e32 vcc, s17, v9
	s_and_saveexec_b64 s[2:3], vcc
	s_cbranch_execz .LBB81_50
; %bb.49:
	v_lshlrev_b32_e32 v8, 3, v13
	v_mov_b32_e32 v6, 0
	ds_read_b64 v[13:14], v8
	v_lshlrev_b64 v[6:7], 3, v[5:6]
	v_mov_b32_e32 v15, s15
	v_add_co_u32_e32 v6, vcc, s14, v6
	v_addc_co_u32_e32 v7, vcc, v15, v7, vcc
	s_waitcnt lgkmcnt(0)
	global_store_dwordx2 v[6:7], v[13:14], off
.LBB81_50:
	s_or_b64 exec, exec, s[2:3]
	v_or_b32_e32 v6, 1, v9
	v_cmp_gt_u32_e32 vcc, s17, v6
	s_and_saveexec_b64 s[2:3], vcc
	s_cbranch_execz .LBB81_52
; %bb.51:
	v_lshlrev_b32_e32 v8, 3, v12
	v_mov_b32_e32 v6, 0
	ds_read_b64 v[12:13], v8
	v_lshlrev_b64 v[6:7], 3, v[5:6]
	v_mov_b32_e32 v14, s15
	v_add_co_u32_e32 v6, vcc, s14, v6
	v_addc_co_u32_e32 v7, vcc, v14, v7, vcc
	s_waitcnt lgkmcnt(0)
	global_store_dwordx2 v[6:7], v[12:13], off offset:8
.LBB81_52:
	s_or_b64 exec, exec, s[2:3]
	v_or_b32_e32 v6, 2, v9
	v_cmp_gt_u32_e32 vcc, s17, v6
	s_and_saveexec_b64 s[2:3], vcc
	s_cbranch_execz .LBB81_54
; %bb.53:
	v_lshlrev_b32_e32 v8, 3, v11
	v_mov_b32_e32 v6, 0
	ds_read_b64 v[11:12], v8
	v_lshlrev_b64 v[6:7], 3, v[5:6]
	v_mov_b32_e32 v13, s15
	v_add_co_u32_e32 v6, vcc, s14, v6
	v_addc_co_u32_e32 v7, vcc, v13, v7, vcc
	s_waitcnt lgkmcnt(0)
	global_store_dwordx2 v[6:7], v[11:12], off offset:16
.LBB81_54:
	s_or_b64 exec, exec, s[2:3]
	v_or_b32_e32 v6, 3, v9
	v_cmp_gt_u32_e32 vcc, s17, v6
	s_and_saveexec_b64 s[2:3], vcc
; %bb.55:
	v_mov_b32_e32 v6, 0
	s_or_b64 s[0:1], s[0:1], exec
; %bb.56:
	s_or_b64 exec, exec, s[2:3]
.LBB81_57:
	s_and_saveexec_b64 s[2:3], s[0:1]
	s_cbranch_execz .LBB81_59
; %bb.58:
	v_lshlrev_b32_e32 v7, 3, v10
	ds_read_b64 v[7:8], v7
	v_lshlrev_b64 v[5:6], 3, v[5:6]
	v_mov_b32_e32 v10, s15
	v_add_co_u32_e32 v5, vcc, s14, v5
	v_addc_co_u32_e32 v6, vcc, v10, v6, vcc
	s_waitcnt lgkmcnt(0)
	global_store_dwordx2 v[5:6], v[7:8], off offset:24
.LBB81_59:
	s_or_b64 exec, exec, s[2:3]
	v_lshrrev_b32_e32 v5, 3, v0
	v_lshlrev_b32_e32 v6, 2, v9
	v_lshl_add_u32 v6, v5, 2, v6
	s_waitcnt vmcnt(0)
	s_barrier
	s_barrier
	ds_write2_b32 v6, v1, v2 offset1:1
	ds_write2_b32 v6, v3, v4 offset0:2 offset1:3
	v_and_b32_e32 v1, 12, v5
	v_or_b32_e32 v5, 0x80, v0
	v_add_u32_e32 v7, v1, v9
	v_lshrrev_b32_e32 v1, 3, v5
	v_and_b32_e32 v1, 28, v1
	v_or_b32_e32 v4, 0x100, v0
	s_mov_b32 s19, 0
	v_add_u32_e32 v8, v1, v9
	v_lshrrev_b32_e32 v1, 3, v4
	s_lshl_b64 s[0:1], s[18:19], 2
	v_and_b32_e32 v1, 44, v1
	v_or_b32_e32 v3, 0x180, v0
	s_add_u32 s0, s10, s0
	v_add_u32_e32 v10, v1, v9
	v_lshrrev_b32_e32 v1, 3, v3
	s_addc_u32 s1, s11, s1
	v_and_b32_e32 v1, 60, v1
	v_add_u32_e32 v11, v1, v9
	v_mov_b32_e32 v2, s1
	v_add_co_u32_e32 v1, vcc, s0, v9
	v_addc_co_u32_e32 v2, vcc, 0, v2, vcc
	s_and_b64 vcc, exec, s[20:21]
	s_waitcnt lgkmcnt(0)
	s_cbranch_vccz .LBB81_61
; %bb.60:
	s_barrier
	ds_read_b32 v9, v7
	ds_read_b32 v12, v8 offset:512
	ds_read_b32 v13, v10 offset:1024
	;; [unrolled: 1-line block ×3, first 2 shown]
	s_waitcnt lgkmcnt(3)
	global_store_dword v[1:2], v9, off
	s_waitcnt lgkmcnt(2)
	global_store_dword v[1:2], v12, off offset:512
	s_waitcnt lgkmcnt(1)
	global_store_dword v[1:2], v13, off offset:1024
	s_mov_b64 s[0:1], -1
	s_cbranch_execz .LBB81_62
	s_branch .LBB81_67
.LBB81_61:
	s_mov_b64 s[0:1], 0
                                        ; implicit-def: $vgpr6
.LBB81_62:
	s_waitcnt vmcnt(0) lgkmcnt(0)
	s_barrier
	ds_read_b32 v9, v8 offset:512
	ds_read_b32 v8, v10 offset:1024
	;; [unrolled: 1-line block ×3, first 2 shown]
	s_sub_i32 s2, s16, s18
	v_cmp_gt_u32_e32 vcc, s2, v0
	s_and_saveexec_b64 s[0:1], vcc
	s_cbranch_execnz .LBB81_70
; %bb.63:
	s_or_b64 exec, exec, s[0:1]
	v_cmp_gt_u32_e32 vcc, s2, v5
	s_and_saveexec_b64 s[0:1], vcc
	s_cbranch_execnz .LBB81_71
.LBB81_64:
	s_or_b64 exec, exec, s[0:1]
	v_cmp_gt_u32_e32 vcc, s2, v4
	s_and_saveexec_b64 s[0:1], vcc
	s_cbranch_execz .LBB81_66
.LBB81_65:
	s_waitcnt lgkmcnt(1)
	global_store_dword v[1:2], v8, off offset:1024
.LBB81_66:
	s_or_b64 exec, exec, s[0:1]
	v_cmp_gt_u32_e64 s[0:1], s2, v3
.LBB81_67:
	s_and_saveexec_b64 s[2:3], s[0:1]
	s_cbranch_execz .LBB81_69
; %bb.68:
	s_waitcnt lgkmcnt(0)
	global_store_dword v[1:2], v6, off offset:1536
.LBB81_69:
	s_endpgm
.LBB81_70:
	ds_read_b32 v0, v7
	s_waitcnt lgkmcnt(0)
	global_store_dword v[1:2], v0, off
	s_or_b64 exec, exec, s[0:1]
	v_cmp_gt_u32_e32 vcc, s2, v5
	s_and_saveexec_b64 s[0:1], vcc
	s_cbranch_execz .LBB81_64
.LBB81_71:
	s_waitcnt lgkmcnt(2)
	global_store_dword v[1:2], v9, off offset:512
	s_or_b64 exec, exec, s[0:1]
	v_cmp_gt_u32_e32 vcc, s2, v4
	s_and_saveexec_b64 s[0:1], vcc
	s_cbranch_execnz .LBB81_65
	s_branch .LBB81_66
	.section	.rodata,"a",@progbits
	.p2align	6, 0x0
	.amdhsa_kernel _ZN7rocprim17ROCPRIM_304000_NS6detail35device_block_merge_mergepath_kernelINS1_37wrapped_merge_sort_block_merge_configINS0_14default_configEiN2at4cuda3cub6detail10OpaqueTypeILi8EEEEEPiSC_PSA_SD_jNS1_19radix_merge_compareILb1ELb1EiNS0_19identity_decomposerEEEEEvT0_T1_T2_T3_T4_SL_jT5_PKSL_NS1_7vsmem_tE
		.amdhsa_group_segment_fixed_size 4112
		.amdhsa_private_segment_fixed_size 0
		.amdhsa_kernarg_size 320
		.amdhsa_user_sgpr_count 6
		.amdhsa_user_sgpr_private_segment_buffer 1
		.amdhsa_user_sgpr_dispatch_ptr 0
		.amdhsa_user_sgpr_queue_ptr 0
		.amdhsa_user_sgpr_kernarg_segment_ptr 1
		.amdhsa_user_sgpr_dispatch_id 0
		.amdhsa_user_sgpr_flat_scratch_init 0
		.amdhsa_user_sgpr_private_segment_size 0
		.amdhsa_uses_dynamic_stack 0
		.amdhsa_system_sgpr_private_segment_wavefront_offset 0
		.amdhsa_system_sgpr_workgroup_id_x 1
		.amdhsa_system_sgpr_workgroup_id_y 1
		.amdhsa_system_sgpr_workgroup_id_z 1
		.amdhsa_system_sgpr_workgroup_info 0
		.amdhsa_system_vgpr_workitem_id 0
		.amdhsa_next_free_vgpr 29
		.amdhsa_next_free_sgpr 61
		.amdhsa_reserve_vcc 1
		.amdhsa_reserve_flat_scratch 0
		.amdhsa_float_round_mode_32 0
		.amdhsa_float_round_mode_16_64 0
		.amdhsa_float_denorm_mode_32 3
		.amdhsa_float_denorm_mode_16_64 3
		.amdhsa_dx10_clamp 1
		.amdhsa_ieee_mode 1
		.amdhsa_fp16_overflow 0
		.amdhsa_exception_fp_ieee_invalid_op 0
		.amdhsa_exception_fp_denorm_src 0
		.amdhsa_exception_fp_ieee_div_zero 0
		.amdhsa_exception_fp_ieee_overflow 0
		.amdhsa_exception_fp_ieee_underflow 0
		.amdhsa_exception_fp_ieee_inexact 0
		.amdhsa_exception_int_div_zero 0
	.end_amdhsa_kernel
	.section	.text._ZN7rocprim17ROCPRIM_304000_NS6detail35device_block_merge_mergepath_kernelINS1_37wrapped_merge_sort_block_merge_configINS0_14default_configEiN2at4cuda3cub6detail10OpaqueTypeILi8EEEEEPiSC_PSA_SD_jNS1_19radix_merge_compareILb1ELb1EiNS0_19identity_decomposerEEEEEvT0_T1_T2_T3_T4_SL_jT5_PKSL_NS1_7vsmem_tE,"axG",@progbits,_ZN7rocprim17ROCPRIM_304000_NS6detail35device_block_merge_mergepath_kernelINS1_37wrapped_merge_sort_block_merge_configINS0_14default_configEiN2at4cuda3cub6detail10OpaqueTypeILi8EEEEEPiSC_PSA_SD_jNS1_19radix_merge_compareILb1ELb1EiNS0_19identity_decomposerEEEEEvT0_T1_T2_T3_T4_SL_jT5_PKSL_NS1_7vsmem_tE,comdat
.Lfunc_end81:
	.size	_ZN7rocprim17ROCPRIM_304000_NS6detail35device_block_merge_mergepath_kernelINS1_37wrapped_merge_sort_block_merge_configINS0_14default_configEiN2at4cuda3cub6detail10OpaqueTypeILi8EEEEEPiSC_PSA_SD_jNS1_19radix_merge_compareILb1ELb1EiNS0_19identity_decomposerEEEEEvT0_T1_T2_T3_T4_SL_jT5_PKSL_NS1_7vsmem_tE, .Lfunc_end81-_ZN7rocprim17ROCPRIM_304000_NS6detail35device_block_merge_mergepath_kernelINS1_37wrapped_merge_sort_block_merge_configINS0_14default_configEiN2at4cuda3cub6detail10OpaqueTypeILi8EEEEEPiSC_PSA_SD_jNS1_19radix_merge_compareILb1ELb1EiNS0_19identity_decomposerEEEEEvT0_T1_T2_T3_T4_SL_jT5_PKSL_NS1_7vsmem_tE
                                        ; -- End function
	.set _ZN7rocprim17ROCPRIM_304000_NS6detail35device_block_merge_mergepath_kernelINS1_37wrapped_merge_sort_block_merge_configINS0_14default_configEiN2at4cuda3cub6detail10OpaqueTypeILi8EEEEEPiSC_PSA_SD_jNS1_19radix_merge_compareILb1ELb1EiNS0_19identity_decomposerEEEEEvT0_T1_T2_T3_T4_SL_jT5_PKSL_NS1_7vsmem_tE.num_vgpr, 24
	.set _ZN7rocprim17ROCPRIM_304000_NS6detail35device_block_merge_mergepath_kernelINS1_37wrapped_merge_sort_block_merge_configINS0_14default_configEiN2at4cuda3cub6detail10OpaqueTypeILi8EEEEEPiSC_PSA_SD_jNS1_19radix_merge_compareILb1ELb1EiNS0_19identity_decomposerEEEEEvT0_T1_T2_T3_T4_SL_jT5_PKSL_NS1_7vsmem_tE.num_agpr, 0
	.set _ZN7rocprim17ROCPRIM_304000_NS6detail35device_block_merge_mergepath_kernelINS1_37wrapped_merge_sort_block_merge_configINS0_14default_configEiN2at4cuda3cub6detail10OpaqueTypeILi8EEEEEPiSC_PSA_SD_jNS1_19radix_merge_compareILb1ELb1EiNS0_19identity_decomposerEEEEEvT0_T1_T2_T3_T4_SL_jT5_PKSL_NS1_7vsmem_tE.numbered_sgpr, 32
	.set _ZN7rocprim17ROCPRIM_304000_NS6detail35device_block_merge_mergepath_kernelINS1_37wrapped_merge_sort_block_merge_configINS0_14default_configEiN2at4cuda3cub6detail10OpaqueTypeILi8EEEEEPiSC_PSA_SD_jNS1_19radix_merge_compareILb1ELb1EiNS0_19identity_decomposerEEEEEvT0_T1_T2_T3_T4_SL_jT5_PKSL_NS1_7vsmem_tE.num_named_barrier, 0
	.set _ZN7rocprim17ROCPRIM_304000_NS6detail35device_block_merge_mergepath_kernelINS1_37wrapped_merge_sort_block_merge_configINS0_14default_configEiN2at4cuda3cub6detail10OpaqueTypeILi8EEEEEPiSC_PSA_SD_jNS1_19radix_merge_compareILb1ELb1EiNS0_19identity_decomposerEEEEEvT0_T1_T2_T3_T4_SL_jT5_PKSL_NS1_7vsmem_tE.private_seg_size, 0
	.set _ZN7rocprim17ROCPRIM_304000_NS6detail35device_block_merge_mergepath_kernelINS1_37wrapped_merge_sort_block_merge_configINS0_14default_configEiN2at4cuda3cub6detail10OpaqueTypeILi8EEEEEPiSC_PSA_SD_jNS1_19radix_merge_compareILb1ELb1EiNS0_19identity_decomposerEEEEEvT0_T1_T2_T3_T4_SL_jT5_PKSL_NS1_7vsmem_tE.uses_vcc, 1
	.set _ZN7rocprim17ROCPRIM_304000_NS6detail35device_block_merge_mergepath_kernelINS1_37wrapped_merge_sort_block_merge_configINS0_14default_configEiN2at4cuda3cub6detail10OpaqueTypeILi8EEEEEPiSC_PSA_SD_jNS1_19radix_merge_compareILb1ELb1EiNS0_19identity_decomposerEEEEEvT0_T1_T2_T3_T4_SL_jT5_PKSL_NS1_7vsmem_tE.uses_flat_scratch, 0
	.set _ZN7rocprim17ROCPRIM_304000_NS6detail35device_block_merge_mergepath_kernelINS1_37wrapped_merge_sort_block_merge_configINS0_14default_configEiN2at4cuda3cub6detail10OpaqueTypeILi8EEEEEPiSC_PSA_SD_jNS1_19radix_merge_compareILb1ELb1EiNS0_19identity_decomposerEEEEEvT0_T1_T2_T3_T4_SL_jT5_PKSL_NS1_7vsmem_tE.has_dyn_sized_stack, 0
	.set _ZN7rocprim17ROCPRIM_304000_NS6detail35device_block_merge_mergepath_kernelINS1_37wrapped_merge_sort_block_merge_configINS0_14default_configEiN2at4cuda3cub6detail10OpaqueTypeILi8EEEEEPiSC_PSA_SD_jNS1_19radix_merge_compareILb1ELb1EiNS0_19identity_decomposerEEEEEvT0_T1_T2_T3_T4_SL_jT5_PKSL_NS1_7vsmem_tE.has_recursion, 0
	.set _ZN7rocprim17ROCPRIM_304000_NS6detail35device_block_merge_mergepath_kernelINS1_37wrapped_merge_sort_block_merge_configINS0_14default_configEiN2at4cuda3cub6detail10OpaqueTypeILi8EEEEEPiSC_PSA_SD_jNS1_19radix_merge_compareILb1ELb1EiNS0_19identity_decomposerEEEEEvT0_T1_T2_T3_T4_SL_jT5_PKSL_NS1_7vsmem_tE.has_indirect_call, 0
	.section	.AMDGPU.csdata,"",@progbits
; Kernel info:
; codeLenInByte = 3316
; TotalNumSgprs: 36
; NumVgprs: 24
; ScratchSize: 0
; MemoryBound: 0
; FloatMode: 240
; IeeeMode: 1
; LDSByteSize: 4112 bytes/workgroup (compile time only)
; SGPRBlocks: 8
; VGPRBlocks: 7
; NumSGPRsForWavesPerEU: 65
; NumVGPRsForWavesPerEU: 29
; Occupancy: 8
; WaveLimiterHint : 1
; COMPUTE_PGM_RSRC2:SCRATCH_EN: 0
; COMPUTE_PGM_RSRC2:USER_SGPR: 6
; COMPUTE_PGM_RSRC2:TRAP_HANDLER: 0
; COMPUTE_PGM_RSRC2:TGID_X_EN: 1
; COMPUTE_PGM_RSRC2:TGID_Y_EN: 1
; COMPUTE_PGM_RSRC2:TGID_Z_EN: 1
; COMPUTE_PGM_RSRC2:TIDIG_COMP_CNT: 0
	.section	.text._ZN7rocprim17ROCPRIM_304000_NS6detail33device_block_merge_oddeven_kernelINS1_37wrapped_merge_sort_block_merge_configINS0_14default_configEiN2at4cuda3cub6detail10OpaqueTypeILi8EEEEEPiSC_PSA_SD_jNS1_19radix_merge_compareILb1ELb1EiNS0_19identity_decomposerEEEEEvT0_T1_T2_T3_T4_SL_T5_,"axG",@progbits,_ZN7rocprim17ROCPRIM_304000_NS6detail33device_block_merge_oddeven_kernelINS1_37wrapped_merge_sort_block_merge_configINS0_14default_configEiN2at4cuda3cub6detail10OpaqueTypeILi8EEEEEPiSC_PSA_SD_jNS1_19radix_merge_compareILb1ELb1EiNS0_19identity_decomposerEEEEEvT0_T1_T2_T3_T4_SL_T5_,comdat
	.protected	_ZN7rocprim17ROCPRIM_304000_NS6detail33device_block_merge_oddeven_kernelINS1_37wrapped_merge_sort_block_merge_configINS0_14default_configEiN2at4cuda3cub6detail10OpaqueTypeILi8EEEEEPiSC_PSA_SD_jNS1_19radix_merge_compareILb1ELb1EiNS0_19identity_decomposerEEEEEvT0_T1_T2_T3_T4_SL_T5_ ; -- Begin function _ZN7rocprim17ROCPRIM_304000_NS6detail33device_block_merge_oddeven_kernelINS1_37wrapped_merge_sort_block_merge_configINS0_14default_configEiN2at4cuda3cub6detail10OpaqueTypeILi8EEEEEPiSC_PSA_SD_jNS1_19radix_merge_compareILb1ELb1EiNS0_19identity_decomposerEEEEEvT0_T1_T2_T3_T4_SL_T5_
	.globl	_ZN7rocprim17ROCPRIM_304000_NS6detail33device_block_merge_oddeven_kernelINS1_37wrapped_merge_sort_block_merge_configINS0_14default_configEiN2at4cuda3cub6detail10OpaqueTypeILi8EEEEEPiSC_PSA_SD_jNS1_19radix_merge_compareILb1ELb1EiNS0_19identity_decomposerEEEEEvT0_T1_T2_T3_T4_SL_T5_
	.p2align	8
	.type	_ZN7rocprim17ROCPRIM_304000_NS6detail33device_block_merge_oddeven_kernelINS1_37wrapped_merge_sort_block_merge_configINS0_14default_configEiN2at4cuda3cub6detail10OpaqueTypeILi8EEEEEPiSC_PSA_SD_jNS1_19radix_merge_compareILb1ELb1EiNS0_19identity_decomposerEEEEEvT0_T1_T2_T3_T4_SL_T5_,@function
_ZN7rocprim17ROCPRIM_304000_NS6detail33device_block_merge_oddeven_kernelINS1_37wrapped_merge_sort_block_merge_configINS0_14default_configEiN2at4cuda3cub6detail10OpaqueTypeILi8EEEEEPiSC_PSA_SD_jNS1_19radix_merge_compareILb1ELb1EiNS0_19identity_decomposerEEEEEvT0_T1_T2_T3_T4_SL_T5_: ; @_ZN7rocprim17ROCPRIM_304000_NS6detail33device_block_merge_oddeven_kernelINS1_37wrapped_merge_sort_block_merge_configINS0_14default_configEiN2at4cuda3cub6detail10OpaqueTypeILi8EEEEEPiSC_PSA_SD_jNS1_19radix_merge_compareILb1ELb1EiNS0_19identity_decomposerEEEEEvT0_T1_T2_T3_T4_SL_T5_
; %bb.0:
	s_load_dwordx4 s[16:19], s[4:5], 0x20
	s_waitcnt lgkmcnt(0)
	s_lshr_b32 s0, s16, 7
	s_cmp_eq_u32 s6, s0
	s_cselect_b64 s[20:21], -1, 0
	s_cmp_lg_u32 s6, s0
	s_cselect_b64 s[0:1], -1, 0
	s_lshl_b32 s22, s6, 7
	s_sub_i32 s2, s16, s22
	v_cmp_gt_u32_e64 s[2:3], s2, v0
	s_or_b64 s[0:1], s[0:1], s[2:3]
	s_and_saveexec_b64 s[8:9], s[0:1]
	s_cbranch_execz .LBB82_24
; %bb.1:
	s_load_dwordx8 s[8:15], s[4:5], 0x0
	s_mov_b32 s23, 0
	s_lshl_b64 s[0:1], s[22:23], 2
	v_lshlrev_b32_e32 v4, 3, v0
	v_lshlrev_b32_e32 v3, 2, v0
	s_waitcnt lgkmcnt(0)
	s_add_u32 s0, s8, s0
	s_addc_u32 s1, s9, s1
	s_lshl_b64 s[4:5], s[22:23], 3
	s_add_u32 s4, s12, s4
	s_addc_u32 s5, s13, s5
	global_load_dwordx2 v[1:2], v4, s[4:5]
	global_load_dword v5, v3, s[0:1]
	s_lshr_b32 s0, s17, 7
	s_sub_i32 s1, 0, s0
	s_and_b32 s1, s6, s1
	s_and_b32 s0, s1, s0
	s_lshl_b32 s13, s1, 7
	s_sub_i32 s6, 0, s17
	s_cmp_eq_u32 s0, 0
	s_cselect_b64 s[0:1], -1, 0
	s_and_b64 s[4:5], s[0:1], exec
	s_cselect_b32 s6, s17, s6
	s_add_i32 s6, s6, s13
	s_mov_b64 s[4:5], -1
	s_cmp_gt_u32 s16, s6
	v_add_u32_e32 v3, s22, v0
	s_cbranch_scc1 .LBB82_9
; %bb.2:
	s_and_b64 vcc, exec, s[20:21]
	s_cbranch_vccz .LBB82_6
; %bb.3:
	v_cmp_gt_u32_e32 vcc, s16, v3
	s_and_saveexec_b64 s[4:5], vcc
	s_cbranch_execz .LBB82_5
; %bb.4:
	v_mov_b32_e32 v4, 0
	v_lshlrev_b64 v[6:7], 3, v[3:4]
	v_mov_b32_e32 v0, s15
	v_add_co_u32_e32 v6, vcc, s14, v6
	v_lshlrev_b64 v[8:9], 2, v[3:4]
	v_addc_co_u32_e32 v7, vcc, v0, v7, vcc
	v_mov_b32_e32 v0, s11
	v_add_co_u32_e32 v8, vcc, s10, v8
	v_addc_co_u32_e32 v9, vcc, v0, v9, vcc
	s_waitcnt vmcnt(0)
	global_store_dword v[8:9], v5, off
	global_store_dwordx2 v[6:7], v[1:2], off
.LBB82_5:
	s_or_b64 exec, exec, s[4:5]
	s_mov_b64 s[4:5], 0
.LBB82_6:
	s_andn2_b64 vcc, exec, s[4:5]
	s_cbranch_vccnz .LBB82_8
; %bb.7:
	v_mov_b32_e32 v4, 0
	v_lshlrev_b64 v[6:7], 2, v[3:4]
	v_mov_b32_e32 v0, s11
	v_add_co_u32_e32 v6, vcc, s10, v6
	v_lshlrev_b64 v[8:9], 3, v[3:4]
	v_addc_co_u32_e32 v7, vcc, v0, v7, vcc
	v_mov_b32_e32 v0, s15
	v_add_co_u32_e32 v8, vcc, s14, v8
	v_addc_co_u32_e32 v9, vcc, v0, v9, vcc
	s_waitcnt vmcnt(0)
	global_store_dword v[6:7], v5, off
	global_store_dwordx2 v[8:9], v[1:2], off
.LBB82_8:
	s_mov_b64 s[4:5], 0
.LBB82_9:
	s_andn2_b64 vcc, exec, s[4:5]
	s_cbranch_vccnz .LBB82_24
; %bb.10:
	s_min_u32 s7, s6, s16
	s_add_i32 s4, s7, s17
	s_min_u32 s12, s4, s16
	s_min_u32 s4, s13, s7
	s_add_i32 s13, s13, s7
	v_subrev_u32_e32 v0, s13, v3
	v_add_u32_e32 v0, s4, v0
	s_waitcnt vmcnt(0)
	v_and_b32_e32 v6, s18, v5
	s_mov_b64 s[4:5], -1
	s_and_b64 vcc, exec, s[20:21]
	s_cbranch_vccz .LBB82_18
; %bb.11:
	s_and_saveexec_b64 s[4:5], s[2:3]
	s_cbranch_execz .LBB82_17
; %bb.12:
	s_cmp_ge_u32 s6, s12
	v_mov_b32_e32 v7, s7
	s_cbranch_scc1 .LBB82_16
; %bb.13:
	s_mov_b64 s[2:3], 0
	v_mov_b32_e32 v8, s12
	v_mov_b32_e32 v7, s7
	;; [unrolled: 1-line block ×4, first 2 shown]
.LBB82_14:                              ; =>This Inner Loop Header: Depth=1
	v_add_u32_e32 v3, v7, v8
	v_lshrrev_b32_e32 v3, 1, v3
	v_lshlrev_b64 v[10:11], 2, v[3:4]
	v_add_co_u32_e32 v10, vcc, s8, v10
	v_addc_co_u32_e32 v11, vcc, v9, v11, vcc
	global_load_dword v10, v[10:11], off
	v_add_u32_e32 v11, 1, v3
	s_waitcnt vmcnt(0)
	v_and_b32_e32 v10, s18, v10
	v_cmp_gt_i32_e32 vcc, v10, v6
	v_cndmask_b32_e64 v12, 0, 1, vcc
	v_cmp_le_i32_e32 vcc, v6, v10
	v_cndmask_b32_e64 v10, 0, 1, vcc
	v_cndmask_b32_e64 v10, v10, v12, s[0:1]
	v_and_b32_e32 v10, 1, v10
	v_cmp_eq_u32_e32 vcc, 1, v10
	v_cndmask_b32_e32 v8, v3, v8, vcc
	v_cndmask_b32_e32 v7, v7, v11, vcc
	v_cmp_ge_u32_e32 vcc, v7, v8
	s_or_b64 s[2:3], vcc, s[2:3]
	s_andn2_b64 exec, exec, s[2:3]
	s_cbranch_execnz .LBB82_14
; %bb.15:
	s_or_b64 exec, exec, s[2:3]
.LBB82_16:
	v_add_u32_e32 v3, v7, v0
	v_mov_b32_e32 v4, 0
	v_lshlrev_b64 v[7:8], 2, v[3:4]
	v_mov_b32_e32 v9, s11
	v_add_co_u32_e32 v7, vcc, s10, v7
	v_lshlrev_b64 v[3:4], 3, v[3:4]
	v_addc_co_u32_e32 v8, vcc, v9, v8, vcc
	global_store_dword v[7:8], v5, off
	v_mov_b32_e32 v7, s15
	v_add_co_u32_e32 v3, vcc, s14, v3
	v_addc_co_u32_e32 v4, vcc, v7, v4, vcc
	global_store_dwordx2 v[3:4], v[1:2], off
.LBB82_17:
	s_or_b64 exec, exec, s[4:5]
	s_mov_b64 s[4:5], 0
.LBB82_18:
	s_andn2_b64 vcc, exec, s[4:5]
	s_cbranch_vccnz .LBB82_24
; %bb.19:
	s_cmp_ge_u32 s6, s12
	v_mov_b32_e32 v7, s7
	s_cbranch_scc1 .LBB82_23
; %bb.20:
	s_mov_b64 s[2:3], 0
	v_mov_b32_e32 v8, s12
	v_mov_b32_e32 v7, s7
	;; [unrolled: 1-line block ×4, first 2 shown]
.LBB82_21:                              ; =>This Inner Loop Header: Depth=1
	v_add_u32_e32 v3, v7, v8
	v_lshrrev_b32_e32 v3, 1, v3
	v_lshlrev_b64 v[10:11], 2, v[3:4]
	v_add_co_u32_e32 v10, vcc, s8, v10
	v_addc_co_u32_e32 v11, vcc, v9, v11, vcc
	global_load_dword v10, v[10:11], off
	v_add_u32_e32 v11, 1, v3
	s_waitcnt vmcnt(0)
	v_and_b32_e32 v10, s18, v10
	v_cmp_gt_i32_e32 vcc, v10, v6
	v_cndmask_b32_e64 v12, 0, 1, vcc
	v_cmp_le_i32_e32 vcc, v6, v10
	v_cndmask_b32_e64 v10, 0, 1, vcc
	v_cndmask_b32_e64 v10, v10, v12, s[0:1]
	v_and_b32_e32 v10, 1, v10
	v_cmp_eq_u32_e32 vcc, 1, v10
	v_cndmask_b32_e32 v8, v3, v8, vcc
	v_cndmask_b32_e32 v7, v7, v11, vcc
	v_cmp_ge_u32_e32 vcc, v7, v8
	s_or_b64 s[2:3], vcc, s[2:3]
	s_andn2_b64 exec, exec, s[2:3]
	s_cbranch_execnz .LBB82_21
; %bb.22:
	s_or_b64 exec, exec, s[2:3]
.LBB82_23:
	v_add_u32_e32 v3, v7, v0
	v_mov_b32_e32 v4, 0
	v_lshlrev_b64 v[6:7], 2, v[3:4]
	v_mov_b32_e32 v0, s11
	v_add_co_u32_e32 v6, vcc, s10, v6
	v_lshlrev_b64 v[3:4], 3, v[3:4]
	v_addc_co_u32_e32 v7, vcc, v0, v7, vcc
	v_mov_b32_e32 v0, s15
	v_add_co_u32_e32 v3, vcc, s14, v3
	v_addc_co_u32_e32 v4, vcc, v0, v4, vcc
	global_store_dword v[6:7], v5, off
	global_store_dwordx2 v[3:4], v[1:2], off
.LBB82_24:
	s_endpgm
	.section	.rodata,"a",@progbits
	.p2align	6, 0x0
	.amdhsa_kernel _ZN7rocprim17ROCPRIM_304000_NS6detail33device_block_merge_oddeven_kernelINS1_37wrapped_merge_sort_block_merge_configINS0_14default_configEiN2at4cuda3cub6detail10OpaqueTypeILi8EEEEEPiSC_PSA_SD_jNS1_19radix_merge_compareILb1ELb1EiNS0_19identity_decomposerEEEEEvT0_T1_T2_T3_T4_SL_T5_
		.amdhsa_group_segment_fixed_size 0
		.amdhsa_private_segment_fixed_size 0
		.amdhsa_kernarg_size 44
		.amdhsa_user_sgpr_count 6
		.amdhsa_user_sgpr_private_segment_buffer 1
		.amdhsa_user_sgpr_dispatch_ptr 0
		.amdhsa_user_sgpr_queue_ptr 0
		.amdhsa_user_sgpr_kernarg_segment_ptr 1
		.amdhsa_user_sgpr_dispatch_id 0
		.amdhsa_user_sgpr_flat_scratch_init 0
		.amdhsa_user_sgpr_private_segment_size 0
		.amdhsa_uses_dynamic_stack 0
		.amdhsa_system_sgpr_private_segment_wavefront_offset 0
		.amdhsa_system_sgpr_workgroup_id_x 1
		.amdhsa_system_sgpr_workgroup_id_y 0
		.amdhsa_system_sgpr_workgroup_id_z 0
		.amdhsa_system_sgpr_workgroup_info 0
		.amdhsa_system_vgpr_workitem_id 0
		.amdhsa_next_free_vgpr 13
		.amdhsa_next_free_sgpr 24
		.amdhsa_reserve_vcc 1
		.amdhsa_reserve_flat_scratch 0
		.amdhsa_float_round_mode_32 0
		.amdhsa_float_round_mode_16_64 0
		.amdhsa_float_denorm_mode_32 3
		.amdhsa_float_denorm_mode_16_64 3
		.amdhsa_dx10_clamp 1
		.amdhsa_ieee_mode 1
		.amdhsa_fp16_overflow 0
		.amdhsa_exception_fp_ieee_invalid_op 0
		.amdhsa_exception_fp_denorm_src 0
		.amdhsa_exception_fp_ieee_div_zero 0
		.amdhsa_exception_fp_ieee_overflow 0
		.amdhsa_exception_fp_ieee_underflow 0
		.amdhsa_exception_fp_ieee_inexact 0
		.amdhsa_exception_int_div_zero 0
	.end_amdhsa_kernel
	.section	.text._ZN7rocprim17ROCPRIM_304000_NS6detail33device_block_merge_oddeven_kernelINS1_37wrapped_merge_sort_block_merge_configINS0_14default_configEiN2at4cuda3cub6detail10OpaqueTypeILi8EEEEEPiSC_PSA_SD_jNS1_19radix_merge_compareILb1ELb1EiNS0_19identity_decomposerEEEEEvT0_T1_T2_T3_T4_SL_T5_,"axG",@progbits,_ZN7rocprim17ROCPRIM_304000_NS6detail33device_block_merge_oddeven_kernelINS1_37wrapped_merge_sort_block_merge_configINS0_14default_configEiN2at4cuda3cub6detail10OpaqueTypeILi8EEEEEPiSC_PSA_SD_jNS1_19radix_merge_compareILb1ELb1EiNS0_19identity_decomposerEEEEEvT0_T1_T2_T3_T4_SL_T5_,comdat
.Lfunc_end82:
	.size	_ZN7rocprim17ROCPRIM_304000_NS6detail33device_block_merge_oddeven_kernelINS1_37wrapped_merge_sort_block_merge_configINS0_14default_configEiN2at4cuda3cub6detail10OpaqueTypeILi8EEEEEPiSC_PSA_SD_jNS1_19radix_merge_compareILb1ELb1EiNS0_19identity_decomposerEEEEEvT0_T1_T2_T3_T4_SL_T5_, .Lfunc_end82-_ZN7rocprim17ROCPRIM_304000_NS6detail33device_block_merge_oddeven_kernelINS1_37wrapped_merge_sort_block_merge_configINS0_14default_configEiN2at4cuda3cub6detail10OpaqueTypeILi8EEEEEPiSC_PSA_SD_jNS1_19radix_merge_compareILb1ELb1EiNS0_19identity_decomposerEEEEEvT0_T1_T2_T3_T4_SL_T5_
                                        ; -- End function
	.set _ZN7rocprim17ROCPRIM_304000_NS6detail33device_block_merge_oddeven_kernelINS1_37wrapped_merge_sort_block_merge_configINS0_14default_configEiN2at4cuda3cub6detail10OpaqueTypeILi8EEEEEPiSC_PSA_SD_jNS1_19radix_merge_compareILb1ELb1EiNS0_19identity_decomposerEEEEEvT0_T1_T2_T3_T4_SL_T5_.num_vgpr, 13
	.set _ZN7rocprim17ROCPRIM_304000_NS6detail33device_block_merge_oddeven_kernelINS1_37wrapped_merge_sort_block_merge_configINS0_14default_configEiN2at4cuda3cub6detail10OpaqueTypeILi8EEEEEPiSC_PSA_SD_jNS1_19radix_merge_compareILb1ELb1EiNS0_19identity_decomposerEEEEEvT0_T1_T2_T3_T4_SL_T5_.num_agpr, 0
	.set _ZN7rocprim17ROCPRIM_304000_NS6detail33device_block_merge_oddeven_kernelINS1_37wrapped_merge_sort_block_merge_configINS0_14default_configEiN2at4cuda3cub6detail10OpaqueTypeILi8EEEEEPiSC_PSA_SD_jNS1_19radix_merge_compareILb1ELb1EiNS0_19identity_decomposerEEEEEvT0_T1_T2_T3_T4_SL_T5_.numbered_sgpr, 24
	.set _ZN7rocprim17ROCPRIM_304000_NS6detail33device_block_merge_oddeven_kernelINS1_37wrapped_merge_sort_block_merge_configINS0_14default_configEiN2at4cuda3cub6detail10OpaqueTypeILi8EEEEEPiSC_PSA_SD_jNS1_19radix_merge_compareILb1ELb1EiNS0_19identity_decomposerEEEEEvT0_T1_T2_T3_T4_SL_T5_.num_named_barrier, 0
	.set _ZN7rocprim17ROCPRIM_304000_NS6detail33device_block_merge_oddeven_kernelINS1_37wrapped_merge_sort_block_merge_configINS0_14default_configEiN2at4cuda3cub6detail10OpaqueTypeILi8EEEEEPiSC_PSA_SD_jNS1_19radix_merge_compareILb1ELb1EiNS0_19identity_decomposerEEEEEvT0_T1_T2_T3_T4_SL_T5_.private_seg_size, 0
	.set _ZN7rocprim17ROCPRIM_304000_NS6detail33device_block_merge_oddeven_kernelINS1_37wrapped_merge_sort_block_merge_configINS0_14default_configEiN2at4cuda3cub6detail10OpaqueTypeILi8EEEEEPiSC_PSA_SD_jNS1_19radix_merge_compareILb1ELb1EiNS0_19identity_decomposerEEEEEvT0_T1_T2_T3_T4_SL_T5_.uses_vcc, 1
	.set _ZN7rocprim17ROCPRIM_304000_NS6detail33device_block_merge_oddeven_kernelINS1_37wrapped_merge_sort_block_merge_configINS0_14default_configEiN2at4cuda3cub6detail10OpaqueTypeILi8EEEEEPiSC_PSA_SD_jNS1_19radix_merge_compareILb1ELb1EiNS0_19identity_decomposerEEEEEvT0_T1_T2_T3_T4_SL_T5_.uses_flat_scratch, 0
	.set _ZN7rocprim17ROCPRIM_304000_NS6detail33device_block_merge_oddeven_kernelINS1_37wrapped_merge_sort_block_merge_configINS0_14default_configEiN2at4cuda3cub6detail10OpaqueTypeILi8EEEEEPiSC_PSA_SD_jNS1_19radix_merge_compareILb1ELb1EiNS0_19identity_decomposerEEEEEvT0_T1_T2_T3_T4_SL_T5_.has_dyn_sized_stack, 0
	.set _ZN7rocprim17ROCPRIM_304000_NS6detail33device_block_merge_oddeven_kernelINS1_37wrapped_merge_sort_block_merge_configINS0_14default_configEiN2at4cuda3cub6detail10OpaqueTypeILi8EEEEEPiSC_PSA_SD_jNS1_19radix_merge_compareILb1ELb1EiNS0_19identity_decomposerEEEEEvT0_T1_T2_T3_T4_SL_T5_.has_recursion, 0
	.set _ZN7rocprim17ROCPRIM_304000_NS6detail33device_block_merge_oddeven_kernelINS1_37wrapped_merge_sort_block_merge_configINS0_14default_configEiN2at4cuda3cub6detail10OpaqueTypeILi8EEEEEPiSC_PSA_SD_jNS1_19radix_merge_compareILb1ELb1EiNS0_19identity_decomposerEEEEEvT0_T1_T2_T3_T4_SL_T5_.has_indirect_call, 0
	.section	.AMDGPU.csdata,"",@progbits
; Kernel info:
; codeLenInByte = 852
; TotalNumSgprs: 28
; NumVgprs: 13
; ScratchSize: 0
; MemoryBound: 0
; FloatMode: 240
; IeeeMode: 1
; LDSByteSize: 0 bytes/workgroup (compile time only)
; SGPRBlocks: 3
; VGPRBlocks: 3
; NumSGPRsForWavesPerEU: 28
; NumVGPRsForWavesPerEU: 13
; Occupancy: 10
; WaveLimiterHint : 0
; COMPUTE_PGM_RSRC2:SCRATCH_EN: 0
; COMPUTE_PGM_RSRC2:USER_SGPR: 6
; COMPUTE_PGM_RSRC2:TRAP_HANDLER: 0
; COMPUTE_PGM_RSRC2:TGID_X_EN: 1
; COMPUTE_PGM_RSRC2:TGID_Y_EN: 0
; COMPUTE_PGM_RSRC2:TGID_Z_EN: 0
; COMPUTE_PGM_RSRC2:TIDIG_COMP_CNT: 0
	.section	.text._ZN7rocprim17ROCPRIM_304000_NS6detail26onesweep_histograms_kernelINS1_34wrapped_radix_sort_onesweep_configINS0_14default_configEiN2at4cuda3cub6detail10OpaqueTypeILi8EEEEELb1EPKimNS0_19identity_decomposerEEEvT1_PT2_SG_SG_T3_jj,"axG",@progbits,_ZN7rocprim17ROCPRIM_304000_NS6detail26onesweep_histograms_kernelINS1_34wrapped_radix_sort_onesweep_configINS0_14default_configEiN2at4cuda3cub6detail10OpaqueTypeILi8EEEEELb1EPKimNS0_19identity_decomposerEEEvT1_PT2_SG_SG_T3_jj,comdat
	.protected	_ZN7rocprim17ROCPRIM_304000_NS6detail26onesweep_histograms_kernelINS1_34wrapped_radix_sort_onesweep_configINS0_14default_configEiN2at4cuda3cub6detail10OpaqueTypeILi8EEEEELb1EPKimNS0_19identity_decomposerEEEvT1_PT2_SG_SG_T3_jj ; -- Begin function _ZN7rocprim17ROCPRIM_304000_NS6detail26onesweep_histograms_kernelINS1_34wrapped_radix_sort_onesweep_configINS0_14default_configEiN2at4cuda3cub6detail10OpaqueTypeILi8EEEEELb1EPKimNS0_19identity_decomposerEEEvT1_PT2_SG_SG_T3_jj
	.globl	_ZN7rocprim17ROCPRIM_304000_NS6detail26onesweep_histograms_kernelINS1_34wrapped_radix_sort_onesweep_configINS0_14default_configEiN2at4cuda3cub6detail10OpaqueTypeILi8EEEEELb1EPKimNS0_19identity_decomposerEEEvT1_PT2_SG_SG_T3_jj
	.p2align	8
	.type	_ZN7rocprim17ROCPRIM_304000_NS6detail26onesweep_histograms_kernelINS1_34wrapped_radix_sort_onesweep_configINS0_14default_configEiN2at4cuda3cub6detail10OpaqueTypeILi8EEEEELb1EPKimNS0_19identity_decomposerEEEvT1_PT2_SG_SG_T3_jj,@function
_ZN7rocprim17ROCPRIM_304000_NS6detail26onesweep_histograms_kernelINS1_34wrapped_radix_sort_onesweep_configINS0_14default_configEiN2at4cuda3cub6detail10OpaqueTypeILi8EEEEELb1EPKimNS0_19identity_decomposerEEEvT1_PT2_SG_SG_T3_jj: ; @_ZN7rocprim17ROCPRIM_304000_NS6detail26onesweep_histograms_kernelINS1_34wrapped_radix_sort_onesweep_configINS0_14default_configEiN2at4cuda3cub6detail10OpaqueTypeILi8EEEEELb1EPKimNS0_19identity_decomposerEEEvT1_PT2_SG_SG_T3_jj
; %bb.0:
	s_load_dwordx8 s[24:31], s[4:5], 0x0
	s_load_dwordx2 s[34:35], s[4:5], 0x24
	v_mov_b32_e32 v1, s6
	v_mov_b32_e32 v2, 0
	s_mul_hi_u32 s0, s6, 0x3000
	s_waitcnt lgkmcnt(0)
	v_cmp_le_u64_e32 vcc, s[30:31], v[1:2]
	s_mulk_i32 s6, 0x3000
	s_add_u32 s24, s24, s6
	s_addc_u32 s25, s25, s0
	s_mov_b64 s[0:1], -1
	v_lshlrev_b32_e32 v3, 2, v0
	s_cbranch_vccz .LBB83_82
; %bb.1:
	s_mul_i32 s0, s30, 0xfffff400
	v_lshlrev_b32_e32 v16, 2, v0
	s_add_i32 s28, s0, s28
	v_mov_b32_e32 v2, s25
	v_add_co_u32_e32 v1, vcc, s24, v16
	v_addc_co_u32_e32 v2, vcc, 0, v2, vcc
	v_cmp_gt_u32_e64 s[22:23], s28, v0
                                        ; implicit-def: $vgpr15
	s_and_saveexec_b64 s[0:1], s[22:23]
	s_cbranch_execz .LBB83_3
; %bb.2:
	global_load_dword v4, v[1:2], off
	s_waitcnt vmcnt(0)
	v_xor_b32_e32 v15, 0x7fffffff, v4
.LBB83_3:
	s_or_b64 exec, exec, s[0:1]
	v_or_b32_e32 v4, 0x100, v0
	v_cmp_gt_u32_e64 s[20:21], s28, v4
                                        ; implicit-def: $vgpr14
	s_and_saveexec_b64 s[0:1], s[20:21]
	s_cbranch_execz .LBB83_5
; %bb.4:
	global_load_dword v4, v[1:2], off offset:1024
	s_waitcnt vmcnt(0)
	v_xor_b32_e32 v14, 0x7fffffff, v4
.LBB83_5:
	s_or_b64 exec, exec, s[0:1]
	v_or_b32_e32 v4, 0x200, v0
	v_cmp_gt_u32_e64 s[18:19], s28, v4
                                        ; implicit-def: $vgpr13
	s_and_saveexec_b64 s[0:1], s[18:19]
	s_cbranch_execz .LBB83_7
; %bb.6:
	global_load_dword v4, v[1:2], off offset:2048
	s_waitcnt vmcnt(0)
	v_xor_b32_e32 v13, 0x7fffffff, v4
.LBB83_7:
	s_or_b64 exec, exec, s[0:1]
	v_or_b32_e32 v4, 0x300, v0
	v_cmp_gt_u32_e64 s[16:17], s28, v4
                                        ; implicit-def: $vgpr12
	s_and_saveexec_b64 s[0:1], s[16:17]
	s_cbranch_execz .LBB83_9
; %bb.8:
	global_load_dword v4, v[1:2], off offset:3072
	s_waitcnt vmcnt(0)
	v_xor_b32_e32 v12, 0x7fffffff, v4
.LBB83_9:
	s_or_b64 exec, exec, s[0:1]
	v_or_b32_e32 v4, 0x400, v0
	v_cmp_gt_u32_e64 s[14:15], s28, v4
                                        ; implicit-def: $vgpr11
	s_and_saveexec_b64 s[0:1], s[14:15]
	s_cbranch_execz .LBB83_11
; %bb.10:
	v_add_co_u32_e32 v4, vcc, 0x1000, v1
	v_addc_co_u32_e32 v5, vcc, 0, v2, vcc
	global_load_dword v4, v[4:5], off
	s_waitcnt vmcnt(0)
	v_xor_b32_e32 v11, 0x7fffffff, v4
.LBB83_11:
	s_or_b64 exec, exec, s[0:1]
	v_or_b32_e32 v4, 0x500, v0
	v_cmp_gt_u32_e64 s[12:13], s28, v4
                                        ; implicit-def: $vgpr10
	s_and_saveexec_b64 s[0:1], s[12:13]
	s_cbranch_execz .LBB83_13
; %bb.12:
	v_add_co_u32_e32 v4, vcc, 0x1000, v1
	v_addc_co_u32_e32 v5, vcc, 0, v2, vcc
	global_load_dword v4, v[4:5], off offset:1024
	s_waitcnt vmcnt(0)
	v_xor_b32_e32 v10, 0x7fffffff, v4
.LBB83_13:
	s_or_b64 exec, exec, s[0:1]
	v_or_b32_e32 v4, 0x600, v0
	v_cmp_gt_u32_e64 s[10:11], s28, v4
                                        ; implicit-def: $vgpr9
	s_and_saveexec_b64 s[0:1], s[10:11]
	s_cbranch_execz .LBB83_15
; %bb.14:
	v_add_co_u32_e32 v4, vcc, 0x1000, v1
	v_addc_co_u32_e32 v5, vcc, 0, v2, vcc
	global_load_dword v4, v[4:5], off offset:2048
	s_waitcnt vmcnt(0)
	v_xor_b32_e32 v9, 0x7fffffff, v4
.LBB83_15:
	s_or_b64 exec, exec, s[0:1]
	v_or_b32_e32 v4, 0x700, v0
	v_cmp_gt_u32_e64 s[8:9], s28, v4
                                        ; implicit-def: $vgpr8
	s_and_saveexec_b64 s[0:1], s[8:9]
	s_cbranch_execz .LBB83_17
; %bb.16:
	v_add_co_u32_e32 v4, vcc, 0x1000, v1
	v_addc_co_u32_e32 v5, vcc, 0, v2, vcc
	global_load_dword v4, v[4:5], off offset:3072
	s_waitcnt vmcnt(0)
	v_xor_b32_e32 v8, 0x7fffffff, v4
.LBB83_17:
	s_or_b64 exec, exec, s[0:1]
	v_or_b32_e32 v4, 0x800, v0
	v_cmp_gt_u32_e64 s[6:7], s28, v4
                                        ; implicit-def: $vgpr7
	s_and_saveexec_b64 s[0:1], s[6:7]
	s_cbranch_execz .LBB83_19
; %bb.18:
	v_add_co_u32_e32 v4, vcc, 0x2000, v1
	v_addc_co_u32_e32 v5, vcc, 0, v2, vcc
	global_load_dword v4, v[4:5], off
	s_waitcnt vmcnt(0)
	v_xor_b32_e32 v7, 0x7fffffff, v4
.LBB83_19:
	s_or_b64 exec, exec, s[0:1]
	v_or_b32_e32 v4, 0x900, v0
	v_cmp_gt_u32_e64 s[4:5], s28, v4
                                        ; implicit-def: $vgpr6
	s_and_saveexec_b64 s[0:1], s[4:5]
	s_cbranch_execz .LBB83_21
; %bb.20:
	v_add_co_u32_e32 v4, vcc, 0x2000, v1
	v_addc_co_u32_e32 v5, vcc, 0, v2, vcc
	global_load_dword v4, v[4:5], off offset:1024
	s_waitcnt vmcnt(0)
	v_xor_b32_e32 v6, 0x7fffffff, v4
.LBB83_21:
	s_or_b64 exec, exec, s[0:1]
	v_or_b32_e32 v4, 0xa00, v0
	v_cmp_gt_u32_e64 s[2:3], s28, v4
                                        ; implicit-def: $vgpr5
	s_and_saveexec_b64 s[0:1], s[2:3]
	s_cbranch_execz .LBB83_23
; %bb.22:
	v_add_co_u32_e32 v4, vcc, 0x2000, v1
	v_addc_co_u32_e32 v5, vcc, 0, v2, vcc
	global_load_dword v4, v[4:5], off offset:2048
	s_waitcnt vmcnt(0)
	v_xor_b32_e32 v5, 0x7fffffff, v4
.LBB83_23:
	s_or_b64 exec, exec, s[0:1]
	v_or_b32_e32 v4, 0xb00, v0
	v_cmp_gt_u32_e64 s[0:1], s28, v4
                                        ; implicit-def: $vgpr4
	s_and_saveexec_b64 s[28:29], s[0:1]
	s_cbranch_execz .LBB83_25
; %bb.24:
	v_add_co_u32_e32 v1, vcc, 0x2000, v1
	v_addc_co_u32_e32 v2, vcc, 0, v2, vcc
	global_load_dword v1, v[1:2], off offset:3072
	s_waitcnt vmcnt(0)
	v_xor_b32_e32 v4, 0x7fffffff, v1
.LBB83_25:
	s_or_b64 exec, exec, s[28:29]
	v_or_b32_e32 v1, 0xffffff00, v0
	s_mov_b64 s[28:29], 0
	v_mov_b32_e32 v2, 0
	s_movk_i32 s30, 0xeff
.LBB83_26:                              ; =>This Inner Loop Header: Depth=1
	v_add_u32_e32 v1, 0x100, v1
	v_cmp_lt_u32_e32 vcc, s30, v1
	ds_write_b32 v16, v2
	s_or_b64 s[28:29], vcc, s[28:29]
	v_add_u32_e32 v16, 0x400, v16
	s_andn2_b64 exec, exec, s[28:29]
	s_cbranch_execnz .LBB83_26
; %bb.27:
	s_or_b64 exec, exec, s[28:29]
	s_cmp_gt_u32 s35, s34
	s_cselect_b64 s[28:29], -1, 0
	s_cmp_le_u32 s35, s34
	s_waitcnt lgkmcnt(0)
	s_barrier
	s_cbranch_scc1 .LBB83_76
; %bb.28:
	v_and_b32_e32 v1, 3, v0
	v_lshlrev_b32_e32 v1, 2, v1
	s_sub_i32 s33, s35, s34
	v_mov_b32_e32 v2, 1
	s_mov_b32 s36, s33
	v_mov_b32_e32 v16, v1
	s_mov_b32 s37, s34
	s_branch .LBB83_30
.LBB83_29:                              ;   in Loop: Header=BB83_30 Depth=1
	s_or_b64 exec, exec, s[30:31]
	s_add_i32 s37, s37, 8
	s_add_i32 s36, s36, -8
	s_cmp_lt_u32 s37, s35
	v_add_u32_e32 v16, 0x1000, v16
	s_cbranch_scc0 .LBB83_32
.LBB83_30:                              ; =>This Inner Loop Header: Depth=1
	s_and_saveexec_b64 s[30:31], s[22:23]
	s_cbranch_execz .LBB83_29
; %bb.31:                               ;   in Loop: Header=BB83_30 Depth=1
	s_min_u32 s38, s36, 8
	v_lshrrev_b32_e32 v17, s37, v15
	v_bfe_u32 v17, v17, 0, s38
	v_lshl_add_u32 v17, v17, 4, v16
	ds_add_u32 v17, v2
	s_branch .LBB83_29
.LBB83_32:
	v_mov_b32_e32 v2, 1
	s_mov_b32 s30, s33
	v_mov_b32_e32 v15, v1
	s_mov_b32 s31, s34
	s_branch .LBB83_34
.LBB83_33:                              ;   in Loop: Header=BB83_34 Depth=1
	s_or_b64 exec, exec, s[22:23]
	s_add_i32 s31, s31, 8
	s_add_i32 s30, s30, -8
	s_cmp_lt_u32 s31, s35
	v_add_u32_e32 v15, 0x1000, v15
	s_cbranch_scc0 .LBB83_36
.LBB83_34:                              ; =>This Inner Loop Header: Depth=1
	s_and_saveexec_b64 s[22:23], s[20:21]
	s_cbranch_execz .LBB83_33
; %bb.35:                               ;   in Loop: Header=BB83_34 Depth=1
	s_min_u32 s36, s30, 8
	v_lshrrev_b32_e32 v16, s31, v14
	v_bfe_u32 v16, v16, 0, s36
	v_lshl_add_u32 v16, v16, 4, v15
	ds_add_u32 v16, v2
	s_branch .LBB83_33
.LBB83_36:
	;; [unrolled: 23-line block ×11, first 2 shown]
	v_mov_b32_e32 v2, 1
	s_mov_b32 s4, s34
	s_branch .LBB83_74
.LBB83_73:                              ;   in Loop: Header=BB83_74 Depth=1
	s_or_b64 exec, exec, s[2:3]
	s_add_i32 s4, s4, 8
	s_add_i32 s33, s33, -8
	s_cmp_lt_u32 s4, s35
	v_add_u32_e32 v1, 0x1000, v1
	s_cbranch_scc0 .LBB83_76
.LBB83_74:                              ; =>This Inner Loop Header: Depth=1
	s_and_saveexec_b64 s[2:3], s[0:1]
	s_cbranch_execz .LBB83_73
; %bb.75:                               ;   in Loop: Header=BB83_74 Depth=1
	s_min_u32 s5, s33, 8
	v_lshrrev_b32_e32 v5, s4, v4
	v_bfe_u32 v5, v5, 0, s5
	v_lshl_add_u32 v5, v5, 4, v1
	ds_add_u32 v5, v2
	s_branch .LBB83_73
.LBB83_76:
	s_and_b64 vcc, exec, s[28:29]
	s_waitcnt lgkmcnt(0)
	s_barrier
	s_cbranch_vccz .LBB83_81
; %bb.77:
	s_movk_i32 s0, 0x100
	v_cmp_gt_u32_e32 vcc, s0, v0
	v_lshlrev_b32_e32 v4, 4, v0
	v_mov_b32_e32 v2, 0
	v_mov_b32_e32 v1, v0
	s_mov_b32 s4, s34
	s_branch .LBB83_79
.LBB83_78:                              ;   in Loop: Header=BB83_79 Depth=1
	s_or_b64 exec, exec, s[2:3]
	s_add_i32 s4, s4, 8
	v_add_u32_e32 v1, 0x100, v1
	s_cmp_lt_u32 s4, s35
	v_add_u32_e32 v4, 0x1000, v4
	s_cbranch_scc0 .LBB83_81
.LBB83_79:                              ; =>This Inner Loop Header: Depth=1
	s_and_saveexec_b64 s[2:3], vcc
	s_cbranch_execz .LBB83_78
; %bb.80:                               ;   in Loop: Header=BB83_79 Depth=1
	ds_read2_b32 v[5:6], v4 offset1:1
	ds_read2_b32 v[7:8], v4 offset0:2 offset1:3
	v_lshlrev_b64 v[9:10], 3, v[1:2]
	v_mov_b32_e32 v11, s27
	s_waitcnt lgkmcnt(1)
	v_add_u32_e32 v5, v6, v5
	s_waitcnt lgkmcnt(0)
	v_add3_u32 v5, v5, v7, v8
	v_add_co_u32_e64 v7, s[0:1], s26, v9
	v_addc_co_u32_e64 v8, s[0:1], v11, v10, s[0:1]
	v_mov_b32_e32 v6, v2
	global_atomic_add_x2 v[7:8], v[5:6], off
	s_branch .LBB83_78
.LBB83_81:
	s_mov_b64 s[0:1], 0
.LBB83_82:
	s_and_b64 vcc, exec, s[0:1]
	s_cbranch_vccz .LBB83_122
; %bb.83:
	v_mov_b32_e32 v1, s25
	v_add_co_u32_e32 v8, vcc, s24, v3
	v_addc_co_u32_e32 v9, vcc, 0, v1, vcc
	v_add_co_u32_e32 v1, vcc, 0x1000, v8
	v_addc_co_u32_e32 v2, vcc, 0, v9, vcc
	v_add_co_u32_e32 v16, vcc, 0x2000, v8
	global_load_dword v4, v3, s[24:25]
	global_load_dword v5, v3, s[24:25] offset:1024
	global_load_dword v6, v3, s[24:25] offset:2048
	;; [unrolled: 1-line block ×3, first 2 shown]
	v_addc_co_u32_e32 v17, vcc, 0, v9, vcc
	global_load_dword v8, v[1:2], off
	global_load_dword v9, v[1:2], off offset:1024
	global_load_dword v10, v[1:2], off offset:2048
	;; [unrolled: 1-line block ×3, first 2 shown]
	global_load_dword v12, v[16:17], off
	global_load_dword v13, v[16:17], off offset:1024
	global_load_dword v14, v[16:17], off offset:2048
	;; [unrolled: 1-line block ×3, first 2 shown]
	s_cmp_eq_u32 s34, 0
	s_cselect_b64 s[0:1], -1, 0
	s_cmp_eq_u32 s35, 32
	s_cselect_b64 s[2:3], -1, 0
	s_and_b64 s[2:3], s[0:1], s[2:3]
	v_mov_b32_e32 v1, 0
	s_mov_b64 s[0:1], -1
	s_and_b64 vcc, exec, s[2:3]
	s_cbranch_vccnz .LBB83_117
; %bb.84:
	v_or_b32_e32 v2, 0xffffff00, v0
	s_mov_b64 s[0:1], 0
	s_movk_i32 s2, 0xeff
.LBB83_85:                              ; =>This Inner Loop Header: Depth=1
	v_add_u32_e32 v2, 0x100, v2
	v_cmp_lt_u32_e32 vcc, s2, v2
	ds_write_b32 v3, v1
	s_or_b64 s[0:1], vcc, s[0:1]
	v_add_u32_e32 v3, 0x400, v3
	s_andn2_b64 exec, exec, s[0:1]
	s_cbranch_execnz .LBB83_85
; %bb.86:
	s_or_b64 exec, exec, s[0:1]
	s_cmp_gt_u32 s35, s34
	s_cselect_b64 s[0:1], -1, 0
	s_cmp_le_u32 s35, s34
	s_waitcnt vmcnt(0) lgkmcnt(0)
	s_barrier
	s_cbranch_scc1 .LBB83_111
; %bb.87:
	v_and_b32_e32 v1, 3, v0
	v_lshlrev_b32_e32 v1, 2, v1
	s_sub_i32 s2, s35, s34
	v_xor_b32_e32 v2, 0x7fffffff, v4
	v_mov_b32_e32 v3, 1
	s_mov_b32 s3, s2
	v_mov_b32_e32 v16, v1
	s_mov_b32 s4, s34
.LBB83_88:                              ; =>This Inner Loop Header: Depth=1
	s_min_u32 s5, s3, 8
	v_lshrrev_b32_e32 v17, s4, v2
	v_bfe_u32 v17, v17, 0, s5
	v_lshl_add_u32 v17, v17, 4, v16
	ds_add_u32 v17, v3
	s_add_i32 s4, s4, 8
	s_add_i32 s3, s3, -8
	s_cmp_lt_u32 s4, s35
	v_add_u32_e32 v16, 0x1000, v16
	s_cbranch_scc1 .LBB83_88
; %bb.89:
	v_xor_b32_e32 v2, 0x7fffffff, v5
	v_mov_b32_e32 v3, 1
	s_mov_b32 s3, s2
	v_mov_b32_e32 v16, v1
	s_mov_b32 s4, s34
.LBB83_90:                              ; =>This Inner Loop Header: Depth=1
	s_min_u32 s5, s3, 8
	v_lshrrev_b32_e32 v17, s4, v2
	v_bfe_u32 v17, v17, 0, s5
	v_lshl_add_u32 v17, v17, 4, v16
	ds_add_u32 v17, v3
	s_add_i32 s4, s4, 8
	s_add_i32 s3, s3, -8
	s_cmp_lt_u32 s4, s35
	v_add_u32_e32 v16, 0x1000, v16
	s_cbranch_scc1 .LBB83_90
; %bb.91:
	;; [unrolled: 17-line block ×6, first 2 shown]
	v_xor_b32_e32 v2, 0x7fffffff, v10
	v_mov_b32_e32 v3, 1
	s_mov_b32 s3, s2
	v_mov_b32_e32 v16, v1
	s_mov_b32 s4, s34
.LBB83_100:                             ; =>This Inner Loop Header: Depth=1
	s_min_u32 s5, s3, 8
	v_lshrrev_b32_e32 v17, s4, v2
	v_bfe_u32 v17, v17, 0, s5
	v_lshl_add_u32 v17, v17, 4, v16
	ds_add_u32 v17, v3
	s_add_i32 s4, s4, 8
	s_add_i32 s3, s3, -8
	s_cmp_lt_u32 s4, s35
	v_add_u32_e32 v16, 0x1000, v16
	s_cbranch_scc1 .LBB83_100
; %bb.101:
	v_xor_b32_e32 v2, 0x7fffffff, v11
	v_mov_b32_e32 v3, 1
	s_mov_b32 s3, s2
	v_mov_b32_e32 v16, v1
	s_mov_b32 s4, s34
.LBB83_102:                             ; =>This Inner Loop Header: Depth=1
	s_min_u32 s5, s3, 8
	v_lshrrev_b32_e32 v17, s4, v2
	v_bfe_u32 v17, v17, 0, s5
	v_lshl_add_u32 v17, v17, 4, v16
	ds_add_u32 v17, v3
	s_add_i32 s4, s4, 8
	s_add_i32 s3, s3, -8
	s_cmp_lt_u32 s4, s35
	v_add_u32_e32 v16, 0x1000, v16
	s_cbranch_scc1 .LBB83_102
; %bb.103:
	v_xor_b32_e32 v2, 0x7fffffff, v12
	v_mov_b32_e32 v3, 1
	s_mov_b32 s3, s2
	v_mov_b32_e32 v16, v1
	s_mov_b32 s4, s34
.LBB83_104:                             ; =>This Inner Loop Header: Depth=1
	s_min_u32 s5, s3, 8
	v_lshrrev_b32_e32 v17, s4, v2
	v_bfe_u32 v17, v17, 0, s5
	v_lshl_add_u32 v17, v17, 4, v16
	ds_add_u32 v17, v3
	s_add_i32 s4, s4, 8
	s_add_i32 s3, s3, -8
	s_cmp_lt_u32 s4, s35
	v_add_u32_e32 v16, 0x1000, v16
	s_cbranch_scc1 .LBB83_104
; %bb.105:
	v_xor_b32_e32 v2, 0x7fffffff, v13
	v_mov_b32_e32 v3, 1
	s_mov_b32 s3, s2
	v_mov_b32_e32 v16, v1
	s_mov_b32 s4, s34
.LBB83_106:                             ; =>This Inner Loop Header: Depth=1
	s_min_u32 s5, s3, 8
	v_lshrrev_b32_e32 v17, s4, v2
	v_bfe_u32 v17, v17, 0, s5
	v_lshl_add_u32 v17, v17, 4, v16
	ds_add_u32 v17, v3
	s_add_i32 s4, s4, 8
	s_add_i32 s3, s3, -8
	s_cmp_lt_u32 s4, s35
	v_add_u32_e32 v16, 0x1000, v16
	s_cbranch_scc1 .LBB83_106
; %bb.107:
	v_xor_b32_e32 v2, 0x7fffffff, v14
	v_mov_b32_e32 v3, 1
	s_mov_b32 s3, s2
	v_mov_b32_e32 v16, v1
	s_mov_b32 s4, s34
.LBB83_108:                             ; =>This Inner Loop Header: Depth=1
	s_min_u32 s5, s3, 8
	v_lshrrev_b32_e32 v17, s4, v2
	v_bfe_u32 v17, v17, 0, s5
	v_lshl_add_u32 v17, v17, 4, v16
	ds_add_u32 v17, v3
	s_add_i32 s4, s4, 8
	s_add_i32 s3, s3, -8
	s_cmp_lt_u32 s4, s35
	v_add_u32_e32 v16, 0x1000, v16
	s_cbranch_scc1 .LBB83_108
; %bb.109:
	v_xor_b32_e32 v2, 0x7fffffff, v15
	v_mov_b32_e32 v3, 1
	s_mov_b32 s3, s34
.LBB83_110:                             ; =>This Inner Loop Header: Depth=1
	s_min_u32 s4, s2, 8
	v_lshrrev_b32_e32 v16, s3, v2
	v_bfe_u32 v16, v16, 0, s4
	v_lshl_add_u32 v16, v16, 4, v1
	ds_add_u32 v16, v3
	s_add_i32 s3, s3, 8
	s_add_i32 s2, s2, -8
	s_cmp_lt_u32 s3, s35
	v_add_u32_e32 v1, 0x1000, v1
	s_cbranch_scc1 .LBB83_110
.LBB83_111:
	s_and_b64 vcc, exec, s[0:1]
	s_waitcnt lgkmcnt(0)
	s_barrier
	s_cbranch_vccz .LBB83_116
; %bb.112:
	s_movk_i32 s0, 0x100
	v_cmp_gt_u32_e32 vcc, s0, v0
	v_lshlrev_b32_e32 v3, 4, v0
	v_mov_b32_e32 v2, 0
	v_mov_b32_e32 v1, v0
	s_branch .LBB83_114
.LBB83_113:                             ;   in Loop: Header=BB83_114 Depth=1
	s_or_b64 exec, exec, s[2:3]
	s_add_i32 s34, s34, 8
	v_add_u32_e32 v1, 0x100, v1
	s_cmp_ge_u32 s34, s35
	v_add_u32_e32 v3, 0x1000, v3
	s_cbranch_scc1 .LBB83_116
.LBB83_114:                             ; =>This Inner Loop Header: Depth=1
	s_and_saveexec_b64 s[2:3], vcc
	s_cbranch_execz .LBB83_113
; %bb.115:                              ;   in Loop: Header=BB83_114 Depth=1
	ds_read2_b32 v[16:17], v3 offset1:1
	ds_read2_b32 v[18:19], v3 offset0:2 offset1:3
	v_lshlrev_b64 v[20:21], 3, v[1:2]
	v_mov_b32_e32 v22, s27
	s_waitcnt lgkmcnt(1)
	v_add_u32_e32 v16, v17, v16
	s_waitcnt lgkmcnt(0)
	v_add3_u32 v16, v16, v18, v19
	v_add_co_u32_e64 v18, s[0:1], s26, v20
	v_addc_co_u32_e64 v19, s[0:1], v22, v21, s[0:1]
	v_mov_b32_e32 v17, v2
	global_atomic_add_x2 v[18:19], v[16:17], off
	s_branch .LBB83_113
.LBB83_116:
	s_mov_b64 s[0:1], 0
.LBB83_117:
	s_and_b64 vcc, exec, s[0:1]
	s_cbranch_vccz .LBB83_122
; %bb.118:
	v_or_b32_e32 v1, 0xffffff00, v0
	v_lshlrev_b32_e32 v2, 2, v0
	s_mov_b64 s[0:1], 0
	v_mov_b32_e32 v3, 0
	s_movk_i32 s2, 0xeff
.LBB83_119:                             ; =>This Inner Loop Header: Depth=1
	v_add_u32_e32 v1, 0x100, v1
	v_cmp_lt_u32_e32 vcc, s2, v1
	ds_write_b32 v2, v3
	s_or_b64 s[0:1], vcc, s[0:1]
	v_add_u32_e32 v2, 0x400, v2
	s_andn2_b64 exec, exec, s[0:1]
	s_cbranch_execnz .LBB83_119
; %bb.120:
	s_or_b64 exec, exec, s[0:1]
	s_waitcnt vmcnt(11)
	v_xor_b32_e32 v1, 0x7fffffff, v4
	s_waitcnt vmcnt(8)
	v_xor_b32_e32 v4, 0x7fffffff, v7
	s_waitcnt vmcnt(5)
	v_xor_b32_e32 v7, 0x7fffffff, v10
	s_waitcnt vmcnt(2)
	v_xor_b32_e32 v10, 0x7fffffff, v13
	v_and_b32_e32 v13, 3, v0
	v_xor_b32_e32 v2, 0x7fffffff, v5
	v_xor_b32_e32 v5, 0x7fffffff, v8
	;; [unrolled: 1-line block ×3, first 2 shown]
	s_waitcnt vmcnt(1)
	v_xor_b32_e32 v11, 0x7fffffff, v14
	v_lshlrev_b32_e32 v14, 4, v1
	v_lshlrev_b32_e32 v13, 2, v13
	s_movk_i32 s0, 0xff0
	v_xor_b32_e32 v3, 0x7fffffff, v6
	v_xor_b32_e32 v6, 0x7fffffff, v9
	;; [unrolled: 1-line block ×3, first 2 shown]
	s_waitcnt vmcnt(0)
	v_xor_b32_e32 v12, 0x7fffffff, v15
	v_and_or_b32 v14, v14, s0, v13
	v_mov_b32_e32 v15, 1
	s_waitcnt lgkmcnt(0)
	s_barrier
	ds_add_u32 v14, v15
	v_bfe_u32 v14, v1, 8, 8
	v_lshl_or_b32 v14, v14, 4, v13
	ds_add_u32 v14, v15 offset:4096
	v_bfe_u32 v14, v1, 16, 8
	v_lshl_or_b32 v14, v14, 4, v13
	v_lshrrev_b32_e32 v1, 24, v1
	ds_add_u32 v14, v15 offset:8192
	v_lshl_or_b32 v1, v1, 4, v13
	ds_add_u32 v1, v15 offset:12288
	v_lshlrev_b32_e32 v1, 4, v2
	v_and_or_b32 v1, v1, s0, v13
	ds_add_u32 v1, v15
	v_bfe_u32 v1, v2, 8, 8
	v_lshl_or_b32 v1, v1, 4, v13
	ds_add_u32 v1, v15 offset:4096
	v_bfe_u32 v1, v2, 16, 8
	v_lshl_or_b32 v1, v1, 4, v13
	ds_add_u32 v1, v15 offset:8192
	v_lshrrev_b32_e32 v1, 24, v2
	v_lshl_or_b32 v1, v1, 4, v13
	ds_add_u32 v1, v15 offset:12288
	v_lshlrev_b32_e32 v1, 4, v3
	v_and_or_b32 v1, v1, s0, v13
	ds_add_u32 v1, v15
	v_bfe_u32 v1, v3, 8, 8
	v_lshl_or_b32 v1, v1, 4, v13
	ds_add_u32 v1, v15 offset:4096
	v_bfe_u32 v1, v3, 16, 8
	v_lshl_or_b32 v1, v1, 4, v13
	ds_add_u32 v1, v15 offset:8192
	v_lshrrev_b32_e32 v1, 24, v3
	;; [unrolled: 12-line block ×11, first 2 shown]
	v_lshl_or_b32 v1, v1, 4, v13
	ds_add_u32 v1, v15 offset:12288
	s_movk_i32 s0, 0x100
	v_cmp_gt_u32_e32 vcc, s0, v0
	s_waitcnt lgkmcnt(0)
	s_barrier
	s_and_saveexec_b64 s[0:1], vcc
	s_cbranch_execz .LBB83_122
; %bb.121:
	v_lshlrev_b32_e32 v6, 4, v0
	ds_read2_b32 v[1:2], v6 offset1:1
	ds_read2_b32 v[3:4], v6 offset0:2 offset1:3
	v_lshlrev_b32_e32 v7, 3, v0
	v_mov_b32_e32 v5, 0
	v_or_b32_e32 v0, 0x1000, v6
	s_waitcnt lgkmcnt(1)
	v_add_u32_e32 v1, v2, v1
	s_waitcnt lgkmcnt(0)
	v_add3_u32 v4, v1, v3, v4
	global_atomic_add_x2 v7, v[4:5], s[26:27]
	v_or_b32_e32 v2, 0x1008, v6
	ds_read2_b32 v[0:1], v0 offset1:1
	ds_read2_b32 v[2:3], v2 offset1:1
	v_or_b32_e32 v9, 0x2000, v6
	v_mov_b32_e32 v8, s27
	s_movk_i32 s0, 0x1000
	s_waitcnt lgkmcnt(1)
	v_add_u32_e32 v0, v1, v0
	s_waitcnt lgkmcnt(0)
	v_add3_u32 v4, v0, v2, v3
	global_atomic_add_x2 v7, v[4:5], s[26:27] offset:2048
	v_or_b32_e32 v2, 0x2008, v6
	ds_read2_b32 v[0:1], v9 offset1:1
	ds_read2_b32 v[2:3], v2 offset1:1
	v_add_co_u32_e32 v7, vcc, s26, v7
	v_addc_co_u32_e32 v8, vcc, 0, v8, vcc
	s_waitcnt lgkmcnt(1)
	v_add_u32_e32 v0, v1, v0
	s_waitcnt lgkmcnt(0)
	v_add3_u32 v4, v0, v2, v3
	v_add_co_u32_e32 v0, vcc, s0, v7
	v_addc_co_u32_e32 v1, vcc, 0, v8, vcc
	global_atomic_add_x2 v[0:1], v[4:5], off
	v_or_b32_e32 v2, 0x3000, v6
	v_or_b32_e32 v4, 0x3008, v6
	ds_read2_b32 v[2:3], v2 offset1:1
	ds_read2_b32 v[6:7], v4 offset1:1
	s_waitcnt lgkmcnt(1)
	v_add_u32_e32 v2, v3, v2
	s_waitcnt lgkmcnt(0)
	v_add3_u32 v4, v2, v6, v7
	global_atomic_add_x2 v[0:1], v[4:5], off offset:2048
.LBB83_122:
	s_endpgm
	.section	.rodata,"a",@progbits
	.p2align	6, 0x0
	.amdhsa_kernel _ZN7rocprim17ROCPRIM_304000_NS6detail26onesweep_histograms_kernelINS1_34wrapped_radix_sort_onesweep_configINS0_14default_configEiN2at4cuda3cub6detail10OpaqueTypeILi8EEEEELb1EPKimNS0_19identity_decomposerEEEvT1_PT2_SG_SG_T3_jj
		.amdhsa_group_segment_fixed_size 16384
		.amdhsa_private_segment_fixed_size 0
		.amdhsa_kernarg_size 44
		.amdhsa_user_sgpr_count 6
		.amdhsa_user_sgpr_private_segment_buffer 1
		.amdhsa_user_sgpr_dispatch_ptr 0
		.amdhsa_user_sgpr_queue_ptr 0
		.amdhsa_user_sgpr_kernarg_segment_ptr 1
		.amdhsa_user_sgpr_dispatch_id 0
		.amdhsa_user_sgpr_flat_scratch_init 0
		.amdhsa_user_sgpr_private_segment_size 0
		.amdhsa_uses_dynamic_stack 0
		.amdhsa_system_sgpr_private_segment_wavefront_offset 0
		.amdhsa_system_sgpr_workgroup_id_x 1
		.amdhsa_system_sgpr_workgroup_id_y 0
		.amdhsa_system_sgpr_workgroup_id_z 0
		.amdhsa_system_sgpr_workgroup_info 0
		.amdhsa_system_vgpr_workitem_id 0
		.amdhsa_next_free_vgpr 49
		.amdhsa_next_free_sgpr 98
		.amdhsa_reserve_vcc 1
		.amdhsa_reserve_flat_scratch 0
		.amdhsa_float_round_mode_32 0
		.amdhsa_float_round_mode_16_64 0
		.amdhsa_float_denorm_mode_32 3
		.amdhsa_float_denorm_mode_16_64 3
		.amdhsa_dx10_clamp 1
		.amdhsa_ieee_mode 1
		.amdhsa_fp16_overflow 0
		.amdhsa_exception_fp_ieee_invalid_op 0
		.amdhsa_exception_fp_denorm_src 0
		.amdhsa_exception_fp_ieee_div_zero 0
		.amdhsa_exception_fp_ieee_overflow 0
		.amdhsa_exception_fp_ieee_underflow 0
		.amdhsa_exception_fp_ieee_inexact 0
		.amdhsa_exception_int_div_zero 0
	.end_amdhsa_kernel
	.section	.text._ZN7rocprim17ROCPRIM_304000_NS6detail26onesweep_histograms_kernelINS1_34wrapped_radix_sort_onesweep_configINS0_14default_configEiN2at4cuda3cub6detail10OpaqueTypeILi8EEEEELb1EPKimNS0_19identity_decomposerEEEvT1_PT2_SG_SG_T3_jj,"axG",@progbits,_ZN7rocprim17ROCPRIM_304000_NS6detail26onesweep_histograms_kernelINS1_34wrapped_radix_sort_onesweep_configINS0_14default_configEiN2at4cuda3cub6detail10OpaqueTypeILi8EEEEELb1EPKimNS0_19identity_decomposerEEEvT1_PT2_SG_SG_T3_jj,comdat
.Lfunc_end83:
	.size	_ZN7rocprim17ROCPRIM_304000_NS6detail26onesweep_histograms_kernelINS1_34wrapped_radix_sort_onesweep_configINS0_14default_configEiN2at4cuda3cub6detail10OpaqueTypeILi8EEEEELb1EPKimNS0_19identity_decomposerEEEvT1_PT2_SG_SG_T3_jj, .Lfunc_end83-_ZN7rocprim17ROCPRIM_304000_NS6detail26onesweep_histograms_kernelINS1_34wrapped_radix_sort_onesweep_configINS0_14default_configEiN2at4cuda3cub6detail10OpaqueTypeILi8EEEEELb1EPKimNS0_19identity_decomposerEEEvT1_PT2_SG_SG_T3_jj
                                        ; -- End function
	.set _ZN7rocprim17ROCPRIM_304000_NS6detail26onesweep_histograms_kernelINS1_34wrapped_radix_sort_onesweep_configINS0_14default_configEiN2at4cuda3cub6detail10OpaqueTypeILi8EEEEELb1EPKimNS0_19identity_decomposerEEEvT1_PT2_SG_SG_T3_jj.num_vgpr, 23
	.set _ZN7rocprim17ROCPRIM_304000_NS6detail26onesweep_histograms_kernelINS1_34wrapped_radix_sort_onesweep_configINS0_14default_configEiN2at4cuda3cub6detail10OpaqueTypeILi8EEEEELb1EPKimNS0_19identity_decomposerEEEvT1_PT2_SG_SG_T3_jj.num_agpr, 0
	.set _ZN7rocprim17ROCPRIM_304000_NS6detail26onesweep_histograms_kernelINS1_34wrapped_radix_sort_onesweep_configINS0_14default_configEiN2at4cuda3cub6detail10OpaqueTypeILi8EEEEELb1EPKimNS0_19identity_decomposerEEEvT1_PT2_SG_SG_T3_jj.numbered_sgpr, 39
	.set _ZN7rocprim17ROCPRIM_304000_NS6detail26onesweep_histograms_kernelINS1_34wrapped_radix_sort_onesweep_configINS0_14default_configEiN2at4cuda3cub6detail10OpaqueTypeILi8EEEEELb1EPKimNS0_19identity_decomposerEEEvT1_PT2_SG_SG_T3_jj.num_named_barrier, 0
	.set _ZN7rocprim17ROCPRIM_304000_NS6detail26onesweep_histograms_kernelINS1_34wrapped_radix_sort_onesweep_configINS0_14default_configEiN2at4cuda3cub6detail10OpaqueTypeILi8EEEEELb1EPKimNS0_19identity_decomposerEEEvT1_PT2_SG_SG_T3_jj.private_seg_size, 0
	.set _ZN7rocprim17ROCPRIM_304000_NS6detail26onesweep_histograms_kernelINS1_34wrapped_radix_sort_onesweep_configINS0_14default_configEiN2at4cuda3cub6detail10OpaqueTypeILi8EEEEELb1EPKimNS0_19identity_decomposerEEEvT1_PT2_SG_SG_T3_jj.uses_vcc, 1
	.set _ZN7rocprim17ROCPRIM_304000_NS6detail26onesweep_histograms_kernelINS1_34wrapped_radix_sort_onesweep_configINS0_14default_configEiN2at4cuda3cub6detail10OpaqueTypeILi8EEEEELb1EPKimNS0_19identity_decomposerEEEvT1_PT2_SG_SG_T3_jj.uses_flat_scratch, 0
	.set _ZN7rocprim17ROCPRIM_304000_NS6detail26onesweep_histograms_kernelINS1_34wrapped_radix_sort_onesweep_configINS0_14default_configEiN2at4cuda3cub6detail10OpaqueTypeILi8EEEEELb1EPKimNS0_19identity_decomposerEEEvT1_PT2_SG_SG_T3_jj.has_dyn_sized_stack, 0
	.set _ZN7rocprim17ROCPRIM_304000_NS6detail26onesweep_histograms_kernelINS1_34wrapped_radix_sort_onesweep_configINS0_14default_configEiN2at4cuda3cub6detail10OpaqueTypeILi8EEEEELb1EPKimNS0_19identity_decomposerEEEvT1_PT2_SG_SG_T3_jj.has_recursion, 0
	.set _ZN7rocprim17ROCPRIM_304000_NS6detail26onesweep_histograms_kernelINS1_34wrapped_radix_sort_onesweep_configINS0_14default_configEiN2at4cuda3cub6detail10OpaqueTypeILi8EEEEELb1EPKimNS0_19identity_decomposerEEEvT1_PT2_SG_SG_T3_jj.has_indirect_call, 0
	.section	.AMDGPU.csdata,"",@progbits
; Kernel info:
; codeLenInByte = 5072
; TotalNumSgprs: 43
; NumVgprs: 23
; ScratchSize: 0
; MemoryBound: 0
; FloatMode: 240
; IeeeMode: 1
; LDSByteSize: 16384 bytes/workgroup (compile time only)
; SGPRBlocks: 12
; VGPRBlocks: 12
; NumSGPRsForWavesPerEU: 102
; NumVGPRsForWavesPerEU: 49
; Occupancy: 4
; WaveLimiterHint : 1
; COMPUTE_PGM_RSRC2:SCRATCH_EN: 0
; COMPUTE_PGM_RSRC2:USER_SGPR: 6
; COMPUTE_PGM_RSRC2:TRAP_HANDLER: 0
; COMPUTE_PGM_RSRC2:TGID_X_EN: 1
; COMPUTE_PGM_RSRC2:TGID_Y_EN: 0
; COMPUTE_PGM_RSRC2:TGID_Z_EN: 0
; COMPUTE_PGM_RSRC2:TIDIG_COMP_CNT: 0
	.section	.text._ZN7rocprim17ROCPRIM_304000_NS6detail31onesweep_scan_histograms_kernelINS1_34wrapped_radix_sort_onesweep_configINS0_14default_configEiN2at4cuda3cub6detail10OpaqueTypeILi8EEEEEmEEvPT0_,"axG",@progbits,_ZN7rocprim17ROCPRIM_304000_NS6detail31onesweep_scan_histograms_kernelINS1_34wrapped_radix_sort_onesweep_configINS0_14default_configEiN2at4cuda3cub6detail10OpaqueTypeILi8EEEEEmEEvPT0_,comdat
	.protected	_ZN7rocprim17ROCPRIM_304000_NS6detail31onesweep_scan_histograms_kernelINS1_34wrapped_radix_sort_onesweep_configINS0_14default_configEiN2at4cuda3cub6detail10OpaqueTypeILi8EEEEEmEEvPT0_ ; -- Begin function _ZN7rocprim17ROCPRIM_304000_NS6detail31onesweep_scan_histograms_kernelINS1_34wrapped_radix_sort_onesweep_configINS0_14default_configEiN2at4cuda3cub6detail10OpaqueTypeILi8EEEEEmEEvPT0_
	.globl	_ZN7rocprim17ROCPRIM_304000_NS6detail31onesweep_scan_histograms_kernelINS1_34wrapped_radix_sort_onesweep_configINS0_14default_configEiN2at4cuda3cub6detail10OpaqueTypeILi8EEEEEmEEvPT0_
	.p2align	8
	.type	_ZN7rocprim17ROCPRIM_304000_NS6detail31onesweep_scan_histograms_kernelINS1_34wrapped_radix_sort_onesweep_configINS0_14default_configEiN2at4cuda3cub6detail10OpaqueTypeILi8EEEEEmEEvPT0_,@function
_ZN7rocprim17ROCPRIM_304000_NS6detail31onesweep_scan_histograms_kernelINS1_34wrapped_radix_sort_onesweep_configINS0_14default_configEiN2at4cuda3cub6detail10OpaqueTypeILi8EEEEEmEEvPT0_: ; @_ZN7rocprim17ROCPRIM_304000_NS6detail31onesweep_scan_histograms_kernelINS1_34wrapped_radix_sort_onesweep_configINS0_14default_configEiN2at4cuda3cub6detail10OpaqueTypeILi8EEEEEmEEvPT0_
; %bb.0:
	s_load_dwordx2 s[0:1], s[4:5], 0x0
	s_lshl_b32 s2, s6, 8
	s_mov_b32 s3, 0
	s_lshl_b64 s[2:3], s[2:3], 3
	v_lshlrev_b32_e32 v5, 3, v0
	s_waitcnt lgkmcnt(0)
	s_add_u32 s2, s0, s2
	s_movk_i32 s0, 0x100
	s_addc_u32 s3, s1, s3
	v_cmp_gt_u32_e32 vcc, s0, v0
                                        ; implicit-def: $vgpr1_vgpr2
	s_and_saveexec_b64 s[0:1], vcc
	s_cbranch_execz .LBB84_2
; %bb.1:
	global_load_dwordx2 v[1:2], v5, s[2:3]
.LBB84_2:
	s_or_b64 exec, exec, s[0:1]
	v_mbcnt_lo_u32_b32 v3, -1, 0
	v_mbcnt_hi_u32_b32 v6, -1, v3
	v_and_b32_e32 v4, 15, v6
	s_waitcnt vmcnt(0)
	v_mov_b32_dpp v8, v1 row_shr:1 row_mask:0xf bank_mask:0xf
	v_mov_b32_dpp v7, v2 row_shr:1 row_mask:0xf bank_mask:0xf
	v_cmp_ne_u32_e64 s[0:1], 0, v4
	v_mov_b32_e32 v3, v1
	s_and_saveexec_b64 s[4:5], s[0:1]
; %bb.3:
	v_add_co_u32_e64 v3, s[0:1], v1, v8
	v_addc_co_u32_e64 v2, s[0:1], 0, v2, s[0:1]
	v_add_co_u32_e64 v1, s[0:1], 0, v3
	v_addc_co_u32_e64 v2, s[0:1], v7, v2, s[0:1]
; %bb.4:
	s_or_b64 exec, exec, s[4:5]
	v_mov_b32_dpp v8, v3 row_shr:2 row_mask:0xf bank_mask:0xf
	v_mov_b32_dpp v7, v2 row_shr:2 row_mask:0xf bank_mask:0xf
	v_cmp_lt_u32_e64 s[0:1], 1, v4
	s_and_saveexec_b64 s[4:5], s[0:1]
; %bb.5:
	v_add_co_u32_e64 v3, s[0:1], v1, v8
	v_addc_co_u32_e64 v2, s[0:1], 0, v2, s[0:1]
	v_add_co_u32_e64 v1, s[0:1], 0, v3
	v_addc_co_u32_e64 v2, s[0:1], v7, v2, s[0:1]
; %bb.6:
	s_or_b64 exec, exec, s[4:5]
	v_mov_b32_dpp v8, v3 row_shr:4 row_mask:0xf bank_mask:0xf
	v_mov_b32_dpp v7, v2 row_shr:4 row_mask:0xf bank_mask:0xf
	v_cmp_lt_u32_e64 s[0:1], 3, v4
	;; [unrolled: 11-line block ×3, first 2 shown]
	s_and_saveexec_b64 s[4:5], s[0:1]
; %bb.9:
	v_add_co_u32_e64 v3, s[0:1], v1, v8
	v_addc_co_u32_e64 v2, s[0:1], 0, v2, s[0:1]
	v_add_co_u32_e64 v1, s[0:1], 0, v3
	v_addc_co_u32_e64 v2, s[0:1], v7, v2, s[0:1]
; %bb.10:
	s_or_b64 exec, exec, s[4:5]
	v_and_b32_e32 v8, 16, v6
	v_mov_b32_dpp v7, v3 row_bcast:15 row_mask:0xf bank_mask:0xf
	v_mov_b32_dpp v4, v2 row_bcast:15 row_mask:0xf bank_mask:0xf
	v_cmp_ne_u32_e64 s[0:1], 0, v8
	s_and_saveexec_b64 s[4:5], s[0:1]
; %bb.11:
	v_add_co_u32_e64 v3, s[0:1], v1, v7
	v_addc_co_u32_e64 v2, s[0:1], 0, v2, s[0:1]
	v_add_co_u32_e64 v1, s[0:1], 0, v3
	v_addc_co_u32_e64 v2, s[0:1], v4, v2, s[0:1]
; %bb.12:
	s_or_b64 exec, exec, s[4:5]
	v_mov_b32_dpp v3, v3 row_bcast:31 row_mask:0xf bank_mask:0xf
	v_add_co_u32_e64 v3, s[0:1], v1, v3
	v_addc_co_u32_e64 v7, s[0:1], 0, v2, s[0:1]
	v_mov_b32_dpp v4, v2 row_bcast:31 row_mask:0xf bank_mask:0xf
	v_add_co_u32_e64 v3, s[0:1], 0, v3
	v_addc_co_u32_e64 v4, s[0:1], v7, v4, s[0:1]
	v_cmp_lt_u32_e64 s[0:1], 31, v6
	v_cndmask_b32_e64 v1, v1, v3, s[0:1]
	v_or_b32_e32 v3, 63, v0
	v_cndmask_b32_e64 v2, v2, v4, s[0:1]
	v_lshrrev_b32_e32 v7, 6, v0
	v_cmp_eq_u32_e64 s[0:1], v0, v3
	s_and_saveexec_b64 s[4:5], s[0:1]
; %bb.13:
	v_lshlrev_b32_e32 v3, 3, v7
	ds_write_b64 v3, v[1:2]
; %bb.14:
	s_or_b64 exec, exec, s[4:5]
	v_cmp_gt_u32_e64 s[0:1], 4, v0
	s_waitcnt lgkmcnt(0)
	s_barrier
	s_and_saveexec_b64 s[4:5], s[0:1]
	s_cbranch_execz .LBB84_18
; %bb.15:
	ds_read_b64 v[3:4], v5
	v_and_b32_e32 v8, 3, v6
	v_cmp_ne_u32_e64 s[0:1], 0, v8
	s_waitcnt lgkmcnt(0)
	v_mov_b32_dpp v11, v3 row_shr:1 row_mask:0xf bank_mask:0xf
	v_mov_b32_dpp v10, v4 row_shr:1 row_mask:0xf bank_mask:0xf
	v_mov_b32_e32 v9, v3
	s_and_saveexec_b64 s[6:7], s[0:1]
; %bb.16:
	v_add_co_u32_e64 v9, s[0:1], v3, v11
	v_addc_co_u32_e64 v4, s[0:1], 0, v4, s[0:1]
	v_add_co_u32_e64 v3, s[0:1], 0, v9
	v_addc_co_u32_e64 v4, s[0:1], v10, v4, s[0:1]
; %bb.17:
	s_or_b64 exec, exec, s[6:7]
	v_mov_b32_dpp v9, v9 row_shr:2 row_mask:0xf bank_mask:0xf
	v_cmp_lt_u32_e64 s[0:1], 1, v8
	v_mov_b32_dpp v10, v4 row_shr:2 row_mask:0xf bank_mask:0xf
	v_cndmask_b32_e64 v9, 0, v9, s[0:1]
	v_cndmask_b32_e64 v8, 0, v10, s[0:1]
	v_add_co_u32_e64 v3, s[0:1], v9, v3
	v_addc_co_u32_e64 v4, s[0:1], v8, v4, s[0:1]
	ds_write_b64 v5, v[3:4]
.LBB84_18:
	s_or_b64 exec, exec, s[4:5]
	v_mov_b32_e32 v3, 0
	v_mov_b32_e32 v4, 0
	v_cmp_lt_u32_e64 s[0:1], 63, v0
	s_waitcnt lgkmcnt(0)
	s_barrier
	s_and_saveexec_b64 s[4:5], s[0:1]
; %bb.19:
	v_lshl_add_u32 v0, v7, 3, -8
	ds_read_b64 v[3:4], v0
; %bb.20:
	s_or_b64 exec, exec, s[4:5]
	s_waitcnt lgkmcnt(0)
	v_add_co_u32_e64 v0, s[0:1], v3, v1
	v_addc_co_u32_e64 v1, s[0:1], v4, v2, s[0:1]
	v_add_u32_e32 v2, -1, v6
	v_and_b32_e32 v7, 64, v6
	v_cmp_lt_i32_e64 s[0:1], v2, v7
	v_cndmask_b32_e64 v2, v2, v6, s[0:1]
	v_lshlrev_b32_e32 v2, 2, v2
	ds_bpermute_b32 v0, v2, v0
	ds_bpermute_b32 v1, v2, v1
	s_and_saveexec_b64 s[0:1], vcc
	s_cbranch_execz .LBB84_22
; %bb.21:
	v_cmp_eq_u32_e32 vcc, 0, v6
	s_waitcnt lgkmcnt(0)
	v_cndmask_b32_e32 v1, v1, v4, vcc
	v_cndmask_b32_e32 v0, v0, v3, vcc
	global_store_dwordx2 v5, v[0:1], s[2:3]
.LBB84_22:
	s_endpgm
	.section	.rodata,"a",@progbits
	.p2align	6, 0x0
	.amdhsa_kernel _ZN7rocprim17ROCPRIM_304000_NS6detail31onesweep_scan_histograms_kernelINS1_34wrapped_radix_sort_onesweep_configINS0_14default_configEiN2at4cuda3cub6detail10OpaqueTypeILi8EEEEEmEEvPT0_
		.amdhsa_group_segment_fixed_size 32
		.amdhsa_private_segment_fixed_size 0
		.amdhsa_kernarg_size 8
		.amdhsa_user_sgpr_count 6
		.amdhsa_user_sgpr_private_segment_buffer 1
		.amdhsa_user_sgpr_dispatch_ptr 0
		.amdhsa_user_sgpr_queue_ptr 0
		.amdhsa_user_sgpr_kernarg_segment_ptr 1
		.amdhsa_user_sgpr_dispatch_id 0
		.amdhsa_user_sgpr_flat_scratch_init 0
		.amdhsa_user_sgpr_private_segment_size 0
		.amdhsa_uses_dynamic_stack 0
		.amdhsa_system_sgpr_private_segment_wavefront_offset 0
		.amdhsa_system_sgpr_workgroup_id_x 1
		.amdhsa_system_sgpr_workgroup_id_y 0
		.amdhsa_system_sgpr_workgroup_id_z 0
		.amdhsa_system_sgpr_workgroup_info 0
		.amdhsa_system_vgpr_workitem_id 0
		.amdhsa_next_free_vgpr 12
		.amdhsa_next_free_sgpr 8
		.amdhsa_reserve_vcc 1
		.amdhsa_reserve_flat_scratch 0
		.amdhsa_float_round_mode_32 0
		.amdhsa_float_round_mode_16_64 0
		.amdhsa_float_denorm_mode_32 3
		.amdhsa_float_denorm_mode_16_64 3
		.amdhsa_dx10_clamp 1
		.amdhsa_ieee_mode 1
		.amdhsa_fp16_overflow 0
		.amdhsa_exception_fp_ieee_invalid_op 0
		.amdhsa_exception_fp_denorm_src 0
		.amdhsa_exception_fp_ieee_div_zero 0
		.amdhsa_exception_fp_ieee_overflow 0
		.amdhsa_exception_fp_ieee_underflow 0
		.amdhsa_exception_fp_ieee_inexact 0
		.amdhsa_exception_int_div_zero 0
	.end_amdhsa_kernel
	.section	.text._ZN7rocprim17ROCPRIM_304000_NS6detail31onesweep_scan_histograms_kernelINS1_34wrapped_radix_sort_onesweep_configINS0_14default_configEiN2at4cuda3cub6detail10OpaqueTypeILi8EEEEEmEEvPT0_,"axG",@progbits,_ZN7rocprim17ROCPRIM_304000_NS6detail31onesweep_scan_histograms_kernelINS1_34wrapped_radix_sort_onesweep_configINS0_14default_configEiN2at4cuda3cub6detail10OpaqueTypeILi8EEEEEmEEvPT0_,comdat
.Lfunc_end84:
	.size	_ZN7rocprim17ROCPRIM_304000_NS6detail31onesweep_scan_histograms_kernelINS1_34wrapped_radix_sort_onesweep_configINS0_14default_configEiN2at4cuda3cub6detail10OpaqueTypeILi8EEEEEmEEvPT0_, .Lfunc_end84-_ZN7rocprim17ROCPRIM_304000_NS6detail31onesweep_scan_histograms_kernelINS1_34wrapped_radix_sort_onesweep_configINS0_14default_configEiN2at4cuda3cub6detail10OpaqueTypeILi8EEEEEmEEvPT0_
                                        ; -- End function
	.set _ZN7rocprim17ROCPRIM_304000_NS6detail31onesweep_scan_histograms_kernelINS1_34wrapped_radix_sort_onesweep_configINS0_14default_configEiN2at4cuda3cub6detail10OpaqueTypeILi8EEEEEmEEvPT0_.num_vgpr, 12
	.set _ZN7rocprim17ROCPRIM_304000_NS6detail31onesweep_scan_histograms_kernelINS1_34wrapped_radix_sort_onesweep_configINS0_14default_configEiN2at4cuda3cub6detail10OpaqueTypeILi8EEEEEmEEvPT0_.num_agpr, 0
	.set _ZN7rocprim17ROCPRIM_304000_NS6detail31onesweep_scan_histograms_kernelINS1_34wrapped_radix_sort_onesweep_configINS0_14default_configEiN2at4cuda3cub6detail10OpaqueTypeILi8EEEEEmEEvPT0_.numbered_sgpr, 8
	.set _ZN7rocprim17ROCPRIM_304000_NS6detail31onesweep_scan_histograms_kernelINS1_34wrapped_radix_sort_onesweep_configINS0_14default_configEiN2at4cuda3cub6detail10OpaqueTypeILi8EEEEEmEEvPT0_.num_named_barrier, 0
	.set _ZN7rocprim17ROCPRIM_304000_NS6detail31onesweep_scan_histograms_kernelINS1_34wrapped_radix_sort_onesweep_configINS0_14default_configEiN2at4cuda3cub6detail10OpaqueTypeILi8EEEEEmEEvPT0_.private_seg_size, 0
	.set _ZN7rocprim17ROCPRIM_304000_NS6detail31onesweep_scan_histograms_kernelINS1_34wrapped_radix_sort_onesweep_configINS0_14default_configEiN2at4cuda3cub6detail10OpaqueTypeILi8EEEEEmEEvPT0_.uses_vcc, 1
	.set _ZN7rocprim17ROCPRIM_304000_NS6detail31onesweep_scan_histograms_kernelINS1_34wrapped_radix_sort_onesweep_configINS0_14default_configEiN2at4cuda3cub6detail10OpaqueTypeILi8EEEEEmEEvPT0_.uses_flat_scratch, 0
	.set _ZN7rocprim17ROCPRIM_304000_NS6detail31onesweep_scan_histograms_kernelINS1_34wrapped_radix_sort_onesweep_configINS0_14default_configEiN2at4cuda3cub6detail10OpaqueTypeILi8EEEEEmEEvPT0_.has_dyn_sized_stack, 0
	.set _ZN7rocprim17ROCPRIM_304000_NS6detail31onesweep_scan_histograms_kernelINS1_34wrapped_radix_sort_onesweep_configINS0_14default_configEiN2at4cuda3cub6detail10OpaqueTypeILi8EEEEEmEEvPT0_.has_recursion, 0
	.set _ZN7rocprim17ROCPRIM_304000_NS6detail31onesweep_scan_histograms_kernelINS1_34wrapped_radix_sort_onesweep_configINS0_14default_configEiN2at4cuda3cub6detail10OpaqueTypeILi8EEEEEmEEvPT0_.has_indirect_call, 0
	.section	.AMDGPU.csdata,"",@progbits
; Kernel info:
; codeLenInByte = 848
; TotalNumSgprs: 12
; NumVgprs: 12
; ScratchSize: 0
; MemoryBound: 0
; FloatMode: 240
; IeeeMode: 1
; LDSByteSize: 32 bytes/workgroup (compile time only)
; SGPRBlocks: 1
; VGPRBlocks: 2
; NumSGPRsForWavesPerEU: 12
; NumVGPRsForWavesPerEU: 12
; Occupancy: 10
; WaveLimiterHint : 0
; COMPUTE_PGM_RSRC2:SCRATCH_EN: 0
; COMPUTE_PGM_RSRC2:USER_SGPR: 6
; COMPUTE_PGM_RSRC2:TRAP_HANDLER: 0
; COMPUTE_PGM_RSRC2:TGID_X_EN: 1
; COMPUTE_PGM_RSRC2:TGID_Y_EN: 0
; COMPUTE_PGM_RSRC2:TGID_Z_EN: 0
; COMPUTE_PGM_RSRC2:TIDIG_COMP_CNT: 0
	.section	.text._ZN7rocprim17ROCPRIM_304000_NS6detail16transform_kernelINS1_24wrapped_transform_configINS0_14default_configEiEEiPKiPiNS0_8identityIiEEEEvT1_mT2_T3_,"axG",@progbits,_ZN7rocprim17ROCPRIM_304000_NS6detail16transform_kernelINS1_24wrapped_transform_configINS0_14default_configEiEEiPKiPiNS0_8identityIiEEEEvT1_mT2_T3_,comdat
	.protected	_ZN7rocprim17ROCPRIM_304000_NS6detail16transform_kernelINS1_24wrapped_transform_configINS0_14default_configEiEEiPKiPiNS0_8identityIiEEEEvT1_mT2_T3_ ; -- Begin function _ZN7rocprim17ROCPRIM_304000_NS6detail16transform_kernelINS1_24wrapped_transform_configINS0_14default_configEiEEiPKiPiNS0_8identityIiEEEEvT1_mT2_T3_
	.globl	_ZN7rocprim17ROCPRIM_304000_NS6detail16transform_kernelINS1_24wrapped_transform_configINS0_14default_configEiEEiPKiPiNS0_8identityIiEEEEvT1_mT2_T3_
	.p2align	8
	.type	_ZN7rocprim17ROCPRIM_304000_NS6detail16transform_kernelINS1_24wrapped_transform_configINS0_14default_configEiEEiPKiPiNS0_8identityIiEEEEvT1_mT2_T3_,@function
_ZN7rocprim17ROCPRIM_304000_NS6detail16transform_kernelINS1_24wrapped_transform_configINS0_14default_configEiEEiPKiPiNS0_8identityIiEEEEvT1_mT2_T3_: ; @_ZN7rocprim17ROCPRIM_304000_NS6detail16transform_kernelINS1_24wrapped_transform_configINS0_14default_configEiEEiPKiPiNS0_8identityIiEEEEvT1_mT2_T3_
; %bb.0:
	s_load_dword s7, s[4:5], 0x20
	s_load_dwordx4 s[0:3], s[4:5], 0x0
	s_load_dwordx2 s[8:9], s[4:5], 0x10
	s_lshl_b32 s10, s6, 11
	s_mov_b32 s11, 0
	s_waitcnt lgkmcnt(0)
	s_add_i32 s7, s7, -1
	s_lshl_b64 s[4:5], s[10:11], 2
	s_add_u32 s0, s0, s4
	s_addc_u32 s1, s1, s5
	v_lshlrev_b32_e32 v5, 2, v0
	v_mov_b32_e32 v2, s1
	v_add_co_u32_e32 v1, vcc, s0, v5
	s_cmp_lg_u32 s6, s7
	v_addc_co_u32_e32 v2, vcc, 0, v2, vcc
	s_cbranch_scc0 .LBB85_2
; %bb.1:
	v_add_co_u32_e32 v3, vcc, 0x1000, v1
	global_load_dword v6, v[1:2], off
	v_addc_co_u32_e32 v4, vcc, 0, v2, vcc
	global_load_dword v3, v[3:4], off
	s_add_u32 s0, s8, s4
	s_addc_u32 s1, s9, s5
	s_mov_b64 s[6:7], -1
	s_waitcnt vmcnt(1)
	global_store_dword v5, v6, s[0:1]
	s_cbranch_execz .LBB85_3
	s_branch .LBB85_10
.LBB85_2:
	s_mov_b64 s[6:7], 0
                                        ; implicit-def: $vgpr3
.LBB85_3:
	s_sub_i32 s10, s2, s10
	s_waitcnt vmcnt(1)
	v_mov_b32_e32 v3, 0
	v_cmp_gt_u32_e64 s[0:1], s10, v0
	v_mov_b32_e32 v4, v3
	s_and_saveexec_b64 s[2:3], s[0:1]
	s_cbranch_execz .LBB85_5
; %bb.4:
	global_load_dword v6, v[1:2], off
	v_mov_b32_e32 v7, v3
	s_waitcnt vmcnt(0)
	v_mov_b32_e32 v3, v6
	v_mov_b32_e32 v4, v7
.LBB85_5:
	s_or_b64 exec, exec, s[2:3]
	v_or_b32_e32 v0, 0x400, v0
	v_cmp_gt_u32_e64 s[2:3], s10, v0
	s_and_saveexec_b64 s[10:11], s[2:3]
	s_cbranch_execnz .LBB85_13
; %bb.6:
	s_or_b64 exec, exec, s[10:11]
	v_cndmask_b32_e64 v0, 0, v3, s[0:1]
	s_and_saveexec_b64 s[10:11], s[0:1]
	s_cbranch_execnz .LBB85_14
.LBB85_7:
	s_or_b64 exec, exec, s[10:11]
                                        ; implicit-def: $vgpr3
	s_and_saveexec_b64 s[0:1], s[2:3]
	s_cbranch_execz .LBB85_9
.LBB85_8:
	s_waitcnt vmcnt(0)
	v_cndmask_b32_e64 v3, 0, v4, s[2:3]
	s_or_b64 s[6:7], s[6:7], exec
.LBB85_9:
	s_or_b64 exec, exec, s[0:1]
.LBB85_10:
	s_and_saveexec_b64 s[0:1], s[6:7]
	s_cbranch_execnz .LBB85_12
; %bb.11:
	s_endpgm
.LBB85_12:
	s_add_u32 s0, s8, s4
	s_addc_u32 s1, s9, s5
	v_mov_b32_e32 v0, s1
	v_add_co_u32_e32 v1, vcc, s0, v5
	v_addc_co_u32_e32 v2, vcc, 0, v0, vcc
	v_add_co_u32_e32 v0, vcc, 0x1000, v1
	v_addc_co_u32_e32 v1, vcc, 0, v2, vcc
	s_waitcnt vmcnt(1)
	global_store_dword v[0:1], v3, off
	s_endpgm
.LBB85_13:
	v_add_co_u32_e32 v0, vcc, 0x1000, v1
	v_addc_co_u32_e32 v1, vcc, 0, v2, vcc
	global_load_dword v4, v[0:1], off
	s_or_b64 exec, exec, s[10:11]
	v_cndmask_b32_e64 v0, 0, v3, s[0:1]
	s_and_saveexec_b64 s[10:11], s[0:1]
	s_cbranch_execz .LBB85_7
.LBB85_14:
	s_add_u32 s0, s8, s4
	s_addc_u32 s1, s9, s5
	global_store_dword v5, v0, s[0:1]
	s_or_b64 exec, exec, s[10:11]
                                        ; implicit-def: $vgpr3
	s_and_saveexec_b64 s[0:1], s[2:3]
	s_cbranch_execnz .LBB85_8
	s_branch .LBB85_9
	.section	.rodata,"a",@progbits
	.p2align	6, 0x0
	.amdhsa_kernel _ZN7rocprim17ROCPRIM_304000_NS6detail16transform_kernelINS1_24wrapped_transform_configINS0_14default_configEiEEiPKiPiNS0_8identityIiEEEEvT1_mT2_T3_
		.amdhsa_group_segment_fixed_size 0
		.amdhsa_private_segment_fixed_size 0
		.amdhsa_kernarg_size 288
		.amdhsa_user_sgpr_count 6
		.amdhsa_user_sgpr_private_segment_buffer 1
		.amdhsa_user_sgpr_dispatch_ptr 0
		.amdhsa_user_sgpr_queue_ptr 0
		.amdhsa_user_sgpr_kernarg_segment_ptr 1
		.amdhsa_user_sgpr_dispatch_id 0
		.amdhsa_user_sgpr_flat_scratch_init 0
		.amdhsa_user_sgpr_private_segment_size 0
		.amdhsa_uses_dynamic_stack 0
		.amdhsa_system_sgpr_private_segment_wavefront_offset 0
		.amdhsa_system_sgpr_workgroup_id_x 1
		.amdhsa_system_sgpr_workgroup_id_y 0
		.amdhsa_system_sgpr_workgroup_id_z 0
		.amdhsa_system_sgpr_workgroup_info 0
		.amdhsa_system_vgpr_workitem_id 0
		.amdhsa_next_free_vgpr 8
		.amdhsa_next_free_sgpr 12
		.amdhsa_reserve_vcc 1
		.amdhsa_reserve_flat_scratch 0
		.amdhsa_float_round_mode_32 0
		.amdhsa_float_round_mode_16_64 0
		.amdhsa_float_denorm_mode_32 3
		.amdhsa_float_denorm_mode_16_64 3
		.amdhsa_dx10_clamp 1
		.amdhsa_ieee_mode 1
		.amdhsa_fp16_overflow 0
		.amdhsa_exception_fp_ieee_invalid_op 0
		.amdhsa_exception_fp_denorm_src 0
		.amdhsa_exception_fp_ieee_div_zero 0
		.amdhsa_exception_fp_ieee_overflow 0
		.amdhsa_exception_fp_ieee_underflow 0
		.amdhsa_exception_fp_ieee_inexact 0
		.amdhsa_exception_int_div_zero 0
	.end_amdhsa_kernel
	.section	.text._ZN7rocprim17ROCPRIM_304000_NS6detail16transform_kernelINS1_24wrapped_transform_configINS0_14default_configEiEEiPKiPiNS0_8identityIiEEEEvT1_mT2_T3_,"axG",@progbits,_ZN7rocprim17ROCPRIM_304000_NS6detail16transform_kernelINS1_24wrapped_transform_configINS0_14default_configEiEEiPKiPiNS0_8identityIiEEEEvT1_mT2_T3_,comdat
.Lfunc_end85:
	.size	_ZN7rocprim17ROCPRIM_304000_NS6detail16transform_kernelINS1_24wrapped_transform_configINS0_14default_configEiEEiPKiPiNS0_8identityIiEEEEvT1_mT2_T3_, .Lfunc_end85-_ZN7rocprim17ROCPRIM_304000_NS6detail16transform_kernelINS1_24wrapped_transform_configINS0_14default_configEiEEiPKiPiNS0_8identityIiEEEEvT1_mT2_T3_
                                        ; -- End function
	.set _ZN7rocprim17ROCPRIM_304000_NS6detail16transform_kernelINS1_24wrapped_transform_configINS0_14default_configEiEEiPKiPiNS0_8identityIiEEEEvT1_mT2_T3_.num_vgpr, 8
	.set _ZN7rocprim17ROCPRIM_304000_NS6detail16transform_kernelINS1_24wrapped_transform_configINS0_14default_configEiEEiPKiPiNS0_8identityIiEEEEvT1_mT2_T3_.num_agpr, 0
	.set _ZN7rocprim17ROCPRIM_304000_NS6detail16transform_kernelINS1_24wrapped_transform_configINS0_14default_configEiEEiPKiPiNS0_8identityIiEEEEvT1_mT2_T3_.numbered_sgpr, 12
	.set _ZN7rocprim17ROCPRIM_304000_NS6detail16transform_kernelINS1_24wrapped_transform_configINS0_14default_configEiEEiPKiPiNS0_8identityIiEEEEvT1_mT2_T3_.num_named_barrier, 0
	.set _ZN7rocprim17ROCPRIM_304000_NS6detail16transform_kernelINS1_24wrapped_transform_configINS0_14default_configEiEEiPKiPiNS0_8identityIiEEEEvT1_mT2_T3_.private_seg_size, 0
	.set _ZN7rocprim17ROCPRIM_304000_NS6detail16transform_kernelINS1_24wrapped_transform_configINS0_14default_configEiEEiPKiPiNS0_8identityIiEEEEvT1_mT2_T3_.uses_vcc, 1
	.set _ZN7rocprim17ROCPRIM_304000_NS6detail16transform_kernelINS1_24wrapped_transform_configINS0_14default_configEiEEiPKiPiNS0_8identityIiEEEEvT1_mT2_T3_.uses_flat_scratch, 0
	.set _ZN7rocprim17ROCPRIM_304000_NS6detail16transform_kernelINS1_24wrapped_transform_configINS0_14default_configEiEEiPKiPiNS0_8identityIiEEEEvT1_mT2_T3_.has_dyn_sized_stack, 0
	.set _ZN7rocprim17ROCPRIM_304000_NS6detail16transform_kernelINS1_24wrapped_transform_configINS0_14default_configEiEEiPKiPiNS0_8identityIiEEEEvT1_mT2_T3_.has_recursion, 0
	.set _ZN7rocprim17ROCPRIM_304000_NS6detail16transform_kernelINS1_24wrapped_transform_configINS0_14default_configEiEEiPKiPiNS0_8identityIiEEEEvT1_mT2_T3_.has_indirect_call, 0
	.section	.AMDGPU.csdata,"",@progbits
; Kernel info:
; codeLenInByte = 408
; TotalNumSgprs: 16
; NumVgprs: 8
; ScratchSize: 0
; MemoryBound: 0
; FloatMode: 240
; IeeeMode: 1
; LDSByteSize: 0 bytes/workgroup (compile time only)
; SGPRBlocks: 1
; VGPRBlocks: 1
; NumSGPRsForWavesPerEU: 16
; NumVGPRsForWavesPerEU: 8
; Occupancy: 10
; WaveLimiterHint : 1
; COMPUTE_PGM_RSRC2:SCRATCH_EN: 0
; COMPUTE_PGM_RSRC2:USER_SGPR: 6
; COMPUTE_PGM_RSRC2:TRAP_HANDLER: 0
; COMPUTE_PGM_RSRC2:TGID_X_EN: 1
; COMPUTE_PGM_RSRC2:TGID_Y_EN: 0
; COMPUTE_PGM_RSRC2:TGID_Z_EN: 0
; COMPUTE_PGM_RSRC2:TIDIG_COMP_CNT: 0
	.section	.text._ZN7rocprim17ROCPRIM_304000_NS6detail25onesweep_iteration_kernelINS1_34wrapped_radix_sort_onesweep_configINS0_14default_configEiN2at4cuda3cub6detail10OpaqueTypeILi8EEEEELb1EPKiPiPKSA_PSA_mNS0_19identity_decomposerEEEvT1_T2_T3_T4_jPT5_SO_PNS1_23onesweep_lookback_stateET6_jjj,"axG",@progbits,_ZN7rocprim17ROCPRIM_304000_NS6detail25onesweep_iteration_kernelINS1_34wrapped_radix_sort_onesweep_configINS0_14default_configEiN2at4cuda3cub6detail10OpaqueTypeILi8EEEEELb1EPKiPiPKSA_PSA_mNS0_19identity_decomposerEEEvT1_T2_T3_T4_jPT5_SO_PNS1_23onesweep_lookback_stateET6_jjj,comdat
	.protected	_ZN7rocprim17ROCPRIM_304000_NS6detail25onesweep_iteration_kernelINS1_34wrapped_radix_sort_onesweep_configINS0_14default_configEiN2at4cuda3cub6detail10OpaqueTypeILi8EEEEELb1EPKiPiPKSA_PSA_mNS0_19identity_decomposerEEEvT1_T2_T3_T4_jPT5_SO_PNS1_23onesweep_lookback_stateET6_jjj ; -- Begin function _ZN7rocprim17ROCPRIM_304000_NS6detail25onesweep_iteration_kernelINS1_34wrapped_radix_sort_onesweep_configINS0_14default_configEiN2at4cuda3cub6detail10OpaqueTypeILi8EEEEELb1EPKiPiPKSA_PSA_mNS0_19identity_decomposerEEEvT1_T2_T3_T4_jPT5_SO_PNS1_23onesweep_lookback_stateET6_jjj
	.globl	_ZN7rocprim17ROCPRIM_304000_NS6detail25onesweep_iteration_kernelINS1_34wrapped_radix_sort_onesweep_configINS0_14default_configEiN2at4cuda3cub6detail10OpaqueTypeILi8EEEEELb1EPKiPiPKSA_PSA_mNS0_19identity_decomposerEEEvT1_T2_T3_T4_jPT5_SO_PNS1_23onesweep_lookback_stateET6_jjj
	.p2align	8
	.type	_ZN7rocprim17ROCPRIM_304000_NS6detail25onesweep_iteration_kernelINS1_34wrapped_radix_sort_onesweep_configINS0_14default_configEiN2at4cuda3cub6detail10OpaqueTypeILi8EEEEELb1EPKiPiPKSA_PSA_mNS0_19identity_decomposerEEEvT1_T2_T3_T4_jPT5_SO_PNS1_23onesweep_lookback_stateET6_jjj,@function
_ZN7rocprim17ROCPRIM_304000_NS6detail25onesweep_iteration_kernelINS1_34wrapped_radix_sort_onesweep_configINS0_14default_configEiN2at4cuda3cub6detail10OpaqueTypeILi8EEEEELb1EPKiPiPKSA_PSA_mNS0_19identity_decomposerEEEvT1_T2_T3_T4_jPT5_SO_PNS1_23onesweep_lookback_stateET6_jjj: ; @_ZN7rocprim17ROCPRIM_304000_NS6detail25onesweep_iteration_kernelINS1_34wrapped_radix_sort_onesweep_configINS0_14default_configEiN2at4cuda3cub6detail10OpaqueTypeILi8EEEEELb1EPKiPiPKSA_PSA_mNS0_19identity_decomposerEEEvT1_T2_T3_T4_jPT5_SO_PNS1_23onesweep_lookback_stateET6_jjj
; %bb.0:
	s_load_dwordx8 s[56:63], s[4:5], 0x0
	s_load_dwordx4 s[68:71], s[4:5], 0x44
	s_load_dwordx4 s[64:67], s[4:5], 0x28
	s_load_dwordx2 s[72:73], s[4:5], 0x38
	s_mov_b32 s7, s6
	s_mov_b64 s[0:1], -1
	s_waitcnt lgkmcnt(0)
	s_cmp_ge_u32 s6, s70
	s_mul_i32 s54, s6, 0xc00
	v_mbcnt_lo_u32_b32 v29, -1, 0
	s_cbranch_scc0 .LBB86_152
; %bb.1:
	s_load_dword s2, s[4:5], 0x20
	s_mulk_i32 s70, 0xf400
	s_mov_b32 s55, 0
	s_lshl_b64 s[0:1], s[54:55], 2
	v_mbcnt_hi_u32_b32 v10, -1, v29
	s_waitcnt lgkmcnt(0)
	s_add_i32 s70, s70, s2
	s_add_u32 s0, s56, s0
	s_addc_u32 s1, s57, s1
	v_and_b32_e32 v19, 0xc0, v0
	v_lshlrev_b32_e32 v3, 2, v10
	v_mul_u32_u24_e32 v9, 12, v19
	v_mov_b32_e32 v4, s1
	v_add_co_u32_e32 v3, vcc, s0, v3
	v_addc_co_u32_e32 v4, vcc, 0, v4, vcc
	v_lshlrev_b32_e32 v5, 2, v9
	v_add_co_u32_e32 v3, vcc, v3, v5
	v_addc_co_u32_e32 v4, vcc, 0, v4, vcc
	v_or_b32_e32 v5, v10, v9
	v_mov_b32_e32 v7, -1
	v_cmp_gt_u32_e32 vcc, s70, v5
	v_mov_b32_e32 v8, -1
	s_and_saveexec_b64 s[0:1], vcc
	s_cbranch_execz .LBB86_3
; %bb.2:
	global_load_dword v6, v[3:4], off
	s_waitcnt vmcnt(0)
	v_xor_b32_e32 v8, 0x7fffffff, v6
.LBB86_3:
	s_or_b64 exec, exec, s[0:1]
	v_add_u32_e32 v6, 64, v5
	v_cmp_gt_u32_e64 s[0:1], s70, v6
	s_and_saveexec_b64 s[2:3], s[0:1]
	s_cbranch_execz .LBB86_5
; %bb.4:
	global_load_dword v6, v[3:4], off offset:256
	s_waitcnt vmcnt(0)
	v_xor_b32_e32 v7, 0x7fffffff, v6
.LBB86_5:
	s_or_b64 exec, exec, s[2:3]
	v_add_u32_e32 v6, 0x80, v5
	v_cmp_gt_u32_e64 s[2:3], s70, v6
	v_mov_b32_e32 v11, -1
	v_mov_b32_e32 v12, -1
	s_and_saveexec_b64 s[8:9], s[2:3]
	s_cbranch_execz .LBB86_7
; %bb.6:
	global_load_dword v6, v[3:4], off offset:512
	s_waitcnt vmcnt(0)
	v_xor_b32_e32 v12, 0x7fffffff, v6
.LBB86_7:
	s_or_b64 exec, exec, s[8:9]
	v_add_u32_e32 v6, 0xc0, v5
	v_cmp_gt_u32_e64 s[50:51], s70, v6
	s_and_saveexec_b64 s[8:9], s[50:51]
	s_cbranch_execz .LBB86_9
; %bb.8:
	global_load_dword v6, v[3:4], off offset:768
	s_waitcnt vmcnt(0)
	v_xor_b32_e32 v11, 0x7fffffff, v6
.LBB86_9:
	s_or_b64 exec, exec, s[8:9]
	v_add_u32_e32 v6, 0x100, v5
	v_cmp_gt_u32_e64 s[8:9], s70, v6
	v_mov_b32_e32 v13, -1
	v_mov_b32_e32 v14, -1
	s_and_saveexec_b64 s[10:11], s[8:9]
	s_cbranch_execz .LBB86_11
; %bb.10:
	global_load_dword v6, v[3:4], off offset:1024
	s_waitcnt vmcnt(0)
	v_xor_b32_e32 v14, 0x7fffffff, v6
.LBB86_11:
	;; [unrolled: 22-line block ×5, first 2 shown]
	s_or_b64 exec, exec, s[14:15]
	v_add_u32_e32 v5, 0x2c0, v5
	v_cmp_gt_u32_e64 s[14:15], s70, v5
	s_and_saveexec_b64 s[24:25], s[14:15]
	s_cbranch_execz .LBB86_25
; %bb.24:
	global_load_dword v3, v[3:4], off offset:2816
	s_waitcnt vmcnt(0)
	v_xor_b32_e32 v20, 0x7fffffff, v3
.LBB86_25:
	s_or_b64 exec, exec, s[24:25]
	s_load_dword s24, s[4:5], 0x5c
	s_load_dword s33, s[4:5], 0x50
	s_add_u32 s25, s4, 0x50
	s_addc_u32 s26, s5, 0
	v_mov_b32_e32 v3, 0
	s_waitcnt lgkmcnt(0)
	s_lshr_b32 s27, s24, 16
	s_cmp_lt_u32 s6, s33
	s_cselect_b32 s24, 12, 18
	s_add_u32 s24, s25, s24
	s_addc_u32 s25, s26, 0
	global_load_ushort v5, v3, s[24:25]
	s_lshl_b32 s24, -1, s69
	v_lshrrev_b32_e32 v4, s68, v8
	s_not_b32 s74, s24
	v_and_b32_e32 v23, s74, v4
	v_and_b32_e32 v24, 1, v23
	v_add_co_u32_e64 v26, s[24:25], -1, v24
	v_lshlrev_b32_e32 v4, 30, v23
	v_addc_co_u32_e64 v27, s[24:25], 0, -1, s[24:25]
	v_mad_u32_u24 v6, v2, s27, v1
	v_cmp_ne_u32_e64 s[24:25], 0, v24
	v_cmp_gt_i64_e64 s[26:27], 0, v[3:4]
	v_not_b32_e32 v24, v4
	v_lshlrev_b32_e32 v4, 29, v23
	v_xor_b32_e32 v27, s25, v27
	v_xor_b32_e32 v26, s24, v26
	v_ashrrev_i32_e32 v24, 31, v24
	v_cmp_gt_i64_e64 s[24:25], 0, v[3:4]
	v_not_b32_e32 v28, v4
	v_lshlrev_b32_e32 v4, 28, v23
	v_and_b32_e32 v27, exec_hi, v27
	v_and_b32_e32 v26, exec_lo, v26
	v_xor_b32_e32 v30, s27, v24
	v_xor_b32_e32 v24, s26, v24
	v_ashrrev_i32_e32 v28, 31, v28
	v_cmp_gt_i64_e64 s[26:27], 0, v[3:4]
	v_not_b32_e32 v31, v4
	v_lshlrev_b32_e32 v4, 27, v23
	v_and_b32_e32 v27, v27, v30
	v_and_b32_e32 v24, v26, v24
	v_xor_b32_e32 v26, s25, v28
	v_xor_b32_e32 v28, s24, v28
	v_ashrrev_i32_e32 v30, 31, v31
	v_cmp_gt_i64_e64 s[24:25], 0, v[3:4]
	v_not_b32_e32 v31, v4
	v_lshlrev_b32_e32 v4, 26, v23
	v_and_b32_e32 v26, v27, v26
	v_and_b32_e32 v24, v24, v28
	;; [unrolled: 8-line block ×3, first 2 shown]
	v_xor_b32_e32 v27, s25, v30
	v_xor_b32_e32 v28, s24, v30
	v_ashrrev_i32_e32 v30, 31, v31
	v_cmp_gt_i64_e64 s[24:25], 0, v[3:4]
	v_not_b32_e32 v31, v4
	v_mul_lo_u32 v25, v23, 20
	v_lshlrev_b32_e32 v4, 24, v23
	v_and_b32_e32 v23, v26, v27
	v_and_b32_e32 v24, v24, v28
	v_xor_b32_e32 v26, s27, v30
	v_xor_b32_e32 v27, s26, v30
	v_ashrrev_i32_e32 v28, 31, v31
	v_and_b32_e32 v23, v23, v26
	v_and_b32_e32 v24, v24, v27
	v_xor_b32_e32 v26, s25, v28
	v_xor_b32_e32 v27, s24, v28
	v_cmp_gt_i64_e64 s[26:27], 0, v[3:4]
	v_not_b32_e32 v4, v4
	v_and_b32_e32 v26, v23, v26
	v_and_b32_e32 v27, v24, v27
	v_ashrrev_i32_e32 v4, 31, v4
	v_xor_b32_e32 v28, s27, v4
	v_xor_b32_e32 v4, s26, v4
	v_and_b32_e32 v4, v27, v4
	v_mul_u32_u24_e32 v22, 20, v0
	ds_write2_b32 v22, v3, v3 offset0:4 offset1:5
	ds_write2_b32 v22, v3, v3 offset0:6 offset1:7
	ds_write_b32 v22, v3 offset:32
	s_waitcnt vmcnt(0) lgkmcnt(0)
	s_barrier
	; wave barrier
	v_mad_u64_u32 v[23:24], s[24:25], v6, v5, v[0:1]
	v_and_b32_e32 v5, v26, v28
	v_cmp_ne_u64_e64 s[24:25], 0, v[4:5]
	v_lshrrev_b32_e32 v6, 6, v23
	v_mbcnt_lo_u32_b32 v23, v4, 0
	v_mbcnt_hi_u32_b32 v23, v5, v23
	v_cmp_eq_u32_e64 s[26:27], 0, v23
	v_lshl_add_u32 v24, v6, 2, v25
	s_and_b64 s[26:27], s[24:25], s[26:27]
	s_and_saveexec_b64 s[24:25], s[26:27]
; %bb.26:
	v_bcnt_u32_b32 v4, v4, 0
	v_bcnt_u32_b32 v4, v5, v4
	ds_write_b32 v24, v4 offset:16
; %bb.27:
	s_or_b64 exec, exec, s[24:25]
	v_lshrrev_b32_e32 v4, s68, v7
	v_and_b32_e32 v5, s74, v4
	v_mul_lo_u32 v4, v5, 20
	v_and_b32_e32 v27, 1, v5
	; wave barrier
	v_lshl_add_u32 v26, v6, 2, v4
	v_add_co_u32_e64 v4, s[24:25], -1, v27
	v_addc_co_u32_e64 v28, s[24:25], 0, -1, s[24:25]
	v_cmp_ne_u32_e64 s[24:25], 0, v27
	v_xor_b32_e32 v4, s24, v4
	v_xor_b32_e32 v27, s25, v28
	v_and_b32_e32 v28, exec_lo, v4
	v_lshlrev_b32_e32 v4, 30, v5
	v_cmp_gt_i64_e64 s[24:25], 0, v[3:4]
	v_not_b32_e32 v4, v4
	v_ashrrev_i32_e32 v4, 31, v4
	v_xor_b32_e32 v30, s25, v4
	v_xor_b32_e32 v4, s24, v4
	v_and_b32_e32 v28, v28, v4
	v_lshlrev_b32_e32 v4, 29, v5
	v_cmp_gt_i64_e64 s[24:25], 0, v[3:4]
	v_not_b32_e32 v4, v4
	v_and_b32_e32 v27, exec_hi, v27
	v_ashrrev_i32_e32 v4, 31, v4
	v_and_b32_e32 v27, v27, v30
	v_xor_b32_e32 v30, s25, v4
	v_xor_b32_e32 v4, s24, v4
	v_and_b32_e32 v28, v28, v4
	v_lshlrev_b32_e32 v4, 28, v5
	v_cmp_gt_i64_e64 s[24:25], 0, v[3:4]
	v_not_b32_e32 v4, v4
	v_ashrrev_i32_e32 v4, 31, v4
	v_and_b32_e32 v27, v27, v30
	v_xor_b32_e32 v30, s25, v4
	v_xor_b32_e32 v4, s24, v4
	v_and_b32_e32 v28, v28, v4
	v_lshlrev_b32_e32 v4, 27, v5
	v_cmp_gt_i64_e64 s[24:25], 0, v[3:4]
	v_not_b32_e32 v4, v4
	;; [unrolled: 8-line block ×5, first 2 shown]
	v_ashrrev_i32_e32 v3, 31, v3
	v_xor_b32_e32 v4, s25, v3
	v_xor_b32_e32 v3, s24, v3
	ds_read_b32 v25, v26 offset:16
	v_and_b32_e32 v27, v27, v30
	v_and_b32_e32 v3, v28, v3
	;; [unrolled: 1-line block ×3, first 2 shown]
	v_mbcnt_lo_u32_b32 v5, v3, 0
	v_mbcnt_hi_u32_b32 v27, v4, v5
	v_cmp_ne_u64_e64 s[24:25], 0, v[3:4]
	v_cmp_eq_u32_e64 s[26:27], 0, v27
	s_and_b64 s[26:27], s[24:25], s[26:27]
	; wave barrier
	s_and_saveexec_b64 s[24:25], s[26:27]
	s_cbranch_execz .LBB86_29
; %bb.28:
	v_bcnt_u32_b32 v3, v3, 0
	v_bcnt_u32_b32 v3, v4, v3
	s_waitcnt lgkmcnt(0)
	v_add_u32_e32 v3, v25, v3
	ds_write_b32 v26, v3 offset:16
.LBB86_29:
	s_or_b64 exec, exec, s[24:25]
	v_lshrrev_b32_e32 v3, s68, v12
	v_and_b32_e32 v5, s74, v3
	v_and_b32_e32 v4, 1, v5
	v_mul_lo_u32 v3, v5, 20
	v_add_co_u32_e64 v31, s[24:25], -1, v4
	v_addc_co_u32_e64 v32, s[24:25], 0, -1, s[24:25]
	v_cmp_ne_u32_e64 s[24:25], 0, v4
	v_xor_b32_e32 v4, s25, v32
	v_lshl_add_u32 v30, v6, 2, v3
	v_mov_b32_e32 v3, 0
	v_and_b32_e32 v32, exec_hi, v4
	v_lshlrev_b32_e32 v4, 30, v5
	v_xor_b32_e32 v31, s24, v31
	v_cmp_gt_i64_e64 s[24:25], 0, v[3:4]
	v_not_b32_e32 v4, v4
	v_ashrrev_i32_e32 v4, 31, v4
	v_and_b32_e32 v31, exec_lo, v31
	v_xor_b32_e32 v33, s25, v4
	v_xor_b32_e32 v4, s24, v4
	v_and_b32_e32 v31, v31, v4
	v_lshlrev_b32_e32 v4, 29, v5
	v_cmp_gt_i64_e64 s[24:25], 0, v[3:4]
	v_not_b32_e32 v4, v4
	v_ashrrev_i32_e32 v4, 31, v4
	v_and_b32_e32 v32, v32, v33
	v_xor_b32_e32 v33, s25, v4
	v_xor_b32_e32 v4, s24, v4
	v_and_b32_e32 v31, v31, v4
	v_lshlrev_b32_e32 v4, 28, v5
	v_cmp_gt_i64_e64 s[24:25], 0, v[3:4]
	v_not_b32_e32 v4, v4
	v_ashrrev_i32_e32 v4, 31, v4
	v_and_b32_e32 v32, v32, v33
	;; [unrolled: 8-line block ×5, first 2 shown]
	v_xor_b32_e32 v33, s25, v4
	v_xor_b32_e32 v4, s24, v4
	v_and_b32_e32 v31, v31, v4
	v_lshlrev_b32_e32 v4, 24, v5
	v_cmp_gt_i64_e64 s[24:25], 0, v[3:4]
	v_not_b32_e32 v4, v4
	v_ashrrev_i32_e32 v4, 31, v4
	v_xor_b32_e32 v5, s25, v4
	v_xor_b32_e32 v4, s24, v4
	; wave barrier
	ds_read_b32 v28, v30 offset:16
	v_and_b32_e32 v32, v32, v33
	v_and_b32_e32 v4, v31, v4
	;; [unrolled: 1-line block ×3, first 2 shown]
	v_mbcnt_lo_u32_b32 v31, v4, 0
	v_mbcnt_hi_u32_b32 v31, v5, v31
	v_cmp_ne_u64_e64 s[24:25], 0, v[4:5]
	v_cmp_eq_u32_e64 s[26:27], 0, v31
	s_and_b64 s[26:27], s[24:25], s[26:27]
	; wave barrier
	s_and_saveexec_b64 s[24:25], s[26:27]
	s_cbranch_execz .LBB86_31
; %bb.30:
	v_bcnt_u32_b32 v4, v4, 0
	v_bcnt_u32_b32 v4, v5, v4
	s_waitcnt lgkmcnt(0)
	v_add_u32_e32 v4, v28, v4
	ds_write_b32 v30, v4 offset:16
.LBB86_31:
	s_or_b64 exec, exec, s[24:25]
	v_lshrrev_b32_e32 v4, s68, v11
	v_and_b32_e32 v5, s74, v4
	v_mul_lo_u32 v4, v5, 20
	v_and_b32_e32 v34, 1, v5
	; wave barrier
	v_lshl_add_u32 v33, v6, 2, v4
	v_add_co_u32_e64 v4, s[24:25], -1, v34
	v_addc_co_u32_e64 v35, s[24:25], 0, -1, s[24:25]
	v_cmp_ne_u32_e64 s[24:25], 0, v34
	v_xor_b32_e32 v4, s24, v4
	v_xor_b32_e32 v34, s25, v35
	v_and_b32_e32 v35, exec_lo, v4
	v_lshlrev_b32_e32 v4, 30, v5
	v_cmp_gt_i64_e64 s[24:25], 0, v[3:4]
	v_not_b32_e32 v4, v4
	v_ashrrev_i32_e32 v4, 31, v4
	v_xor_b32_e32 v36, s25, v4
	v_xor_b32_e32 v4, s24, v4
	v_and_b32_e32 v35, v35, v4
	v_lshlrev_b32_e32 v4, 29, v5
	v_cmp_gt_i64_e64 s[24:25], 0, v[3:4]
	v_not_b32_e32 v4, v4
	v_and_b32_e32 v34, exec_hi, v34
	v_ashrrev_i32_e32 v4, 31, v4
	v_and_b32_e32 v34, v34, v36
	v_xor_b32_e32 v36, s25, v4
	v_xor_b32_e32 v4, s24, v4
	v_and_b32_e32 v35, v35, v4
	v_lshlrev_b32_e32 v4, 28, v5
	v_cmp_gt_i64_e64 s[24:25], 0, v[3:4]
	v_not_b32_e32 v4, v4
	v_ashrrev_i32_e32 v4, 31, v4
	v_and_b32_e32 v34, v34, v36
	v_xor_b32_e32 v36, s25, v4
	v_xor_b32_e32 v4, s24, v4
	v_and_b32_e32 v35, v35, v4
	v_lshlrev_b32_e32 v4, 27, v5
	v_cmp_gt_i64_e64 s[24:25], 0, v[3:4]
	v_not_b32_e32 v4, v4
	;; [unrolled: 8-line block ×5, first 2 shown]
	v_ashrrev_i32_e32 v3, 31, v3
	v_xor_b32_e32 v4, s25, v3
	v_xor_b32_e32 v3, s24, v3
	ds_read_b32 v32, v33 offset:16
	v_and_b32_e32 v34, v34, v36
	v_and_b32_e32 v3, v35, v3
	;; [unrolled: 1-line block ×3, first 2 shown]
	v_mbcnt_lo_u32_b32 v5, v3, 0
	v_mbcnt_hi_u32_b32 v34, v4, v5
	v_cmp_ne_u64_e64 s[24:25], 0, v[3:4]
	v_cmp_eq_u32_e64 s[26:27], 0, v34
	s_and_b64 s[26:27], s[24:25], s[26:27]
	; wave barrier
	s_and_saveexec_b64 s[24:25], s[26:27]
	s_cbranch_execz .LBB86_33
; %bb.32:
	v_bcnt_u32_b32 v3, v3, 0
	v_bcnt_u32_b32 v3, v4, v3
	s_waitcnt lgkmcnt(0)
	v_add_u32_e32 v3, v32, v3
	ds_write_b32 v33, v3 offset:16
.LBB86_33:
	s_or_b64 exec, exec, s[24:25]
	v_lshrrev_b32_e32 v3, s68, v14
	v_and_b32_e32 v5, s74, v3
	v_and_b32_e32 v4, 1, v5
	v_mul_lo_u32 v3, v5, 20
	v_add_co_u32_e64 v37, s[24:25], -1, v4
	v_addc_co_u32_e64 v38, s[24:25], 0, -1, s[24:25]
	v_cmp_ne_u32_e64 s[24:25], 0, v4
	v_xor_b32_e32 v4, s25, v38
	v_lshl_add_u32 v36, v6, 2, v3
	v_mov_b32_e32 v3, 0
	v_and_b32_e32 v38, exec_hi, v4
	v_lshlrev_b32_e32 v4, 30, v5
	v_xor_b32_e32 v37, s24, v37
	v_cmp_gt_i64_e64 s[24:25], 0, v[3:4]
	v_not_b32_e32 v4, v4
	v_ashrrev_i32_e32 v4, 31, v4
	v_and_b32_e32 v37, exec_lo, v37
	v_xor_b32_e32 v39, s25, v4
	v_xor_b32_e32 v4, s24, v4
	v_and_b32_e32 v37, v37, v4
	v_lshlrev_b32_e32 v4, 29, v5
	v_cmp_gt_i64_e64 s[24:25], 0, v[3:4]
	v_not_b32_e32 v4, v4
	v_ashrrev_i32_e32 v4, 31, v4
	v_and_b32_e32 v38, v38, v39
	v_xor_b32_e32 v39, s25, v4
	v_xor_b32_e32 v4, s24, v4
	v_and_b32_e32 v37, v37, v4
	v_lshlrev_b32_e32 v4, 28, v5
	v_cmp_gt_i64_e64 s[24:25], 0, v[3:4]
	v_not_b32_e32 v4, v4
	v_ashrrev_i32_e32 v4, 31, v4
	v_and_b32_e32 v38, v38, v39
	;; [unrolled: 8-line block ×5, first 2 shown]
	v_xor_b32_e32 v39, s25, v4
	v_xor_b32_e32 v4, s24, v4
	v_and_b32_e32 v37, v37, v4
	v_lshlrev_b32_e32 v4, 24, v5
	v_cmp_gt_i64_e64 s[24:25], 0, v[3:4]
	v_not_b32_e32 v4, v4
	v_ashrrev_i32_e32 v4, 31, v4
	v_xor_b32_e32 v5, s25, v4
	v_xor_b32_e32 v4, s24, v4
	; wave barrier
	ds_read_b32 v35, v36 offset:16
	v_and_b32_e32 v38, v38, v39
	v_and_b32_e32 v4, v37, v4
	;; [unrolled: 1-line block ×3, first 2 shown]
	v_mbcnt_lo_u32_b32 v37, v4, 0
	v_mbcnt_hi_u32_b32 v37, v5, v37
	v_cmp_ne_u64_e64 s[24:25], 0, v[4:5]
	v_cmp_eq_u32_e64 s[26:27], 0, v37
	s_and_b64 s[26:27], s[24:25], s[26:27]
	; wave barrier
	s_and_saveexec_b64 s[24:25], s[26:27]
	s_cbranch_execz .LBB86_35
; %bb.34:
	v_bcnt_u32_b32 v4, v4, 0
	v_bcnt_u32_b32 v4, v5, v4
	s_waitcnt lgkmcnt(0)
	v_add_u32_e32 v4, v35, v4
	ds_write_b32 v36, v4 offset:16
.LBB86_35:
	s_or_b64 exec, exec, s[24:25]
	v_lshrrev_b32_e32 v4, s68, v13
	v_and_b32_e32 v5, s74, v4
	v_mul_lo_u32 v4, v5, 20
	v_and_b32_e32 v40, 1, v5
	; wave barrier
	v_lshl_add_u32 v39, v6, 2, v4
	v_add_co_u32_e64 v4, s[24:25], -1, v40
	v_addc_co_u32_e64 v41, s[24:25], 0, -1, s[24:25]
	v_cmp_ne_u32_e64 s[24:25], 0, v40
	v_xor_b32_e32 v4, s24, v4
	v_xor_b32_e32 v40, s25, v41
	v_and_b32_e32 v41, exec_lo, v4
	v_lshlrev_b32_e32 v4, 30, v5
	v_cmp_gt_i64_e64 s[24:25], 0, v[3:4]
	v_not_b32_e32 v4, v4
	v_ashrrev_i32_e32 v4, 31, v4
	v_xor_b32_e32 v42, s25, v4
	v_xor_b32_e32 v4, s24, v4
	v_and_b32_e32 v41, v41, v4
	v_lshlrev_b32_e32 v4, 29, v5
	v_cmp_gt_i64_e64 s[24:25], 0, v[3:4]
	v_not_b32_e32 v4, v4
	v_and_b32_e32 v40, exec_hi, v40
	v_ashrrev_i32_e32 v4, 31, v4
	v_and_b32_e32 v40, v40, v42
	v_xor_b32_e32 v42, s25, v4
	v_xor_b32_e32 v4, s24, v4
	v_and_b32_e32 v41, v41, v4
	v_lshlrev_b32_e32 v4, 28, v5
	v_cmp_gt_i64_e64 s[24:25], 0, v[3:4]
	v_not_b32_e32 v4, v4
	v_ashrrev_i32_e32 v4, 31, v4
	v_and_b32_e32 v40, v40, v42
	v_xor_b32_e32 v42, s25, v4
	v_xor_b32_e32 v4, s24, v4
	v_and_b32_e32 v41, v41, v4
	v_lshlrev_b32_e32 v4, 27, v5
	v_cmp_gt_i64_e64 s[24:25], 0, v[3:4]
	v_not_b32_e32 v4, v4
	;; [unrolled: 8-line block ×5, first 2 shown]
	v_ashrrev_i32_e32 v3, 31, v3
	v_xor_b32_e32 v4, s25, v3
	v_xor_b32_e32 v3, s24, v3
	ds_read_b32 v38, v39 offset:16
	v_and_b32_e32 v40, v40, v42
	v_and_b32_e32 v3, v41, v3
	;; [unrolled: 1-line block ×3, first 2 shown]
	v_mbcnt_lo_u32_b32 v5, v3, 0
	v_mbcnt_hi_u32_b32 v45, v4, v5
	v_cmp_ne_u64_e64 s[24:25], 0, v[3:4]
	v_cmp_eq_u32_e64 s[26:27], 0, v45
	s_and_b64 s[26:27], s[24:25], s[26:27]
	; wave barrier
	s_and_saveexec_b64 s[24:25], s[26:27]
	s_cbranch_execz .LBB86_37
; %bb.36:
	v_bcnt_u32_b32 v3, v3, 0
	v_bcnt_u32_b32 v3, v4, v3
	s_waitcnt lgkmcnt(0)
	v_add_u32_e32 v3, v38, v3
	ds_write_b32 v39, v3 offset:16
.LBB86_37:
	s_or_b64 exec, exec, s[24:25]
	v_lshrrev_b32_e32 v3, s68, v16
	v_and_b32_e32 v5, s74, v3
	v_and_b32_e32 v4, 1, v5
	v_mul_lo_u32 v3, v5, 20
	v_add_co_u32_e64 v41, s[24:25], -1, v4
	v_addc_co_u32_e64 v42, s[24:25], 0, -1, s[24:25]
	v_cmp_ne_u32_e64 s[24:25], 0, v4
	v_xor_b32_e32 v4, s25, v42
	v_lshl_add_u32 v40, v6, 2, v3
	v_mov_b32_e32 v3, 0
	v_and_b32_e32 v42, exec_hi, v4
	v_lshlrev_b32_e32 v4, 30, v5
	v_xor_b32_e32 v41, s24, v41
	v_cmp_gt_i64_e64 s[24:25], 0, v[3:4]
	v_not_b32_e32 v4, v4
	v_ashrrev_i32_e32 v4, 31, v4
	v_and_b32_e32 v41, exec_lo, v41
	v_xor_b32_e32 v43, s25, v4
	v_xor_b32_e32 v4, s24, v4
	v_and_b32_e32 v41, v41, v4
	v_lshlrev_b32_e32 v4, 29, v5
	v_cmp_gt_i64_e64 s[24:25], 0, v[3:4]
	v_not_b32_e32 v4, v4
	v_ashrrev_i32_e32 v4, 31, v4
	v_and_b32_e32 v42, v42, v43
	v_xor_b32_e32 v43, s25, v4
	v_xor_b32_e32 v4, s24, v4
	v_and_b32_e32 v41, v41, v4
	v_lshlrev_b32_e32 v4, 28, v5
	v_cmp_gt_i64_e64 s[24:25], 0, v[3:4]
	v_not_b32_e32 v4, v4
	v_ashrrev_i32_e32 v4, 31, v4
	v_and_b32_e32 v42, v42, v43
	;; [unrolled: 8-line block ×5, first 2 shown]
	v_xor_b32_e32 v43, s25, v4
	v_xor_b32_e32 v4, s24, v4
	v_and_b32_e32 v41, v41, v4
	v_lshlrev_b32_e32 v4, 24, v5
	v_cmp_gt_i64_e64 s[24:25], 0, v[3:4]
	v_not_b32_e32 v4, v4
	v_ashrrev_i32_e32 v4, 31, v4
	v_xor_b32_e32 v5, s25, v4
	v_xor_b32_e32 v4, s24, v4
	; wave barrier
	ds_read_b32 v46, v40 offset:16
	v_and_b32_e32 v42, v42, v43
	v_and_b32_e32 v4, v41, v4
	;; [unrolled: 1-line block ×3, first 2 shown]
	v_mbcnt_lo_u32_b32 v41, v4, 0
	v_mbcnt_hi_u32_b32 v47, v5, v41
	v_cmp_ne_u64_e64 s[24:25], 0, v[4:5]
	v_cmp_eq_u32_e64 s[26:27], 0, v47
	s_and_b64 s[26:27], s[24:25], s[26:27]
	; wave barrier
	s_and_saveexec_b64 s[24:25], s[26:27]
	s_cbranch_execz .LBB86_39
; %bb.38:
	v_bcnt_u32_b32 v4, v4, 0
	v_bcnt_u32_b32 v4, v5, v4
	s_waitcnt lgkmcnt(0)
	v_add_u32_e32 v4, v46, v4
	ds_write_b32 v40, v4 offset:16
.LBB86_39:
	s_or_b64 exec, exec, s[24:25]
	v_lshrrev_b32_e32 v4, s68, v15
	v_and_b32_e32 v5, s74, v4
	v_mul_lo_u32 v4, v5, 20
	v_and_b32_e32 v42, 1, v5
	; wave barrier
	v_lshl_add_u32 v41, v6, 2, v4
	v_add_co_u32_e64 v4, s[24:25], -1, v42
	v_addc_co_u32_e64 v43, s[24:25], 0, -1, s[24:25]
	v_cmp_ne_u32_e64 s[24:25], 0, v42
	v_xor_b32_e32 v4, s24, v4
	v_xor_b32_e32 v42, s25, v43
	v_and_b32_e32 v43, exec_lo, v4
	v_lshlrev_b32_e32 v4, 30, v5
	v_cmp_gt_i64_e64 s[24:25], 0, v[3:4]
	v_not_b32_e32 v4, v4
	v_ashrrev_i32_e32 v4, 31, v4
	v_xor_b32_e32 v44, s25, v4
	v_xor_b32_e32 v4, s24, v4
	v_and_b32_e32 v43, v43, v4
	v_lshlrev_b32_e32 v4, 29, v5
	v_cmp_gt_i64_e64 s[24:25], 0, v[3:4]
	v_not_b32_e32 v4, v4
	v_and_b32_e32 v42, exec_hi, v42
	v_ashrrev_i32_e32 v4, 31, v4
	v_and_b32_e32 v42, v42, v44
	v_xor_b32_e32 v44, s25, v4
	v_xor_b32_e32 v4, s24, v4
	v_and_b32_e32 v43, v43, v4
	v_lshlrev_b32_e32 v4, 28, v5
	v_cmp_gt_i64_e64 s[24:25], 0, v[3:4]
	v_not_b32_e32 v4, v4
	v_ashrrev_i32_e32 v4, 31, v4
	v_and_b32_e32 v42, v42, v44
	v_xor_b32_e32 v44, s25, v4
	v_xor_b32_e32 v4, s24, v4
	v_and_b32_e32 v43, v43, v4
	v_lshlrev_b32_e32 v4, 27, v5
	v_cmp_gt_i64_e64 s[24:25], 0, v[3:4]
	v_not_b32_e32 v4, v4
	;; [unrolled: 8-line block ×5, first 2 shown]
	v_ashrrev_i32_e32 v3, 31, v3
	v_xor_b32_e32 v4, s25, v3
	v_xor_b32_e32 v3, s24, v3
	ds_read_b32 v48, v41 offset:16
	v_and_b32_e32 v42, v42, v44
	v_and_b32_e32 v3, v43, v3
	;; [unrolled: 1-line block ×3, first 2 shown]
	v_mbcnt_lo_u32_b32 v5, v3, 0
	v_mbcnt_hi_u32_b32 v49, v4, v5
	v_cmp_ne_u64_e64 s[24:25], 0, v[3:4]
	v_cmp_eq_u32_e64 s[26:27], 0, v49
	s_and_b64 s[26:27], s[24:25], s[26:27]
	; wave barrier
	s_and_saveexec_b64 s[24:25], s[26:27]
	s_cbranch_execz .LBB86_41
; %bb.40:
	v_bcnt_u32_b32 v3, v3, 0
	v_bcnt_u32_b32 v3, v4, v3
	s_waitcnt lgkmcnt(0)
	v_add_u32_e32 v3, v48, v3
	ds_write_b32 v41, v3 offset:16
.LBB86_41:
	s_or_b64 exec, exec, s[24:25]
	v_lshrrev_b32_e32 v3, s68, v18
	v_and_b32_e32 v5, s74, v3
	v_and_b32_e32 v4, 1, v5
	v_mul_lo_u32 v3, v5, 20
	v_add_co_u32_e64 v43, s[24:25], -1, v4
	v_addc_co_u32_e64 v44, s[24:25], 0, -1, s[24:25]
	v_cmp_ne_u32_e64 s[24:25], 0, v4
	v_xor_b32_e32 v4, s25, v44
	v_lshl_add_u32 v42, v6, 2, v3
	v_mov_b32_e32 v3, 0
	v_and_b32_e32 v44, exec_hi, v4
	v_lshlrev_b32_e32 v4, 30, v5
	v_xor_b32_e32 v43, s24, v43
	v_cmp_gt_i64_e64 s[24:25], 0, v[3:4]
	v_not_b32_e32 v4, v4
	v_ashrrev_i32_e32 v4, 31, v4
	v_and_b32_e32 v43, exec_lo, v43
	v_xor_b32_e32 v51, s25, v4
	v_xor_b32_e32 v4, s24, v4
	v_and_b32_e32 v43, v43, v4
	v_lshlrev_b32_e32 v4, 29, v5
	v_cmp_gt_i64_e64 s[24:25], 0, v[3:4]
	v_not_b32_e32 v4, v4
	v_ashrrev_i32_e32 v4, 31, v4
	v_and_b32_e32 v44, v44, v51
	v_xor_b32_e32 v51, s25, v4
	v_xor_b32_e32 v4, s24, v4
	v_and_b32_e32 v43, v43, v4
	v_lshlrev_b32_e32 v4, 28, v5
	v_cmp_gt_i64_e64 s[24:25], 0, v[3:4]
	v_not_b32_e32 v4, v4
	v_ashrrev_i32_e32 v4, 31, v4
	v_and_b32_e32 v44, v44, v51
	;; [unrolled: 8-line block ×5, first 2 shown]
	v_xor_b32_e32 v51, s25, v4
	v_xor_b32_e32 v4, s24, v4
	v_and_b32_e32 v43, v43, v4
	v_lshlrev_b32_e32 v4, 24, v5
	v_cmp_gt_i64_e64 s[24:25], 0, v[3:4]
	v_not_b32_e32 v4, v4
	v_ashrrev_i32_e32 v4, 31, v4
	v_xor_b32_e32 v5, s25, v4
	v_xor_b32_e32 v4, s24, v4
	; wave barrier
	ds_read_b32 v50, v42 offset:16
	v_and_b32_e32 v44, v44, v51
	v_and_b32_e32 v4, v43, v4
	;; [unrolled: 1-line block ×3, first 2 shown]
	v_mbcnt_lo_u32_b32 v43, v4, 0
	v_mbcnt_hi_u32_b32 v51, v5, v43
	v_cmp_ne_u64_e64 s[24:25], 0, v[4:5]
	v_cmp_eq_u32_e64 s[26:27], 0, v51
	s_and_b64 s[26:27], s[24:25], s[26:27]
	; wave barrier
	s_and_saveexec_b64 s[24:25], s[26:27]
	s_cbranch_execz .LBB86_43
; %bb.42:
	v_bcnt_u32_b32 v4, v4, 0
	v_bcnt_u32_b32 v4, v5, v4
	s_waitcnt lgkmcnt(0)
	v_add_u32_e32 v4, v50, v4
	ds_write_b32 v42, v4 offset:16
.LBB86_43:
	s_or_b64 exec, exec, s[24:25]
	v_lshrrev_b32_e32 v4, s68, v17
	v_and_b32_e32 v5, s74, v4
	v_mul_lo_u32 v4, v5, 20
	v_and_b32_e32 v44, 1, v5
	; wave barrier
	v_lshl_add_u32 v43, v6, 2, v4
	v_add_co_u32_e64 v4, s[24:25], -1, v44
	v_addc_co_u32_e64 v53, s[24:25], 0, -1, s[24:25]
	v_cmp_ne_u32_e64 s[24:25], 0, v44
	v_xor_b32_e32 v4, s24, v4
	v_xor_b32_e32 v44, s25, v53
	v_and_b32_e32 v53, exec_lo, v4
	v_lshlrev_b32_e32 v4, 30, v5
	v_cmp_gt_i64_e64 s[24:25], 0, v[3:4]
	v_not_b32_e32 v4, v4
	v_ashrrev_i32_e32 v4, 31, v4
	v_xor_b32_e32 v54, s25, v4
	v_xor_b32_e32 v4, s24, v4
	v_and_b32_e32 v53, v53, v4
	v_lshlrev_b32_e32 v4, 29, v5
	v_cmp_gt_i64_e64 s[24:25], 0, v[3:4]
	v_not_b32_e32 v4, v4
	v_and_b32_e32 v44, exec_hi, v44
	v_ashrrev_i32_e32 v4, 31, v4
	v_and_b32_e32 v44, v44, v54
	v_xor_b32_e32 v54, s25, v4
	v_xor_b32_e32 v4, s24, v4
	v_and_b32_e32 v53, v53, v4
	v_lshlrev_b32_e32 v4, 28, v5
	v_cmp_gt_i64_e64 s[24:25], 0, v[3:4]
	v_not_b32_e32 v4, v4
	v_ashrrev_i32_e32 v4, 31, v4
	v_and_b32_e32 v44, v44, v54
	v_xor_b32_e32 v54, s25, v4
	v_xor_b32_e32 v4, s24, v4
	v_and_b32_e32 v53, v53, v4
	v_lshlrev_b32_e32 v4, 27, v5
	v_cmp_gt_i64_e64 s[24:25], 0, v[3:4]
	v_not_b32_e32 v4, v4
	;; [unrolled: 8-line block ×5, first 2 shown]
	v_ashrrev_i32_e32 v3, 31, v3
	v_xor_b32_e32 v4, s25, v3
	v_xor_b32_e32 v3, s24, v3
	ds_read_b32 v52, v43 offset:16
	v_and_b32_e32 v44, v44, v54
	v_and_b32_e32 v3, v53, v3
	;; [unrolled: 1-line block ×3, first 2 shown]
	v_mbcnt_lo_u32_b32 v5, v3, 0
	v_mbcnt_hi_u32_b32 v53, v4, v5
	v_cmp_ne_u64_e64 s[24:25], 0, v[3:4]
	v_cmp_eq_u32_e64 s[26:27], 0, v53
	s_and_b64 s[26:27], s[24:25], s[26:27]
	; wave barrier
	s_and_saveexec_b64 s[24:25], s[26:27]
	s_cbranch_execz .LBB86_45
; %bb.44:
	v_bcnt_u32_b32 v3, v3, 0
	v_bcnt_u32_b32 v3, v4, v3
	s_waitcnt lgkmcnt(0)
	v_add_u32_e32 v3, v52, v3
	ds_write_b32 v43, v3 offset:16
.LBB86_45:
	s_or_b64 exec, exec, s[24:25]
	v_lshrrev_b32_e32 v3, s68, v21
	v_and_b32_e32 v5, s74, v3
	v_and_b32_e32 v4, 1, v5
	v_mul_lo_u32 v3, v5, 20
	v_add_co_u32_e64 v55, s[24:25], -1, v4
	v_addc_co_u32_e64 v56, s[24:25], 0, -1, s[24:25]
	v_cmp_ne_u32_e64 s[24:25], 0, v4
	v_xor_b32_e32 v4, s25, v56
	v_lshl_add_u32 v44, v6, 2, v3
	v_mov_b32_e32 v3, 0
	v_and_b32_e32 v56, exec_hi, v4
	v_lshlrev_b32_e32 v4, 30, v5
	v_xor_b32_e32 v55, s24, v55
	v_cmp_gt_i64_e64 s[24:25], 0, v[3:4]
	v_not_b32_e32 v4, v4
	v_ashrrev_i32_e32 v4, 31, v4
	v_and_b32_e32 v55, exec_lo, v55
	v_xor_b32_e32 v57, s25, v4
	v_xor_b32_e32 v4, s24, v4
	v_and_b32_e32 v55, v55, v4
	v_lshlrev_b32_e32 v4, 29, v5
	v_cmp_gt_i64_e64 s[24:25], 0, v[3:4]
	v_not_b32_e32 v4, v4
	v_ashrrev_i32_e32 v4, 31, v4
	v_and_b32_e32 v56, v56, v57
	v_xor_b32_e32 v57, s25, v4
	v_xor_b32_e32 v4, s24, v4
	v_and_b32_e32 v55, v55, v4
	v_lshlrev_b32_e32 v4, 28, v5
	v_cmp_gt_i64_e64 s[24:25], 0, v[3:4]
	v_not_b32_e32 v4, v4
	v_ashrrev_i32_e32 v4, 31, v4
	v_and_b32_e32 v56, v56, v57
	v_xor_b32_e32 v57, s25, v4
	v_xor_b32_e32 v4, s24, v4
	v_and_b32_e32 v55, v55, v4
	v_lshlrev_b32_e32 v4, 27, v5
	v_cmp_gt_i64_e64 s[24:25], 0, v[3:4]
	v_not_b32_e32 v4, v4
	v_ashrrev_i32_e32 v4, 31, v4
	v_and_b32_e32 v56, v56, v57
	v_xor_b32_e32 v57, s25, v4
	v_xor_b32_e32 v4, s24, v4
	v_and_b32_e32 v55, v55, v4
	v_lshlrev_b32_e32 v4, 26, v5
	v_cmp_gt_i64_e64 s[24:25], 0, v[3:4]
	v_not_b32_e32 v4, v4
	v_ashrrev_i32_e32 v4, 31, v4
	v_and_b32_e32 v56, v56, v57
	v_xor_b32_e32 v57, s25, v4
	v_xor_b32_e32 v4, s24, v4
	v_and_b32_e32 v55, v55, v4
	v_lshlrev_b32_e32 v4, 25, v5
	v_cmp_gt_i64_e64 s[24:25], 0, v[3:4]
	v_not_b32_e32 v4, v4
	v_ashrrev_i32_e32 v4, 31, v4
	v_and_b32_e32 v56, v56, v57
	v_xor_b32_e32 v57, s25, v4
	v_xor_b32_e32 v4, s24, v4
	v_and_b32_e32 v55, v55, v4
	v_lshlrev_b32_e32 v4, 24, v5
	v_cmp_gt_i64_e64 s[24:25], 0, v[3:4]
	v_not_b32_e32 v4, v4
	v_ashrrev_i32_e32 v4, 31, v4
	v_xor_b32_e32 v5, s25, v4
	v_xor_b32_e32 v4, s24, v4
	; wave barrier
	ds_read_b32 v54, v44 offset:16
	v_and_b32_e32 v56, v56, v57
	v_and_b32_e32 v4, v55, v4
	;; [unrolled: 1-line block ×3, first 2 shown]
	v_mbcnt_lo_u32_b32 v55, v4, 0
	v_mbcnt_hi_u32_b32 v55, v5, v55
	v_cmp_ne_u64_e64 s[24:25], 0, v[4:5]
	v_cmp_eq_u32_e64 s[26:27], 0, v55
	s_and_b64 s[26:27], s[24:25], s[26:27]
	; wave barrier
	s_and_saveexec_b64 s[24:25], s[26:27]
	s_cbranch_execz .LBB86_47
; %bb.46:
	v_bcnt_u32_b32 v4, v4, 0
	v_bcnt_u32_b32 v4, v5, v4
	s_waitcnt lgkmcnt(0)
	v_add_u32_e32 v4, v54, v4
	ds_write_b32 v44, v4 offset:16
.LBB86_47:
	s_or_b64 exec, exec, s[24:25]
	v_lshrrev_b32_e32 v4, s68, v20
	v_and_b32_e32 v5, s74, v4
	v_mul_lo_u32 v4, v5, 20
	v_and_b32_e32 v58, 1, v5
	; wave barrier
	v_lshl_add_u32 v57, v6, 2, v4
	v_add_co_u32_e64 v4, s[24:25], -1, v58
	v_addc_co_u32_e64 v6, s[24:25], 0, -1, s[24:25]
	v_cmp_ne_u32_e64 s[24:25], 0, v58
	v_xor_b32_e32 v4, s24, v4
	v_and_b32_e32 v58, exec_lo, v4
	v_lshlrev_b32_e32 v4, 30, v5
	v_xor_b32_e32 v6, s25, v6
	v_cmp_gt_i64_e64 s[24:25], 0, v[3:4]
	v_not_b32_e32 v4, v4
	v_ashrrev_i32_e32 v4, 31, v4
	v_xor_b32_e32 v59, s25, v4
	v_xor_b32_e32 v4, s24, v4
	v_and_b32_e32 v58, v58, v4
	v_lshlrev_b32_e32 v4, 29, v5
	v_cmp_gt_i64_e64 s[24:25], 0, v[3:4]
	v_not_b32_e32 v4, v4
	v_and_b32_e32 v6, exec_hi, v6
	v_ashrrev_i32_e32 v4, 31, v4
	v_and_b32_e32 v6, v6, v59
	v_xor_b32_e32 v59, s25, v4
	v_xor_b32_e32 v4, s24, v4
	v_and_b32_e32 v58, v58, v4
	v_lshlrev_b32_e32 v4, 28, v5
	v_cmp_gt_i64_e64 s[24:25], 0, v[3:4]
	v_not_b32_e32 v4, v4
	v_ashrrev_i32_e32 v4, 31, v4
	v_and_b32_e32 v6, v6, v59
	v_xor_b32_e32 v59, s25, v4
	v_xor_b32_e32 v4, s24, v4
	v_and_b32_e32 v58, v58, v4
	v_lshlrev_b32_e32 v4, 27, v5
	v_cmp_gt_i64_e64 s[24:25], 0, v[3:4]
	v_not_b32_e32 v4, v4
	;; [unrolled: 8-line block ×5, first 2 shown]
	v_ashrrev_i32_e32 v3, 31, v3
	v_xor_b32_e32 v4, s25, v3
	v_xor_b32_e32 v3, s24, v3
	ds_read_b32 v56, v57 offset:16
	v_and_b32_e32 v6, v6, v59
	v_and_b32_e32 v3, v58, v3
	;; [unrolled: 1-line block ×3, first 2 shown]
	v_mbcnt_lo_u32_b32 v5, v3, 0
	v_mbcnt_hi_u32_b32 v58, v4, v5
	v_cmp_ne_u64_e64 s[24:25], 0, v[3:4]
	v_cmp_eq_u32_e64 s[26:27], 0, v58
	s_and_b64 s[26:27], s[24:25], s[26:27]
	; wave barrier
	s_and_saveexec_b64 s[24:25], s[26:27]
	s_cbranch_execz .LBB86_49
; %bb.48:
	v_bcnt_u32_b32 v3, v3, 0
	v_bcnt_u32_b32 v3, v4, v3
	s_waitcnt lgkmcnt(0)
	v_add_u32_e32 v3, v56, v3
	ds_write_b32 v57, v3 offset:16
.LBB86_49:
	s_or_b64 exec, exec, s[24:25]
	; wave barrier
	s_waitcnt lgkmcnt(0)
	s_barrier
	ds_read2_b32 v[5:6], v22 offset0:4 offset1:5
	ds_read2_b32 v[3:4], v22 offset0:6 offset1:7
	ds_read_b32 v59, v22 offset:32
	v_min_u32_e32 v19, 0xc0, v19
	v_or_b32_e32 v19, 63, v19
	s_waitcnt lgkmcnt(1)
	v_add3_u32 v60, v6, v5, v3
	s_waitcnt lgkmcnt(0)
	v_add3_u32 v59, v60, v4, v59
	v_and_b32_e32 v60, 15, v10
	v_cmp_ne_u32_e64 s[24:25], 0, v60
	v_mov_b32_dpp v61, v59 row_shr:1 row_mask:0xf bank_mask:0xf
	v_cndmask_b32_e64 v61, 0, v61, s[24:25]
	v_add_u32_e32 v59, v61, v59
	v_cmp_lt_u32_e64 s[24:25], 1, v60
	s_nop 0
	v_mov_b32_dpp v61, v59 row_shr:2 row_mask:0xf bank_mask:0xf
	v_cndmask_b32_e64 v61, 0, v61, s[24:25]
	v_add_u32_e32 v59, v59, v61
	v_cmp_lt_u32_e64 s[24:25], 3, v60
	s_nop 0
	;; [unrolled: 5-line block ×3, first 2 shown]
	v_mov_b32_dpp v61, v59 row_shr:8 row_mask:0xf bank_mask:0xf
	v_cndmask_b32_e64 v60, 0, v61, s[24:25]
	v_add_u32_e32 v59, v59, v60
	v_bfe_i32 v61, v10, 4, 1
	v_cmp_lt_u32_e64 s[24:25], 31, v10
	v_mov_b32_dpp v60, v59 row_bcast:15 row_mask:0xf bank_mask:0xf
	v_and_b32_e32 v60, v61, v60
	v_add_u32_e32 v59, v59, v60
	s_nop 1
	v_mov_b32_dpp v60, v59 row_bcast:31 row_mask:0xf bank_mask:0xf
	v_cndmask_b32_e64 v60, 0, v60, s[24:25]
	v_add_u32_e32 v59, v59, v60
	v_lshrrev_b32_e32 v60, 6, v0
	v_cmp_eq_u32_e64 s[24:25], v0, v19
	s_and_saveexec_b64 s[26:27], s[24:25]
; %bb.50:
	v_lshlrev_b32_e32 v19, 2, v60
	ds_write_b32 v19, v59
; %bb.51:
	s_or_b64 exec, exec, s[26:27]
	v_cmp_gt_u32_e64 s[24:25], 4, v0
	s_waitcnt lgkmcnt(0)
	s_barrier
	s_and_saveexec_b64 s[26:27], s[24:25]
	s_cbranch_execz .LBB86_53
; %bb.52:
	v_lshlrev_b32_e32 v19, 2, v0
	ds_read_b32 v61, v19
	v_and_b32_e32 v62, 3, v10
	v_cmp_ne_u32_e64 s[24:25], 0, v62
	s_waitcnt lgkmcnt(0)
	v_mov_b32_dpp v63, v61 row_shr:1 row_mask:0xf bank_mask:0xf
	v_cndmask_b32_e64 v63, 0, v63, s[24:25]
	v_add_u32_e32 v61, v63, v61
	v_cmp_lt_u32_e64 s[24:25], 1, v62
	s_nop 0
	v_mov_b32_dpp v63, v61 row_shr:2 row_mask:0xf bank_mask:0xf
	v_cndmask_b32_e64 v62, 0, v63, s[24:25]
	v_add_u32_e32 v61, v61, v62
	ds_write_b32 v19, v61
.LBB86_53:
	s_or_b64 exec, exec, s[26:27]
	v_cmp_lt_u32_e64 s[24:25], 63, v0
	v_mov_b32_e32 v19, 0
	s_waitcnt lgkmcnt(0)
	s_barrier
	s_and_saveexec_b64 s[26:27], s[24:25]
; %bb.54:
	v_lshl_add_u32 v19, v60, 2, -4
	ds_read_b32 v19, v19
; %bb.55:
	s_or_b64 exec, exec, s[26:27]
	v_add_u32_e32 v60, -1, v10
	v_and_b32_e32 v61, 64, v10
	v_cmp_lt_i32_e64 s[24:25], v60, v61
	v_cndmask_b32_e64 v60, v60, v10, s[24:25]
	s_waitcnt lgkmcnt(0)
	v_add_u32_e32 v59, v19, v59
	v_lshlrev_b32_e32 v60, 2, v60
	ds_bpermute_b32 v59, v60, v59
	v_cmp_eq_u32_e64 s[24:25], 0, v10
	s_waitcnt lgkmcnt(0)
	v_cndmask_b32_e64 v19, v59, v19, s[24:25]
	v_cmp_ne_u32_e64 s[24:25], 0, v0
	v_cndmask_b32_e64 v19, 0, v19, s[24:25]
	v_add_u32_e32 v5, v19, v5
	v_add_u32_e32 v6, v5, v6
	;; [unrolled: 1-line block ×4, first 2 shown]
	ds_write2_b32 v22, v19, v5 offset0:4 offset1:5
	ds_write2_b32 v22, v6, v3 offset0:6 offset1:7
	ds_write_b32 v22, v4 offset:32
	s_waitcnt lgkmcnt(0)
	s_barrier
	ds_read_b32 v4, v41 offset:16
	ds_read_b32 v5, v42 offset:16
	;; [unrolled: 1-line block ×13, first 2 shown]
	v_add_u32_e32 v22, 1, v0
	s_movk_i32 s24, 0x100
	v_cmp_ne_u32_e64 s[24:25], s24, v22
	v_mov_b32_e32 v3, 0xc00
	s_and_saveexec_b64 s[26:27], s[24:25]
; %bb.56:
	v_mul_u32_u24_e32 v3, 20, v22
	ds_read_b32 v3, v3 offset:16
; %bb.57:
	s_or_b64 exec, exec, s[26:27]
	s_waitcnt lgkmcnt(7)
	v_add_u32_e32 v44, v24, v23
	s_waitcnt lgkmcnt(6)
	v_add3_u32 v43, v27, v25, v26
	s_waitcnt lgkmcnt(3)
	v_add3_u32 v40, v37, v35, v36
	v_add3_u32 v37, v49, v48, v4
	v_lshlrev_b32_e32 v4, 2, v44
	v_add3_u32 v42, v31, v28, v41
	s_waitcnt lgkmcnt(0)
	s_barrier
	ds_write_b32 v4, v8 offset:2048
	v_lshlrev_b32_e32 v4, 2, v43
	v_add3_u32 v41, v34, v32, v33
	ds_write_b32 v4, v7 offset:2048
	v_lshlrev_b32_e32 v4, 2, v42
	ds_write_b32 v4, v12 offset:2048
	v_lshlrev_b32_e32 v4, 2, v41
	v_add3_u32 v39, v45, v38, v39
	ds_write_b32 v4, v11 offset:2048
	v_lshlrev_b32_e32 v4, 2, v40
	v_add3_u32 v38, v47, v46, v59
	ds_write_b32 v4, v14 offset:2048
	v_lshlrev_b32_e32 v4, 2, v39
	ds_write_b32 v4, v13 offset:2048
	v_lshlrev_b32_e32 v4, 2, v38
	v_add3_u32 v36, v51, v50, v5
	ds_write_b32 v4, v16 offset:2048
	v_lshlrev_b32_e32 v4, 2, v37
	v_add3_u32 v35, v53, v52, v6
	;; [unrolled: 3-line block ×4, first 2 shown]
	ds_write_b32 v4, v17 offset:2048
	v_lshlrev_b32_e32 v4, 2, v34
	ds_write_b32 v4, v21 offset:2048
	v_lshlrev_b32_e32 v4, 2, v33
	ds_write_b32 v4, v20 offset:2048
	v_sub_u32_e32 v31, v3, v30
	v_lshl_or_b32 v3, s6, 8, v0
	v_mov_b32_e32 v4, 0
	v_lshlrev_b64 v[5:6], 2, v[3:4]
	v_mov_b32_e32 v11, s73
	v_add_co_u32_e64 v5, s[24:25], s72, v5
	v_addc_co_u32_e64 v6, s[24:25], v11, v6, s[24:25]
	v_or_b32_e32 v3, 2.0, v31
	s_mov_b64 s[26:27], 0
	s_brev_b32 s34, -4
	s_mov_b32 s35, s7
	v_mov_b32_e32 v12, 0
	s_waitcnt lgkmcnt(0)
	s_barrier
	global_store_dword v[5:6], v3, off
                                        ; implicit-def: $sgpr24_sgpr25
	s_branch .LBB86_60
.LBB86_58:                              ;   in Loop: Header=BB86_60 Depth=1
	s_or_b64 exec, exec, s[30:31]
.LBB86_59:                              ;   in Loop: Header=BB86_60 Depth=1
	s_or_b64 exec, exec, s[28:29]
	v_and_b32_e32 v7, 0x3fffffff, v3
	v_add_u32_e32 v12, v7, v12
	v_cmp_gt_i32_e64 s[24:25], -2.0, v3
	s_and_b64 s[28:29], exec, s[24:25]
	s_or_b64 s[26:27], s[28:29], s[26:27]
	s_andn2_b64 exec, exec, s[26:27]
	s_cbranch_execz .LBB86_65
.LBB86_60:                              ; =>This Loop Header: Depth=1
                                        ;     Child Loop BB86_63 Depth 2
	s_or_b64 s[24:25], s[24:25], exec
	s_cmp_eq_u32 s35, 0
	s_cbranch_scc1 .LBB86_64
; %bb.61:                               ;   in Loop: Header=BB86_60 Depth=1
	s_add_i32 s35, s35, -1
	v_lshl_or_b32 v3, s35, 8, v0
	v_lshlrev_b64 v[7:8], 2, v[3:4]
	v_add_co_u32_e64 v7, s[24:25], s72, v7
	v_addc_co_u32_e64 v8, s[24:25], v11, v8, s[24:25]
	global_load_dword v3, v[7:8], off glc
	s_waitcnt vmcnt(0)
	v_cmp_gt_u32_e64 s[24:25], 2.0, v3
	s_and_saveexec_b64 s[28:29], s[24:25]
	s_cbranch_execz .LBB86_59
; %bb.62:                               ;   in Loop: Header=BB86_60 Depth=1
	s_mov_b64 s[30:31], 0
.LBB86_63:                              ;   Parent Loop BB86_60 Depth=1
                                        ; =>  This Inner Loop Header: Depth=2
	global_load_dword v3, v[7:8], off glc
	s_waitcnt vmcnt(0)
	v_cmp_lt_u32_e64 s[24:25], s34, v3
	s_or_b64 s[30:31], s[24:25], s[30:31]
	s_andn2_b64 exec, exec, s[30:31]
	s_cbranch_execnz .LBB86_63
	s_branch .LBB86_58
.LBB86_64:                              ;   in Loop: Header=BB86_60 Depth=1
                                        ; implicit-def: $sgpr35
	s_and_b64 s[28:29], exec, s[24:25]
	s_or_b64 s[26:27], s[28:29], s[26:27]
	s_andn2_b64 exec, exec, s[26:27]
	s_cbranch_execnz .LBB86_60
.LBB86_65:
	s_or_b64 exec, exec, s[26:27]
	v_add_u32_e32 v3, v12, v31
	v_or_b32_e32 v3, 0x80000000, v3
	v_lshlrev_b32_e32 v32, 3, v0
	global_store_dword v[5:6], v3, off
	global_load_dwordx2 v[3:4], v32, s[64:65]
	v_sub_co_u32_e64 v5, s[24:25], v12, v30
	v_subb_co_u32_e64 v6, s[24:25], 0, 0, s[24:25]
	s_waitcnt vmcnt(0)
	v_add_co_u32_e64 v3, s[24:25], v5, v3
	v_addc_co_u32_e64 v4, s[24:25], v6, v4, s[24:25]
	v_cmp_gt_u32_e64 s[24:25], s70, v0
	ds_write_b64 v32, v[3:4]
	s_waitcnt lgkmcnt(0)
	s_barrier
	s_and_saveexec_b64 s[28:29], s[24:25]
	s_cbranch_execz .LBB86_67
; %bb.66:
	v_lshlrev_b32_e32 v5, 2, v0
	v_sub_u32_e32 v3, v32, v5
	ds_read_b32 v6, v3 offset:2048
	v_mov_b32_e32 v7, s59
	s_waitcnt lgkmcnt(0)
	v_lshrrev_b32_e32 v3, s68, v6
	v_and_b32_e32 v3, s74, v3
	v_lshlrev_b32_e32 v3, 3, v3
	ds_read_b64 v[3:4], v3
	v_xor_b32_e32 v6, 0x7fffffff, v6
	s_waitcnt lgkmcnt(0)
	v_lshlrev_b64 v[3:4], 2, v[3:4]
	v_add_co_u32_e64 v3, s[26:27], s58, v3
	v_addc_co_u32_e64 v4, s[26:27], v7, v4, s[26:27]
	v_add_co_u32_e64 v3, s[26:27], v3, v5
	v_addc_co_u32_e64 v4, s[26:27], 0, v4, s[26:27]
	global_store_dword v[3:4], v6, off
.LBB86_67:
	s_or_b64 exec, exec, s[28:29]
	v_or_b32_e32 v3, 0x100, v0
	v_cmp_gt_u32_e64 s[26:27], s70, v3
	s_and_saveexec_b64 s[30:31], s[26:27]
	s_cbranch_execz .LBB86_69
; %bb.68:
	v_lshlrev_b32_e32 v5, 2, v0
	v_sub_u32_e32 v3, v32, v5
	ds_read_b32 v6, v3 offset:3072
	v_mov_b32_e32 v7, s59
	s_waitcnt lgkmcnt(0)
	v_lshrrev_b32_e32 v3, s68, v6
	v_and_b32_e32 v3, s74, v3
	v_lshlrev_b32_e32 v3, 3, v3
	ds_read_b64 v[3:4], v3
	v_xor_b32_e32 v6, 0x7fffffff, v6
	s_waitcnt lgkmcnt(0)
	v_lshlrev_b64 v[3:4], 2, v[3:4]
	v_add_co_u32_e64 v3, s[28:29], s58, v3
	v_addc_co_u32_e64 v4, s[28:29], v7, v4, s[28:29]
	v_add_co_u32_e64 v3, s[28:29], v3, v5
	v_addc_co_u32_e64 v4, s[28:29], 0, v4, s[28:29]
	global_store_dword v[3:4], v6, off offset:1024
.LBB86_69:
	s_or_b64 exec, exec, s[30:31]
	v_or_b32_e32 v45, 0x200, v0
	v_cmp_gt_u32_e64 s[28:29], s70, v45
	s_and_saveexec_b64 s[34:35], s[28:29]
	s_cbranch_execz .LBB86_71
; %bb.70:
	v_lshlrev_b32_e32 v5, 2, v0
	v_sub_u32_e32 v3, v32, v5
	ds_read_b32 v6, v3 offset:4096
	v_mov_b32_e32 v7, s59
	s_waitcnt lgkmcnt(0)
	v_lshrrev_b32_e32 v3, s68, v6
	v_and_b32_e32 v3, s74, v3
	v_lshlrev_b32_e32 v3, 3, v3
	ds_read_b64 v[3:4], v3
	v_xor_b32_e32 v6, 0x7fffffff, v6
	s_waitcnt lgkmcnt(0)
	v_lshlrev_b64 v[3:4], 2, v[3:4]
	v_add_co_u32_e64 v3, s[30:31], s58, v3
	v_addc_co_u32_e64 v4, s[30:31], v7, v4, s[30:31]
	v_add_co_u32_e64 v3, s[30:31], v3, v5
	v_addc_co_u32_e64 v4, s[30:31], 0, v4, s[30:31]
	global_store_dword v[3:4], v6, off offset:2048
.LBB86_71:
	;; [unrolled: 24-line block ×3, first 2 shown]
	s_or_b64 exec, exec, s[36:37]
	v_or_b32_e32 v47, 0x400, v0
	v_cmp_gt_u32_e64 s[34:35], s70, v47
	s_and_saveexec_b64 s[38:39], s[34:35]
	s_cbranch_execz .LBB86_75
; %bb.74:
	v_lshlrev_b32_e32 v3, 2, v0
	v_sub_u32_e32 v3, v32, v3
	ds_read_b32 v5, v3 offset:6144
	v_mov_b32_e32 v6, s59
	v_lshlrev_b32_e32 v7, 2, v47
	s_waitcnt lgkmcnt(0)
	v_lshrrev_b32_e32 v3, s68, v5
	v_and_b32_e32 v3, s74, v3
	v_lshlrev_b32_e32 v3, 3, v3
	ds_read_b64 v[3:4], v3
	v_xor_b32_e32 v5, 0x7fffffff, v5
	s_waitcnt lgkmcnt(0)
	v_lshlrev_b64 v[3:4], 2, v[3:4]
	v_add_co_u32_e64 v3, s[36:37], s58, v3
	v_addc_co_u32_e64 v4, s[36:37], v6, v4, s[36:37]
	v_add_co_u32_e64 v3, s[36:37], v3, v7
	v_addc_co_u32_e64 v4, s[36:37], 0, v4, s[36:37]
	global_store_dword v[3:4], v5, off
.LBB86_75:
	s_or_b64 exec, exec, s[38:39]
	v_or_b32_e32 v48, 0x500, v0
	v_cmp_gt_u32_e64 s[36:37], s70, v48
	s_and_saveexec_b64 s[40:41], s[36:37]
	s_cbranch_execz .LBB86_77
; %bb.76:
	v_lshlrev_b32_e32 v3, 2, v0
	v_sub_u32_e32 v3, v32, v3
	ds_read_b32 v5, v3 offset:7168
	v_mov_b32_e32 v6, s59
	v_lshlrev_b32_e32 v7, 2, v48
	s_waitcnt lgkmcnt(0)
	v_lshrrev_b32_e32 v3, s68, v5
	v_and_b32_e32 v3, s74, v3
	v_lshlrev_b32_e32 v3, 3, v3
	ds_read_b64 v[3:4], v3
	v_xor_b32_e32 v5, 0x7fffffff, v5
	s_waitcnt lgkmcnt(0)
	v_lshlrev_b64 v[3:4], 2, v[3:4]
	v_add_co_u32_e64 v3, s[38:39], s58, v3
	v_addc_co_u32_e64 v4, s[38:39], v6, v4, s[38:39]
	v_add_co_u32_e64 v3, s[38:39], v3, v7
	v_addc_co_u32_e64 v4, s[38:39], 0, v4, s[38:39]
	global_store_dword v[3:4], v5, off
.LBB86_77:
	;; [unrolled: 25-line block ×3, first 2 shown]
	s_or_b64 exec, exec, s[42:43]
	v_or_b32_e32 v50, 0x700, v0
	v_cmp_gt_u32_e64 s[40:41], s70, v50
	s_and_saveexec_b64 s[44:45], s[40:41]
	s_cbranch_execz .LBB86_81
; %bb.80:
	v_lshlrev_b32_e32 v3, 2, v0
	ds_read_b32 v5, v3 offset:9216
	v_mov_b32_e32 v6, s59
	v_lshlrev_b32_e32 v7, 2, v50
	s_waitcnt lgkmcnt(0)
	v_lshrrev_b32_e32 v3, s68, v5
	v_and_b32_e32 v3, s74, v3
	v_lshlrev_b32_e32 v3, 3, v3
	ds_read_b64 v[3:4], v3
	v_xor_b32_e32 v5, 0x7fffffff, v5
	s_waitcnt lgkmcnt(0)
	v_lshlrev_b64 v[3:4], 2, v[3:4]
	v_add_co_u32_e64 v3, s[42:43], s58, v3
	v_addc_co_u32_e64 v4, s[42:43], v6, v4, s[42:43]
	v_add_co_u32_e64 v3, s[42:43], v3, v7
	v_addc_co_u32_e64 v4, s[42:43], 0, v4, s[42:43]
	global_store_dword v[3:4], v5, off
.LBB86_81:
	s_or_b64 exec, exec, s[44:45]
	v_or_b32_e32 v51, 0x800, v0
	v_cmp_gt_u32_e64 s[42:43], s70, v51
	s_and_saveexec_b64 s[46:47], s[42:43]
	s_cbranch_execz .LBB86_83
; %bb.82:
	v_lshlrev_b32_e32 v3, 2, v0
	ds_read_b32 v5, v3 offset:10240
	v_mov_b32_e32 v6, s59
	v_lshlrev_b32_e32 v7, 2, v51
	s_waitcnt lgkmcnt(0)
	v_lshrrev_b32_e32 v3, s68, v5
	v_and_b32_e32 v3, s74, v3
	v_lshlrev_b32_e32 v3, 3, v3
	ds_read_b64 v[3:4], v3
	v_xor_b32_e32 v5, 0x7fffffff, v5
	s_waitcnt lgkmcnt(0)
	v_lshlrev_b64 v[3:4], 2, v[3:4]
	v_add_co_u32_e64 v3, s[44:45], s58, v3
	v_addc_co_u32_e64 v4, s[44:45], v6, v4, s[44:45]
	v_add_co_u32_e64 v3, s[44:45], v3, v7
	v_addc_co_u32_e64 v4, s[44:45], 0, v4, s[44:45]
	global_store_dword v[3:4], v5, off
.LBB86_83:
	;; [unrolled: 24-line block ×5, first 2 shown]
	s_or_b64 exec, exec, s[70:71]
	s_lshl_b64 s[52:53], s[54:55], 3
	s_add_u32 s52, s60, s52
	s_addc_u32 s53, s61, s53
	v_lshlrev_b32_e32 v3, 3, v10
	v_mov_b32_e32 v4, s53
	v_add_co_u32_e64 v3, s[52:53], s52, v3
	v_addc_co_u32_e64 v4, s[52:53], 0, v4, s[52:53]
	v_lshlrev_b32_e32 v5, 3, v9
	v_add_co_u32_e64 v27, s[52:53], v3, v5
	v_addc_co_u32_e64 v28, s[52:53], 0, v4, s[52:53]
                                        ; implicit-def: $vgpr3_vgpr4
	s_and_saveexec_b64 s[52:53], vcc
	s_xor_b64 s[52:53], exec, s[52:53]
	s_cbranch_execz .LBB86_101
; %bb.90:
	global_load_dwordx2 v[3:4], v[27:28], off
	s_or_b64 exec, exec, s[52:53]
                                        ; implicit-def: $vgpr5_vgpr6
	s_and_saveexec_b64 s[52:53], s[0:1]
	s_cbranch_execnz .LBB86_102
.LBB86_91:
	s_or_b64 exec, exec, s[52:53]
                                        ; implicit-def: $vgpr7_vgpr8
	s_and_saveexec_b64 s[0:1], s[2:3]
	s_cbranch_execz .LBB86_103
.LBB86_92:
	global_load_dwordx2 v[7:8], v[27:28], off offset:1024
	s_or_b64 exec, exec, s[0:1]
                                        ; implicit-def: $vgpr9_vgpr10
	s_and_saveexec_b64 s[0:1], s[50:51]
	s_cbranch_execnz .LBB86_104
.LBB86_93:
	s_or_b64 exec, exec, s[0:1]
                                        ; implicit-def: $vgpr11_vgpr12
	s_and_saveexec_b64 s[0:1], s[8:9]
	s_cbranch_execz .LBB86_105
.LBB86_94:
	global_load_dwordx2 v[11:12], v[27:28], off offset:2048
	s_or_b64 exec, exec, s[0:1]
                                        ; implicit-def: $vgpr13_vgpr14
	s_and_saveexec_b64 s[0:1], s[10:11]
	s_cbranch_execnz .LBB86_106
.LBB86_95:
	s_or_b64 exec, exec, s[0:1]
                                        ; implicit-def: $vgpr15_vgpr16
	s_and_saveexec_b64 s[0:1], s[12:13]
	s_cbranch_execz .LBB86_107
.LBB86_96:
	global_load_dwordx2 v[15:16], v[27:28], off offset:3072
	s_or_b64 exec, exec, s[0:1]
                                        ; implicit-def: $vgpr17_vgpr18
	s_and_saveexec_b64 s[0:1], s[18:19]
	s_cbranch_execnz .LBB86_108
.LBB86_97:
	s_or_b64 exec, exec, s[0:1]
                                        ; implicit-def: $vgpr19_vgpr20
	s_and_saveexec_b64 s[0:1], s[22:23]
	s_cbranch_execz .LBB86_109
.LBB86_98:
	v_add_co_u32_e32 v19, vcc, 0x1000, v27
	v_addc_co_u32_e32 v20, vcc, 0, v28, vcc
	global_load_dwordx2 v[19:20], v[19:20], off
	s_or_b64 exec, exec, s[0:1]
                                        ; implicit-def: $vgpr21_vgpr22
	s_and_saveexec_b64 s[0:1], s[20:21]
	s_cbranch_execnz .LBB86_110
.LBB86_99:
	s_or_b64 exec, exec, s[0:1]
                                        ; implicit-def: $vgpr23_vgpr24
	s_and_saveexec_b64 s[0:1], s[16:17]
	s_cbranch_execz .LBB86_111
.LBB86_100:
	v_add_co_u32_e32 v23, vcc, 0x1000, v27
	v_addc_co_u32_e32 v24, vcc, 0, v28, vcc
	global_load_dwordx2 v[23:24], v[23:24], off offset:1024
	s_or_b64 exec, exec, s[0:1]
                                        ; implicit-def: $vgpr25_vgpr26
	s_and_saveexec_b64 s[0:1], s[14:15]
	s_cbranch_execnz .LBB86_112
	s_branch .LBB86_113
.LBB86_101:
	s_or_b64 exec, exec, s[52:53]
                                        ; implicit-def: $vgpr5_vgpr6
	s_and_saveexec_b64 s[52:53], s[0:1]
	s_cbranch_execz .LBB86_91
.LBB86_102:
	global_load_dwordx2 v[5:6], v[27:28], off offset:512
	s_or_b64 exec, exec, s[52:53]
                                        ; implicit-def: $vgpr7_vgpr8
	s_and_saveexec_b64 s[0:1], s[2:3]
	s_cbranch_execnz .LBB86_92
.LBB86_103:
	s_or_b64 exec, exec, s[0:1]
                                        ; implicit-def: $vgpr9_vgpr10
	s_and_saveexec_b64 s[0:1], s[50:51]
	s_cbranch_execz .LBB86_93
.LBB86_104:
	global_load_dwordx2 v[9:10], v[27:28], off offset:1536
	s_or_b64 exec, exec, s[0:1]
                                        ; implicit-def: $vgpr11_vgpr12
	s_and_saveexec_b64 s[0:1], s[8:9]
	s_cbranch_execnz .LBB86_94
.LBB86_105:
	s_or_b64 exec, exec, s[0:1]
                                        ; implicit-def: $vgpr13_vgpr14
	s_and_saveexec_b64 s[0:1], s[10:11]
	s_cbranch_execz .LBB86_95
.LBB86_106:
	global_load_dwordx2 v[13:14], v[27:28], off offset:2560
	s_or_b64 exec, exec, s[0:1]
                                        ; implicit-def: $vgpr15_vgpr16
	s_and_saveexec_b64 s[0:1], s[12:13]
	s_cbranch_execnz .LBB86_96
.LBB86_107:
	s_or_b64 exec, exec, s[0:1]
                                        ; implicit-def: $vgpr17_vgpr18
	s_and_saveexec_b64 s[0:1], s[18:19]
	s_cbranch_execz .LBB86_97
.LBB86_108:
	global_load_dwordx2 v[17:18], v[27:28], off offset:3584
	s_or_b64 exec, exec, s[0:1]
                                        ; implicit-def: $vgpr19_vgpr20
	s_and_saveexec_b64 s[0:1], s[22:23]
	s_cbranch_execnz .LBB86_98
.LBB86_109:
	s_or_b64 exec, exec, s[0:1]
                                        ; implicit-def: $vgpr21_vgpr22
	s_and_saveexec_b64 s[0:1], s[20:21]
	s_cbranch_execz .LBB86_99
.LBB86_110:
	v_add_co_u32_e32 v21, vcc, 0x1000, v27
	v_addc_co_u32_e32 v22, vcc, 0, v28, vcc
	global_load_dwordx2 v[21:22], v[21:22], off offset:512
	s_or_b64 exec, exec, s[0:1]
                                        ; implicit-def: $vgpr23_vgpr24
	s_and_saveexec_b64 s[0:1], s[16:17]
	s_cbranch_execnz .LBB86_100
.LBB86_111:
	s_or_b64 exec, exec, s[0:1]
                                        ; implicit-def: $vgpr25_vgpr26
	s_and_saveexec_b64 s[0:1], s[14:15]
	s_cbranch_execz .LBB86_113
.LBB86_112:
	v_add_co_u32_e32 v25, vcc, 0x1000, v27
	v_addc_co_u32_e32 v26, vcc, 0, v28, vcc
	global_load_dwordx2 v[25:26], v[25:26], off offset:1536
.LBB86_113:
	s_or_b64 exec, exec, s[0:1]
	v_mov_b32_e32 v62, 0
	v_mov_b32_e32 v64, 0
	s_and_saveexec_b64 s[0:1], s[24:25]
	s_cbranch_execz .LBB86_115
; %bb.114:
	v_lshlrev_b32_e32 v27, 2, v0
	ds_read_b32 v27, v27 offset:2048
	s_waitcnt lgkmcnt(0)
	v_lshrrev_b32_e32 v27, s68, v27
	v_and_b32_e32 v64, s74, v27
.LBB86_115:
	s_or_b64 exec, exec, s[0:1]
	s_and_saveexec_b64 s[0:1], s[26:27]
	s_cbranch_execz .LBB86_117
; %bb.116:
	v_lshlrev_b32_e32 v27, 2, v0
	ds_read_b32 v27, v27 offset:3072
	s_waitcnt lgkmcnt(0)
	v_lshrrev_b32_e32 v27, s68, v27
	v_and_b32_e32 v62, s74, v27
.LBB86_117:
	s_or_b64 exec, exec, s[0:1]
	v_mov_b32_e32 v60, 0
	v_mov_b32_e32 v63, 0
	s_and_saveexec_b64 s[0:1], s[28:29]
	s_cbranch_execz .LBB86_119
; %bb.118:
	v_lshlrev_b32_e32 v27, 2, v0
	ds_read_b32 v27, v27 offset:4096
	s_waitcnt lgkmcnt(0)
	v_lshrrev_b32_e32 v27, s68, v27
	v_and_b32_e32 v63, s74, v27
.LBB86_119:
	s_or_b64 exec, exec, s[0:1]
	s_and_saveexec_b64 s[0:1], s[30:31]
	s_cbranch_execz .LBB86_121
; %bb.120:
	v_lshlrev_b32_e32 v27, 2, v0
	ds_read_b32 v27, v27 offset:5120
	s_waitcnt lgkmcnt(0)
	v_lshrrev_b32_e32 v27, s68, v27
	v_and_b32_e32 v60, s74, v27
.LBB86_121:
	s_or_b64 exec, exec, s[0:1]
	v_mov_b32_e32 v58, 0
	v_mov_b32_e32 v61, 0
	s_and_saveexec_b64 s[0:1], s[34:35]
	s_cbranch_execz .LBB86_123
; %bb.122:
	v_lshlrev_b32_e32 v27, 2, v0
	ds_read_b32 v27, v27 offset:6144
	s_waitcnt lgkmcnt(0)
	v_lshrrev_b32_e32 v27, s68, v27
	v_and_b32_e32 v61, s74, v27
.LBB86_123:
	s_or_b64 exec, exec, s[0:1]
	s_and_saveexec_b64 s[0:1], s[36:37]
	s_cbranch_execz .LBB86_125
; %bb.124:
	v_lshlrev_b32_e32 v27, 2, v0
	ds_read_b32 v27, v27 offset:7168
	s_waitcnt lgkmcnt(0)
	v_lshrrev_b32_e32 v27, s68, v27
	v_and_b32_e32 v58, s74, v27
.LBB86_125:
	s_or_b64 exec, exec, s[0:1]
	v_mov_b32_e32 v56, 0
	v_mov_b32_e32 v59, 0
	s_and_saveexec_b64 s[0:1], s[38:39]
	s_cbranch_execz .LBB86_127
; %bb.126:
	v_lshlrev_b32_e32 v27, 2, v0
	ds_read_b32 v27, v27 offset:8192
	s_waitcnt lgkmcnt(0)
	v_lshrrev_b32_e32 v27, s68, v27
	v_and_b32_e32 v59, s74, v27
.LBB86_127:
	s_or_b64 exec, exec, s[0:1]
	s_and_saveexec_b64 s[0:1], s[40:41]
	s_cbranch_execz .LBB86_129
; %bb.128:
	v_lshlrev_b32_e32 v27, 2, v0
	ds_read_b32 v27, v27 offset:9216
	s_waitcnt lgkmcnt(0)
	v_lshrrev_b32_e32 v27, s68, v27
	v_and_b32_e32 v56, s74, v27
.LBB86_129:
	s_or_b64 exec, exec, s[0:1]
	v_mov_b32_e32 v28, 0
	v_mov_b32_e32 v57, 0
	s_and_saveexec_b64 s[0:1], s[42:43]
	s_cbranch_execz .LBB86_131
; %bb.130:
	v_lshlrev_b32_e32 v27, 2, v0
	ds_read_b32 v27, v27 offset:10240
	s_waitcnt lgkmcnt(0)
	v_lshrrev_b32_e32 v27, s68, v27
	v_and_b32_e32 v57, s74, v27
.LBB86_131:
	s_or_b64 exec, exec, s[0:1]
	s_and_saveexec_b64 s[0:1], s[44:45]
	s_cbranch_execz .LBB86_133
; %bb.132:
	v_lshlrev_b32_e32 v27, 2, v0
	ds_read_b32 v27, v27 offset:11264
	s_waitcnt lgkmcnt(0)
	v_lshrrev_b32_e32 v27, s68, v27
	v_and_b32_e32 v28, s74, v27
.LBB86_133:
	s_or_b64 exec, exec, s[0:1]
	v_mov_b32_e32 v27, 0
	v_mov_b32_e32 v55, 0
	s_and_saveexec_b64 s[0:1], s[46:47]
	s_cbranch_execz .LBB86_135
; %bb.134:
	v_lshlrev_b32_e32 v55, 2, v0
	ds_read_b32 v55, v55 offset:12288
	s_waitcnt lgkmcnt(0)
	v_lshrrev_b32_e32 v55, s68, v55
	v_and_b32_e32 v55, s74, v55
.LBB86_135:
	s_or_b64 exec, exec, s[0:1]
	s_and_saveexec_b64 s[0:1], s[48:49]
	s_cbranch_execz .LBB86_137
; %bb.136:
	v_lshlrev_b32_e32 v27, 2, v0
	ds_read_b32 v27, v27 offset:13312
	s_waitcnt lgkmcnt(0)
	v_lshrrev_b32_e32 v27, s68, v27
	v_and_b32_e32 v27, s74, v27
.LBB86_137:
	s_or_b64 exec, exec, s[0:1]
	v_lshlrev_b32_e32 v44, 3, v44
	s_waitcnt vmcnt(0)
	s_barrier
	ds_write_b64 v44, v[3:4] offset:2048
	v_lshlrev_b32_e32 v3, 3, v43
	ds_write_b64 v3, v[5:6] offset:2048
	v_lshlrev_b32_e32 v3, 3, v42
	;; [unrolled: 2-line block ×11, first 2 shown]
	ds_write_b64 v3, v[25:26] offset:2048
	s_waitcnt lgkmcnt(0)
	s_barrier
	s_and_saveexec_b64 s[0:1], s[24:25]
	s_cbranch_execz .LBB86_196
; %bb.138:
	v_lshlrev_b32_e32 v3, 3, v64
	ds_read_b64 v[3:4], v3
	ds_read_b64 v[5:6], v32 offset:2048
	v_mov_b32_e32 v7, s63
	s_waitcnt lgkmcnt(1)
	v_lshlrev_b64 v[3:4], 3, v[3:4]
	v_add_co_u32_e32 v3, vcc, s62, v3
	v_addc_co_u32_e32 v4, vcc, v7, v4, vcc
	v_add_co_u32_e32 v3, vcc, v3, v32
	v_addc_co_u32_e32 v4, vcc, 0, v4, vcc
	s_waitcnt lgkmcnt(0)
	global_store_dwordx2 v[3:4], v[5:6], off
	s_or_b64 exec, exec, s[0:1]
	s_and_saveexec_b64 s[0:1], s[26:27]
	s_cbranch_execnz .LBB86_197
.LBB86_139:
	s_or_b64 exec, exec, s[0:1]
	s_and_saveexec_b64 s[0:1], s[28:29]
	s_cbranch_execz .LBB86_198
.LBB86_140:
	v_lshlrev_b32_e32 v3, 3, v63
	ds_read_b64 v[3:4], v3
	ds_read_b64 v[5:6], v32 offset:6144
	v_mov_b32_e32 v7, s63
	s_waitcnt lgkmcnt(1)
	v_lshlrev_b64 v[3:4], 3, v[3:4]
	v_add_co_u32_e32 v3, vcc, s62, v3
	v_addc_co_u32_e32 v4, vcc, v7, v4, vcc
	v_lshlrev_b32_e32 v7, 3, v45
	v_add_co_u32_e32 v3, vcc, v3, v7
	v_addc_co_u32_e32 v4, vcc, 0, v4, vcc
	s_waitcnt lgkmcnt(0)
	global_store_dwordx2 v[3:4], v[5:6], off
	s_or_b64 exec, exec, s[0:1]
	s_and_saveexec_b64 s[0:1], s[30:31]
	s_cbranch_execnz .LBB86_199
.LBB86_141:
	s_or_b64 exec, exec, s[0:1]
	s_and_saveexec_b64 s[0:1], s[34:35]
	s_cbranch_execz .LBB86_200
.LBB86_142:
	v_lshlrev_b32_e32 v3, 3, v61
	ds_read_b64 v[3:4], v3
	ds_read_b64 v[5:6], v32 offset:10240
	v_mov_b32_e32 v7, s63
	s_waitcnt lgkmcnt(1)
	v_lshlrev_b64 v[3:4], 3, v[3:4]
	v_add_co_u32_e32 v3, vcc, s62, v3
	v_addc_co_u32_e32 v4, vcc, v7, v4, vcc
	v_lshlrev_b32_e32 v7, 3, v47
	v_add_co_u32_e32 v3, vcc, v3, v7
	v_addc_co_u32_e32 v4, vcc, 0, v4, vcc
	s_waitcnt lgkmcnt(0)
	global_store_dwordx2 v[3:4], v[5:6], off
	s_or_b64 exec, exec, s[0:1]
	s_and_saveexec_b64 s[0:1], s[36:37]
	s_cbranch_execnz .LBB86_201
.LBB86_143:
	s_or_b64 exec, exec, s[0:1]
	s_and_saveexec_b64 s[0:1], s[38:39]
	s_cbranch_execz .LBB86_202
.LBB86_144:
	v_lshlrev_b32_e32 v3, 3, v59
	ds_read_b64 v[3:4], v3
	ds_read_b64 v[5:6], v32 offset:14336
	v_mov_b32_e32 v7, s63
	s_waitcnt lgkmcnt(1)
	v_lshlrev_b64 v[3:4], 3, v[3:4]
	v_add_co_u32_e32 v3, vcc, s62, v3
	v_addc_co_u32_e32 v4, vcc, v7, v4, vcc
	v_lshlrev_b32_e32 v7, 3, v49
	v_add_co_u32_e32 v3, vcc, v3, v7
	v_addc_co_u32_e32 v4, vcc, 0, v4, vcc
	s_waitcnt lgkmcnt(0)
	global_store_dwordx2 v[3:4], v[5:6], off
	s_or_b64 exec, exec, s[0:1]
	s_and_saveexec_b64 s[0:1], s[40:41]
	s_cbranch_execnz .LBB86_203
.LBB86_145:
	s_or_b64 exec, exec, s[0:1]
	s_and_saveexec_b64 s[0:1], s[42:43]
	s_cbranch_execz .LBB86_204
.LBB86_146:
	v_lshlrev_b32_e32 v3, 3, v57
	ds_read_b64 v[3:4], v3
	ds_read_b64 v[5:6], v32 offset:18432
	v_mov_b32_e32 v7, s63
	s_waitcnt lgkmcnt(1)
	v_lshlrev_b64 v[3:4], 3, v[3:4]
	v_add_co_u32_e32 v3, vcc, s62, v3
	v_addc_co_u32_e32 v4, vcc, v7, v4, vcc
	v_lshlrev_b32_e32 v7, 3, v51
	v_add_co_u32_e32 v3, vcc, v3, v7
	v_addc_co_u32_e32 v4, vcc, 0, v4, vcc
	s_waitcnt lgkmcnt(0)
	global_store_dwordx2 v[3:4], v[5:6], off
	s_or_b64 exec, exec, s[0:1]
	s_and_saveexec_b64 s[0:1], s[44:45]
	s_cbranch_execnz .LBB86_205
.LBB86_147:
	s_or_b64 exec, exec, s[0:1]
	s_and_saveexec_b64 s[0:1], s[46:47]
	s_cbranch_execz .LBB86_206
.LBB86_148:
	v_lshlrev_b32_e32 v3, 3, v55
	ds_read_b64 v[3:4], v3
	ds_read_b64 v[5:6], v32 offset:22528
	v_mov_b32_e32 v7, s63
	s_waitcnt lgkmcnt(1)
	v_lshlrev_b64 v[3:4], 3, v[3:4]
	v_add_co_u32_e32 v3, vcc, s62, v3
	v_addc_co_u32_e32 v4, vcc, v7, v4, vcc
	v_lshlrev_b32_e32 v7, 3, v53
	v_add_co_u32_e32 v3, vcc, v3, v7
	v_addc_co_u32_e32 v4, vcc, 0, v4, vcc
	s_waitcnt lgkmcnt(0)
	global_store_dwordx2 v[3:4], v[5:6], off
	s_or_b64 exec, exec, s[0:1]
	s_and_saveexec_b64 s[0:1], s[48:49]
	s_cbranch_execnz .LBB86_207
.LBB86_149:
	s_or_b64 exec, exec, s[0:1]
	s_add_i32 s33, s33, -1
	s_cmp_eq_u32 s6, s33
	s_cbranch_scc0 .LBB86_151
.LBB86_150:
	ds_read_b64 v[3:4], v32
	v_add_co_u32_e32 v5, vcc, v31, v30
	v_addc_co_u32_e64 v6, s[0:1], 0, 0, vcc
	s_waitcnt lgkmcnt(0)
	v_add_co_u32_e32 v3, vcc, v5, v3
	v_addc_co_u32_e32 v4, vcc, v6, v4, vcc
	global_store_dwordx2 v32, v[3:4], s[66:67]
.LBB86_151:
	s_mov_b64 s[0:1], 0
.LBB86_152:
	s_and_b64 vcc, exec, s[0:1]
	s_cbranch_vccz .LBB86_195
; %bb.153:
	s_mov_b32 s55, 0
	s_lshl_b64 s[0:1], s[54:55], 2
	v_mbcnt_hi_u32_b32 v8, -1, v29
	s_add_u32 s0, s56, s0
	v_lshlrev_b32_e32 v4, 2, v8
	v_add_co_u32_e32 v4, vcc, s0, v4
	s_load_dword s8, s[4:5], 0x50
	s_load_dword s0, s[4:5], 0x5c
	s_addc_u32 s1, s57, s1
	v_and_b32_e32 v9, 0xc0, v0
	v_mul_u32_u24_e32 v7, 12, v9
	v_mov_b32_e32 v5, s1
	v_addc_co_u32_e32 v5, vcc, 0, v5, vcc
	v_lshlrev_b32_e32 v6, 2, v7
	v_add_co_u32_e32 v4, vcc, v4, v6
	s_add_u32 s1, s4, 0x50
	v_addc_co_u32_e32 v5, vcc, 0, v5, vcc
	s_addc_u32 s2, s5, 0
	s_waitcnt lgkmcnt(0)
	s_lshr_b32 s3, s0, 16
	global_load_dword v10, v[4:5], off
	s_cmp_lt_u32 s6, s8
	s_cselect_b32 s0, 12, 18
	s_add_u32 s0, s1, s0
	v_mov_b32_e32 v3, 0
	s_addc_u32 s1, s2, 0
	global_load_ushort v12, v3, s[0:1]
	v_mul_u32_u24_e32 v6, 20, v0
	ds_write2_b32 v6, v3, v3 offset0:4 offset1:5
	ds_write2_b32 v6, v3, v3 offset0:6 offset1:7
	ds_write_b32 v6, v3 offset:32
	global_load_dword v11, v[4:5], off offset:256
	global_load_dword v15, v[4:5], off offset:512
	;; [unrolled: 1-line block ×11, first 2 shown]
	s_lshl_b32 s0, -1, s69
	v_mad_u32_u24 v1, v2, s3, v1
	s_not_b32 s9, s0
	s_waitcnt vmcnt(0) lgkmcnt(0)
	s_barrier
	; wave barrier
	v_xor_b32_e32 v5, 0x7fffffff, v10
	v_lshrrev_b32_e32 v2, s68, v5
	v_and_b32_e32 v13, s9, v2
	v_and_b32_e32 v10, 1, v13
	v_lshlrev_b32_e32 v4, 30, v13
	v_mad_u64_u32 v[1:2], s[0:1], v1, v12, v[0:1]
	v_add_co_u32_e32 v12, vcc, -1, v10
	v_addc_co_u32_e64 v14, s[0:1], 0, -1, vcc
	v_mul_lo_u32 v2, v13, 20
	v_cmp_ne_u32_e32 vcc, 0, v10
	v_cmp_gt_i64_e64 s[0:1], 0, v[3:4]
	v_not_b32_e32 v10, v4
	v_lshlrev_b32_e32 v4, 29, v13
	v_xor_b32_e32 v14, vcc_hi, v14
	v_xor_b32_e32 v12, vcc_lo, v12
	v_ashrrev_i32_e32 v10, 31, v10
	v_cmp_gt_i64_e32 vcc, 0, v[3:4]
	v_not_b32_e32 v16, v4
	v_lshlrev_b32_e32 v4, 28, v13
	v_and_b32_e32 v14, exec_hi, v14
	v_and_b32_e32 v12, exec_lo, v12
	v_xor_b32_e32 v18, s1, v10
	v_xor_b32_e32 v10, s0, v10
	v_ashrrev_i32_e32 v16, 31, v16
	v_cmp_gt_i64_e64 s[0:1], 0, v[3:4]
	v_not_b32_e32 v19, v4
	v_lshlrev_b32_e32 v4, 27, v13
	v_lshrrev_b32_e32 v20, 6, v1
	v_and_b32_e32 v1, v14, v18
	v_and_b32_e32 v12, v12, v10
	v_xor_b32_e32 v14, vcc_hi, v16
	v_xor_b32_e32 v16, vcc_lo, v16
	v_ashrrev_i32_e32 v18, 31, v19
	v_cmp_gt_i64_e32 vcc, 0, v[3:4]
	v_not_b32_e32 v4, v4
	v_lshl_add_u32 v10, v20, 2, v2
	v_and_b32_e32 v1, v1, v14
	v_and_b32_e32 v2, v12, v16
	v_xor_b32_e32 v12, s1, v18
	v_xor_b32_e32 v14, s0, v18
	v_ashrrev_i32_e32 v4, 31, v4
	v_and_b32_e32 v1, v1, v12
	v_and_b32_e32 v2, v2, v14
	v_xor_b32_e32 v12, vcc_hi, v4
	v_xor_b32_e32 v4, vcc_lo, v4
	v_and_b32_e32 v2, v2, v4
	v_lshlrev_b32_e32 v4, 26, v13
	v_cmp_gt_i64_e32 vcc, 0, v[3:4]
	v_not_b32_e32 v4, v4
	v_ashrrev_i32_e32 v4, 31, v4
	v_and_b32_e32 v1, v1, v12
	v_xor_b32_e32 v12, vcc_hi, v4
	v_xor_b32_e32 v4, vcc_lo, v4
	v_and_b32_e32 v2, v2, v4
	v_lshlrev_b32_e32 v4, 25, v13
	v_cmp_gt_i64_e32 vcc, 0, v[3:4]
	v_not_b32_e32 v4, v4
	v_ashrrev_i32_e32 v4, 31, v4
	v_and_b32_e32 v1, v1, v12
	v_xor_b32_e32 v12, vcc_hi, v4
	v_xor_b32_e32 v4, vcc_lo, v4
	v_and_b32_e32 v1, v1, v12
	v_and_b32_e32 v12, v2, v4
	v_lshlrev_b32_e32 v4, 24, v13
	v_cmp_gt_i64_e32 vcc, 0, v[3:4]
	v_not_b32_e32 v2, v4
	v_ashrrev_i32_e32 v2, 31, v2
	v_xor_b32_e32 v4, vcc_hi, v2
	v_xor_b32_e32 v13, vcc_lo, v2
	v_and_b32_e32 v2, v1, v4
	v_and_b32_e32 v1, v12, v13
	v_mbcnt_lo_u32_b32 v4, v1, 0
	v_mbcnt_hi_u32_b32 v12, v2, v4
	v_cmp_ne_u64_e32 vcc, 0, v[1:2]
	v_cmp_eq_u32_e64 s[0:1], 0, v12
	s_and_b64 s[2:3], vcc, s[0:1]
	s_and_saveexec_b64 s[0:1], s[2:3]
; %bb.154:
	v_bcnt_u32_b32 v1, v1, 0
	v_bcnt_u32_b32 v1, v2, v1
	ds_write_b32 v10, v1 offset:16
; %bb.155:
	s_or_b64 exec, exec, s[0:1]
	v_xor_b32_e32 v11, 0x7fffffff, v11
	v_lshrrev_b32_e32 v1, s68, v11
	v_and_b32_e32 v1, s9, v1
	v_mul_lo_u32 v2, v1, 20
	v_and_b32_e32 v4, 1, v1
	; wave barrier
	v_lshl_add_u32 v14, v20, 2, v2
	v_add_co_u32_e32 v2, vcc, -1, v4
	v_addc_co_u32_e64 v16, s[0:1], 0, -1, vcc
	v_cmp_ne_u32_e32 vcc, 0, v4
	v_xor_b32_e32 v4, vcc_hi, v16
	v_and_b32_e32 v16, exec_hi, v4
	v_lshlrev_b32_e32 v4, 30, v1
	v_xor_b32_e32 v2, vcc_lo, v2
	v_cmp_gt_i64_e32 vcc, 0, v[3:4]
	v_not_b32_e32 v4, v4
	v_ashrrev_i32_e32 v4, 31, v4
	v_and_b32_e32 v2, exec_lo, v2
	v_xor_b32_e32 v18, vcc_hi, v4
	v_xor_b32_e32 v4, vcc_lo, v4
	v_and_b32_e32 v2, v2, v4
	v_lshlrev_b32_e32 v4, 29, v1
	v_cmp_gt_i64_e32 vcc, 0, v[3:4]
	v_not_b32_e32 v4, v4
	v_ashrrev_i32_e32 v4, 31, v4
	v_and_b32_e32 v16, v16, v18
	v_xor_b32_e32 v18, vcc_hi, v4
	v_xor_b32_e32 v4, vcc_lo, v4
	v_and_b32_e32 v2, v2, v4
	v_lshlrev_b32_e32 v4, 28, v1
	v_cmp_gt_i64_e32 vcc, 0, v[3:4]
	v_not_b32_e32 v4, v4
	v_ashrrev_i32_e32 v4, 31, v4
	v_and_b32_e32 v16, v16, v18
	;; [unrolled: 8-line block ×5, first 2 shown]
	v_xor_b32_e32 v18, vcc_hi, v4
	v_xor_b32_e32 v4, vcc_lo, v4
	v_and_b32_e32 v16, v16, v18
	v_and_b32_e32 v18, v2, v4
	v_lshlrev_b32_e32 v4, 24, v1
	v_cmp_gt_i64_e32 vcc, 0, v[3:4]
	v_not_b32_e32 v1, v4
	v_ashrrev_i32_e32 v1, 31, v1
	v_xor_b32_e32 v2, vcc_hi, v1
	v_xor_b32_e32 v1, vcc_lo, v1
	ds_read_b32 v13, v14 offset:16
	v_and_b32_e32 v1, v18, v1
	v_and_b32_e32 v2, v16, v2
	v_mbcnt_lo_u32_b32 v3, v1, 0
	v_mbcnt_hi_u32_b32 v16, v2, v3
	v_cmp_ne_u64_e32 vcc, 0, v[1:2]
	v_cmp_eq_u32_e64 s[0:1], 0, v16
	s_and_b64 s[2:3], vcc, s[0:1]
	; wave barrier
	s_and_saveexec_b64 s[0:1], s[2:3]
	s_cbranch_execz .LBB86_157
; %bb.156:
	v_bcnt_u32_b32 v1, v1, 0
	v_bcnt_u32_b32 v1, v2, v1
	s_waitcnt lgkmcnt(0)
	v_add_u32_e32 v1, v13, v1
	ds_write_b32 v14, v1 offset:16
.LBB86_157:
	s_or_b64 exec, exec, s[0:1]
	v_xor_b32_e32 v15, 0x7fffffff, v15
	v_lshrrev_b32_e32 v1, s68, v15
	v_and_b32_e32 v3, s9, v1
	v_mul_lo_u32 v1, v3, 20
	v_and_b32_e32 v2, 1, v3
	v_add_co_u32_e32 v4, vcc, -1, v2
	v_addc_co_u32_e64 v22, s[0:1], 0, -1, vcc
	v_cmp_ne_u32_e32 vcc, 0, v2
	v_xor_b32_e32 v2, vcc_hi, v22
	v_lshl_add_u32 v19, v20, 2, v1
	v_mov_b32_e32 v1, 0
	v_and_b32_e32 v22, exec_hi, v2
	v_lshlrev_b32_e32 v2, 30, v3
	v_xor_b32_e32 v4, vcc_lo, v4
	v_cmp_gt_i64_e32 vcc, 0, v[1:2]
	v_not_b32_e32 v2, v2
	v_ashrrev_i32_e32 v2, 31, v2
	v_and_b32_e32 v4, exec_lo, v4
	v_xor_b32_e32 v24, vcc_hi, v2
	v_xor_b32_e32 v2, vcc_lo, v2
	v_and_b32_e32 v4, v4, v2
	v_lshlrev_b32_e32 v2, 29, v3
	v_cmp_gt_i64_e32 vcc, 0, v[1:2]
	v_not_b32_e32 v2, v2
	v_ashrrev_i32_e32 v2, 31, v2
	v_and_b32_e32 v22, v22, v24
	v_xor_b32_e32 v24, vcc_hi, v2
	v_xor_b32_e32 v2, vcc_lo, v2
	v_and_b32_e32 v4, v4, v2
	v_lshlrev_b32_e32 v2, 28, v3
	v_cmp_gt_i64_e32 vcc, 0, v[1:2]
	v_not_b32_e32 v2, v2
	v_ashrrev_i32_e32 v2, 31, v2
	v_and_b32_e32 v22, v22, v24
	v_xor_b32_e32 v24, vcc_hi, v2
	v_xor_b32_e32 v2, vcc_lo, v2
	v_and_b32_e32 v4, v4, v2
	v_lshlrev_b32_e32 v2, 27, v3
	v_cmp_gt_i64_e32 vcc, 0, v[1:2]
	v_not_b32_e32 v2, v2
	v_ashrrev_i32_e32 v2, 31, v2
	v_and_b32_e32 v22, v22, v24
	v_xor_b32_e32 v24, vcc_hi, v2
	v_xor_b32_e32 v2, vcc_lo, v2
	v_and_b32_e32 v4, v4, v2
	v_lshlrev_b32_e32 v2, 26, v3
	v_cmp_gt_i64_e32 vcc, 0, v[1:2]
	v_not_b32_e32 v2, v2
	v_ashrrev_i32_e32 v2, 31, v2
	v_and_b32_e32 v22, v22, v24
	v_xor_b32_e32 v24, vcc_hi, v2
	v_xor_b32_e32 v2, vcc_lo, v2
	v_and_b32_e32 v4, v4, v2
	v_lshlrev_b32_e32 v2, 25, v3
	v_cmp_gt_i64_e32 vcc, 0, v[1:2]
	v_not_b32_e32 v2, v2
	v_ashrrev_i32_e32 v2, 31, v2
	v_and_b32_e32 v22, v22, v24
	v_xor_b32_e32 v24, vcc_hi, v2
	v_xor_b32_e32 v2, vcc_lo, v2
	v_and_b32_e32 v4, v4, v2
	v_lshlrev_b32_e32 v2, 24, v3
	v_cmp_gt_i64_e32 vcc, 0, v[1:2]
	v_not_b32_e32 v2, v2
	v_ashrrev_i32_e32 v2, 31, v2
	v_xor_b32_e32 v3, vcc_hi, v2
	v_xor_b32_e32 v2, vcc_lo, v2
	; wave barrier
	ds_read_b32 v18, v19 offset:16
	v_and_b32_e32 v22, v22, v24
	v_and_b32_e32 v2, v4, v2
	;; [unrolled: 1-line block ×3, first 2 shown]
	v_mbcnt_lo_u32_b32 v4, v2, 0
	v_mbcnt_hi_u32_b32 v22, v3, v4
	v_cmp_ne_u64_e32 vcc, 0, v[2:3]
	v_cmp_eq_u32_e64 s[0:1], 0, v22
	s_and_b64 s[2:3], vcc, s[0:1]
	; wave barrier
	s_and_saveexec_b64 s[0:1], s[2:3]
	s_cbranch_execz .LBB86_159
; %bb.158:
	v_bcnt_u32_b32 v2, v2, 0
	v_bcnt_u32_b32 v2, v3, v2
	s_waitcnt lgkmcnt(0)
	v_add_u32_e32 v2, v18, v2
	ds_write_b32 v19, v2 offset:16
.LBB86_159:
	s_or_b64 exec, exec, s[0:1]
	v_xor_b32_e32 v21, 0x7fffffff, v21
	v_lshrrev_b32_e32 v2, s68, v21
	v_and_b32_e32 v3, s9, v2
	v_mul_lo_u32 v2, v3, 20
	v_and_b32_e32 v4, 1, v3
	; wave barrier
	v_lshl_add_u32 v25, v20, 2, v2
	v_add_co_u32_e32 v2, vcc, -1, v4
	v_addc_co_u32_e64 v27, s[0:1], 0, -1, vcc
	v_cmp_ne_u32_e32 vcc, 0, v4
	v_xor_b32_e32 v2, vcc_lo, v2
	v_xor_b32_e32 v4, vcc_hi, v27
	v_and_b32_e32 v27, exec_lo, v2
	v_lshlrev_b32_e32 v2, 30, v3
	v_cmp_gt_i64_e32 vcc, 0, v[1:2]
	v_not_b32_e32 v2, v2
	v_ashrrev_i32_e32 v2, 31, v2
	v_xor_b32_e32 v29, vcc_hi, v2
	v_xor_b32_e32 v2, vcc_lo, v2
	v_and_b32_e32 v27, v27, v2
	v_lshlrev_b32_e32 v2, 29, v3
	v_cmp_gt_i64_e32 vcc, 0, v[1:2]
	v_not_b32_e32 v2, v2
	v_and_b32_e32 v4, exec_hi, v4
	v_ashrrev_i32_e32 v2, 31, v2
	v_and_b32_e32 v4, v4, v29
	v_xor_b32_e32 v29, vcc_hi, v2
	v_xor_b32_e32 v2, vcc_lo, v2
	v_and_b32_e32 v27, v27, v2
	v_lshlrev_b32_e32 v2, 28, v3
	v_cmp_gt_i64_e32 vcc, 0, v[1:2]
	v_not_b32_e32 v2, v2
	v_ashrrev_i32_e32 v2, 31, v2
	v_and_b32_e32 v4, v4, v29
	v_xor_b32_e32 v29, vcc_hi, v2
	v_xor_b32_e32 v2, vcc_lo, v2
	v_and_b32_e32 v27, v27, v2
	v_lshlrev_b32_e32 v2, 27, v3
	v_cmp_gt_i64_e32 vcc, 0, v[1:2]
	v_not_b32_e32 v2, v2
	;; [unrolled: 8-line block ×5, first 2 shown]
	v_ashrrev_i32_e32 v1, 31, v1
	v_xor_b32_e32 v2, vcc_hi, v1
	v_xor_b32_e32 v1, vcc_lo, v1
	ds_read_b32 v24, v25 offset:16
	v_and_b32_e32 v4, v4, v29
	v_and_b32_e32 v1, v27, v1
	;; [unrolled: 1-line block ×3, first 2 shown]
	v_mbcnt_lo_u32_b32 v3, v1, 0
	v_mbcnt_hi_u32_b32 v27, v2, v3
	v_cmp_ne_u64_e32 vcc, 0, v[1:2]
	v_cmp_eq_u32_e64 s[0:1], 0, v27
	s_and_b64 s[2:3], vcc, s[0:1]
	; wave barrier
	s_and_saveexec_b64 s[0:1], s[2:3]
	s_cbranch_execz .LBB86_161
; %bb.160:
	v_bcnt_u32_b32 v1, v1, 0
	v_bcnt_u32_b32 v1, v2, v1
	s_waitcnt lgkmcnt(0)
	v_add_u32_e32 v1, v24, v1
	ds_write_b32 v25, v1 offset:16
.LBB86_161:
	s_or_b64 exec, exec, s[0:1]
	v_xor_b32_e32 v26, 0x7fffffff, v26
	v_lshrrev_b32_e32 v1, s68, v26
	v_and_b32_e32 v3, s9, v1
	v_mul_lo_u32 v1, v3, 20
	v_and_b32_e32 v2, 1, v3
	v_add_co_u32_e32 v4, vcc, -1, v2
	v_addc_co_u32_e64 v32, s[0:1], 0, -1, vcc
	v_cmp_ne_u32_e32 vcc, 0, v2
	v_xor_b32_e32 v2, vcc_hi, v32
	v_lshl_add_u32 v30, v20, 2, v1
	v_mov_b32_e32 v1, 0
	v_and_b32_e32 v32, exec_hi, v2
	v_lshlrev_b32_e32 v2, 30, v3
	v_xor_b32_e32 v4, vcc_lo, v4
	v_cmp_gt_i64_e32 vcc, 0, v[1:2]
	v_not_b32_e32 v2, v2
	v_ashrrev_i32_e32 v2, 31, v2
	v_and_b32_e32 v4, exec_lo, v4
	v_xor_b32_e32 v34, vcc_hi, v2
	v_xor_b32_e32 v2, vcc_lo, v2
	v_and_b32_e32 v4, v4, v2
	v_lshlrev_b32_e32 v2, 29, v3
	v_cmp_gt_i64_e32 vcc, 0, v[1:2]
	v_not_b32_e32 v2, v2
	v_ashrrev_i32_e32 v2, 31, v2
	v_and_b32_e32 v32, v32, v34
	v_xor_b32_e32 v34, vcc_hi, v2
	v_xor_b32_e32 v2, vcc_lo, v2
	v_and_b32_e32 v4, v4, v2
	v_lshlrev_b32_e32 v2, 28, v3
	v_cmp_gt_i64_e32 vcc, 0, v[1:2]
	v_not_b32_e32 v2, v2
	v_ashrrev_i32_e32 v2, 31, v2
	v_and_b32_e32 v32, v32, v34
	;; [unrolled: 8-line block ×5, first 2 shown]
	v_xor_b32_e32 v34, vcc_hi, v2
	v_xor_b32_e32 v2, vcc_lo, v2
	v_and_b32_e32 v4, v4, v2
	v_lshlrev_b32_e32 v2, 24, v3
	v_cmp_gt_i64_e32 vcc, 0, v[1:2]
	v_not_b32_e32 v2, v2
	v_ashrrev_i32_e32 v2, 31, v2
	v_xor_b32_e32 v3, vcc_hi, v2
	v_xor_b32_e32 v2, vcc_lo, v2
	; wave barrier
	ds_read_b32 v29, v30 offset:16
	v_and_b32_e32 v32, v32, v34
	v_and_b32_e32 v2, v4, v2
	;; [unrolled: 1-line block ×3, first 2 shown]
	v_mbcnt_lo_u32_b32 v4, v2, 0
	v_mbcnt_hi_u32_b32 v32, v3, v4
	v_cmp_ne_u64_e32 vcc, 0, v[2:3]
	v_cmp_eq_u32_e64 s[0:1], 0, v32
	s_and_b64 s[2:3], vcc, s[0:1]
	; wave barrier
	s_and_saveexec_b64 s[0:1], s[2:3]
	s_cbranch_execz .LBB86_163
; %bb.162:
	v_bcnt_u32_b32 v2, v2, 0
	v_bcnt_u32_b32 v2, v3, v2
	s_waitcnt lgkmcnt(0)
	v_add_u32_e32 v2, v29, v2
	ds_write_b32 v30, v2 offset:16
.LBB86_163:
	s_or_b64 exec, exec, s[0:1]
	v_xor_b32_e32 v31, 0x7fffffff, v31
	v_lshrrev_b32_e32 v2, s68, v31
	v_and_b32_e32 v3, s9, v2
	v_mul_lo_u32 v2, v3, 20
	v_and_b32_e32 v4, 1, v3
	; wave barrier
	v_lshl_add_u32 v35, v20, 2, v2
	v_add_co_u32_e32 v2, vcc, -1, v4
	v_addc_co_u32_e64 v37, s[0:1], 0, -1, vcc
	v_cmp_ne_u32_e32 vcc, 0, v4
	v_xor_b32_e32 v2, vcc_lo, v2
	v_xor_b32_e32 v4, vcc_hi, v37
	v_and_b32_e32 v37, exec_lo, v2
	v_lshlrev_b32_e32 v2, 30, v3
	v_cmp_gt_i64_e32 vcc, 0, v[1:2]
	v_not_b32_e32 v2, v2
	v_ashrrev_i32_e32 v2, 31, v2
	v_xor_b32_e32 v39, vcc_hi, v2
	v_xor_b32_e32 v2, vcc_lo, v2
	v_and_b32_e32 v37, v37, v2
	v_lshlrev_b32_e32 v2, 29, v3
	v_cmp_gt_i64_e32 vcc, 0, v[1:2]
	v_not_b32_e32 v2, v2
	v_and_b32_e32 v4, exec_hi, v4
	v_ashrrev_i32_e32 v2, 31, v2
	v_and_b32_e32 v4, v4, v39
	v_xor_b32_e32 v39, vcc_hi, v2
	v_xor_b32_e32 v2, vcc_lo, v2
	v_and_b32_e32 v37, v37, v2
	v_lshlrev_b32_e32 v2, 28, v3
	v_cmp_gt_i64_e32 vcc, 0, v[1:2]
	v_not_b32_e32 v2, v2
	v_ashrrev_i32_e32 v2, 31, v2
	v_and_b32_e32 v4, v4, v39
	v_xor_b32_e32 v39, vcc_hi, v2
	v_xor_b32_e32 v2, vcc_lo, v2
	v_and_b32_e32 v37, v37, v2
	v_lshlrev_b32_e32 v2, 27, v3
	v_cmp_gt_i64_e32 vcc, 0, v[1:2]
	v_not_b32_e32 v2, v2
	;; [unrolled: 8-line block ×5, first 2 shown]
	v_ashrrev_i32_e32 v1, 31, v1
	v_xor_b32_e32 v2, vcc_hi, v1
	v_xor_b32_e32 v1, vcc_lo, v1
	ds_read_b32 v34, v35 offset:16
	v_and_b32_e32 v4, v4, v39
	v_and_b32_e32 v1, v37, v1
	;; [unrolled: 1-line block ×3, first 2 shown]
	v_mbcnt_lo_u32_b32 v3, v1, 0
	v_mbcnt_hi_u32_b32 v37, v2, v3
	v_cmp_ne_u64_e32 vcc, 0, v[1:2]
	v_cmp_eq_u32_e64 s[0:1], 0, v37
	s_and_b64 s[2:3], vcc, s[0:1]
	; wave barrier
	s_and_saveexec_b64 s[0:1], s[2:3]
	s_cbranch_execz .LBB86_165
; %bb.164:
	v_bcnt_u32_b32 v1, v1, 0
	v_bcnt_u32_b32 v1, v2, v1
	s_waitcnt lgkmcnt(0)
	v_add_u32_e32 v1, v34, v1
	ds_write_b32 v35, v1 offset:16
.LBB86_165:
	s_or_b64 exec, exec, s[0:1]
	v_xor_b32_e32 v36, 0x7fffffff, v36
	v_lshrrev_b32_e32 v1, s68, v36
	v_and_b32_e32 v3, s9, v1
	v_mul_lo_u32 v1, v3, 20
	v_and_b32_e32 v2, 1, v3
	v_add_co_u32_e32 v4, vcc, -1, v2
	v_addc_co_u32_e64 v41, s[0:1], 0, -1, vcc
	v_cmp_ne_u32_e32 vcc, 0, v2
	v_xor_b32_e32 v2, vcc_hi, v41
	v_lshl_add_u32 v40, v20, 2, v1
	v_mov_b32_e32 v1, 0
	v_and_b32_e32 v41, exec_hi, v2
	v_lshlrev_b32_e32 v2, 30, v3
	v_xor_b32_e32 v4, vcc_lo, v4
	v_cmp_gt_i64_e32 vcc, 0, v[1:2]
	v_not_b32_e32 v2, v2
	v_ashrrev_i32_e32 v2, 31, v2
	v_and_b32_e32 v4, exec_lo, v4
	v_xor_b32_e32 v42, vcc_hi, v2
	v_xor_b32_e32 v2, vcc_lo, v2
	v_and_b32_e32 v4, v4, v2
	v_lshlrev_b32_e32 v2, 29, v3
	v_cmp_gt_i64_e32 vcc, 0, v[1:2]
	v_not_b32_e32 v2, v2
	v_ashrrev_i32_e32 v2, 31, v2
	v_and_b32_e32 v41, v41, v42
	v_xor_b32_e32 v42, vcc_hi, v2
	v_xor_b32_e32 v2, vcc_lo, v2
	v_and_b32_e32 v4, v4, v2
	v_lshlrev_b32_e32 v2, 28, v3
	v_cmp_gt_i64_e32 vcc, 0, v[1:2]
	v_not_b32_e32 v2, v2
	v_ashrrev_i32_e32 v2, 31, v2
	v_and_b32_e32 v41, v41, v42
	v_xor_b32_e32 v42, vcc_hi, v2
	v_xor_b32_e32 v2, vcc_lo, v2
	v_and_b32_e32 v4, v4, v2
	v_lshlrev_b32_e32 v2, 27, v3
	v_cmp_gt_i64_e32 vcc, 0, v[1:2]
	v_not_b32_e32 v2, v2
	v_ashrrev_i32_e32 v2, 31, v2
	v_and_b32_e32 v41, v41, v42
	v_xor_b32_e32 v42, vcc_hi, v2
	v_xor_b32_e32 v2, vcc_lo, v2
	v_and_b32_e32 v4, v4, v2
	v_lshlrev_b32_e32 v2, 26, v3
	v_cmp_gt_i64_e32 vcc, 0, v[1:2]
	v_not_b32_e32 v2, v2
	v_ashrrev_i32_e32 v2, 31, v2
	v_and_b32_e32 v41, v41, v42
	v_xor_b32_e32 v42, vcc_hi, v2
	v_xor_b32_e32 v2, vcc_lo, v2
	v_and_b32_e32 v4, v4, v2
	v_lshlrev_b32_e32 v2, 25, v3
	v_cmp_gt_i64_e32 vcc, 0, v[1:2]
	v_not_b32_e32 v2, v2
	v_ashrrev_i32_e32 v2, 31, v2
	v_and_b32_e32 v41, v41, v42
	v_xor_b32_e32 v42, vcc_hi, v2
	v_xor_b32_e32 v2, vcc_lo, v2
	v_and_b32_e32 v4, v4, v2
	v_lshlrev_b32_e32 v2, 24, v3
	v_cmp_gt_i64_e32 vcc, 0, v[1:2]
	v_not_b32_e32 v2, v2
	v_ashrrev_i32_e32 v2, 31, v2
	v_xor_b32_e32 v3, vcc_hi, v2
	v_xor_b32_e32 v2, vcc_lo, v2
	; wave barrier
	ds_read_b32 v39, v40 offset:16
	v_and_b32_e32 v41, v41, v42
	v_and_b32_e32 v2, v4, v2
	;; [unrolled: 1-line block ×3, first 2 shown]
	v_mbcnt_lo_u32_b32 v4, v2, 0
	v_mbcnt_hi_u32_b32 v41, v3, v4
	v_cmp_ne_u64_e32 vcc, 0, v[2:3]
	v_cmp_eq_u32_e64 s[0:1], 0, v41
	s_and_b64 s[2:3], vcc, s[0:1]
	; wave barrier
	s_and_saveexec_b64 s[0:1], s[2:3]
	s_cbranch_execz .LBB86_167
; %bb.166:
	v_bcnt_u32_b32 v2, v2, 0
	v_bcnt_u32_b32 v2, v3, v2
	s_waitcnt lgkmcnt(0)
	v_add_u32_e32 v2, v39, v2
	ds_write_b32 v40, v2 offset:16
.LBB86_167:
	s_or_b64 exec, exec, s[0:1]
	v_xor_b32_e32 v38, 0x7fffffff, v38
	v_lshrrev_b32_e32 v2, s68, v38
	v_and_b32_e32 v3, s9, v2
	v_mul_lo_u32 v2, v3, 20
	v_and_b32_e32 v4, 1, v3
	; wave barrier
	v_lshl_add_u32 v43, v20, 2, v2
	v_add_co_u32_e32 v2, vcc, -1, v4
	v_addc_co_u32_e64 v44, s[0:1], 0, -1, vcc
	v_cmp_ne_u32_e32 vcc, 0, v4
	v_xor_b32_e32 v2, vcc_lo, v2
	v_xor_b32_e32 v4, vcc_hi, v44
	v_and_b32_e32 v44, exec_lo, v2
	v_lshlrev_b32_e32 v2, 30, v3
	v_cmp_gt_i64_e32 vcc, 0, v[1:2]
	v_not_b32_e32 v2, v2
	v_ashrrev_i32_e32 v2, 31, v2
	v_xor_b32_e32 v45, vcc_hi, v2
	v_xor_b32_e32 v2, vcc_lo, v2
	v_and_b32_e32 v44, v44, v2
	v_lshlrev_b32_e32 v2, 29, v3
	v_cmp_gt_i64_e32 vcc, 0, v[1:2]
	v_not_b32_e32 v2, v2
	v_and_b32_e32 v4, exec_hi, v4
	v_ashrrev_i32_e32 v2, 31, v2
	v_and_b32_e32 v4, v4, v45
	v_xor_b32_e32 v45, vcc_hi, v2
	v_xor_b32_e32 v2, vcc_lo, v2
	v_and_b32_e32 v44, v44, v2
	v_lshlrev_b32_e32 v2, 28, v3
	v_cmp_gt_i64_e32 vcc, 0, v[1:2]
	v_not_b32_e32 v2, v2
	v_ashrrev_i32_e32 v2, 31, v2
	v_and_b32_e32 v4, v4, v45
	v_xor_b32_e32 v45, vcc_hi, v2
	v_xor_b32_e32 v2, vcc_lo, v2
	v_and_b32_e32 v44, v44, v2
	v_lshlrev_b32_e32 v2, 27, v3
	v_cmp_gt_i64_e32 vcc, 0, v[1:2]
	v_not_b32_e32 v2, v2
	;; [unrolled: 8-line block ×5, first 2 shown]
	v_ashrrev_i32_e32 v1, 31, v1
	v_xor_b32_e32 v2, vcc_hi, v1
	v_xor_b32_e32 v1, vcc_lo, v1
	ds_read_b32 v42, v43 offset:16
	v_and_b32_e32 v4, v4, v45
	v_and_b32_e32 v1, v44, v1
	;; [unrolled: 1-line block ×3, first 2 shown]
	v_mbcnt_lo_u32_b32 v3, v1, 0
	v_mbcnt_hi_u32_b32 v44, v2, v3
	v_cmp_ne_u64_e32 vcc, 0, v[1:2]
	v_cmp_eq_u32_e64 s[0:1], 0, v44
	s_and_b64 s[2:3], vcc, s[0:1]
	; wave barrier
	s_and_saveexec_b64 s[0:1], s[2:3]
	s_cbranch_execz .LBB86_169
; %bb.168:
	v_bcnt_u32_b32 v1, v1, 0
	v_bcnt_u32_b32 v1, v2, v1
	s_waitcnt lgkmcnt(0)
	v_add_u32_e32 v1, v42, v1
	ds_write_b32 v43, v1 offset:16
.LBB86_169:
	s_or_b64 exec, exec, s[0:1]
	v_xor_b32_e32 v33, 0x7fffffff, v33
	v_lshrrev_b32_e32 v1, s68, v33
	v_and_b32_e32 v3, s9, v1
	v_mul_lo_u32 v1, v3, 20
	v_and_b32_e32 v2, 1, v3
	v_add_co_u32_e32 v4, vcc, -1, v2
	v_addc_co_u32_e64 v47, s[0:1], 0, -1, vcc
	v_cmp_ne_u32_e32 vcc, 0, v2
	v_xor_b32_e32 v2, vcc_hi, v47
	v_lshl_add_u32 v46, v20, 2, v1
	v_mov_b32_e32 v1, 0
	v_and_b32_e32 v47, exec_hi, v2
	v_lshlrev_b32_e32 v2, 30, v3
	v_xor_b32_e32 v4, vcc_lo, v4
	v_cmp_gt_i64_e32 vcc, 0, v[1:2]
	v_not_b32_e32 v2, v2
	v_ashrrev_i32_e32 v2, 31, v2
	v_and_b32_e32 v4, exec_lo, v4
	v_xor_b32_e32 v48, vcc_hi, v2
	v_xor_b32_e32 v2, vcc_lo, v2
	v_and_b32_e32 v4, v4, v2
	v_lshlrev_b32_e32 v2, 29, v3
	v_cmp_gt_i64_e32 vcc, 0, v[1:2]
	v_not_b32_e32 v2, v2
	v_ashrrev_i32_e32 v2, 31, v2
	v_and_b32_e32 v47, v47, v48
	v_xor_b32_e32 v48, vcc_hi, v2
	v_xor_b32_e32 v2, vcc_lo, v2
	v_and_b32_e32 v4, v4, v2
	v_lshlrev_b32_e32 v2, 28, v3
	v_cmp_gt_i64_e32 vcc, 0, v[1:2]
	v_not_b32_e32 v2, v2
	v_ashrrev_i32_e32 v2, 31, v2
	v_and_b32_e32 v47, v47, v48
	;; [unrolled: 8-line block ×5, first 2 shown]
	v_xor_b32_e32 v48, vcc_hi, v2
	v_xor_b32_e32 v2, vcc_lo, v2
	v_and_b32_e32 v4, v4, v2
	v_lshlrev_b32_e32 v2, 24, v3
	v_cmp_gt_i64_e32 vcc, 0, v[1:2]
	v_not_b32_e32 v2, v2
	v_ashrrev_i32_e32 v2, 31, v2
	v_xor_b32_e32 v3, vcc_hi, v2
	v_xor_b32_e32 v2, vcc_lo, v2
	; wave barrier
	ds_read_b32 v45, v46 offset:16
	v_and_b32_e32 v47, v47, v48
	v_and_b32_e32 v2, v4, v2
	;; [unrolled: 1-line block ×3, first 2 shown]
	v_mbcnt_lo_u32_b32 v4, v2, 0
	v_mbcnt_hi_u32_b32 v47, v3, v4
	v_cmp_ne_u64_e32 vcc, 0, v[2:3]
	v_cmp_eq_u32_e64 s[0:1], 0, v47
	s_and_b64 s[2:3], vcc, s[0:1]
	; wave barrier
	s_and_saveexec_b64 s[0:1], s[2:3]
	s_cbranch_execz .LBB86_171
; %bb.170:
	v_bcnt_u32_b32 v2, v2, 0
	v_bcnt_u32_b32 v2, v3, v2
	s_waitcnt lgkmcnt(0)
	v_add_u32_e32 v2, v45, v2
	ds_write_b32 v46, v2 offset:16
.LBB86_171:
	s_or_b64 exec, exec, s[0:1]
	v_xor_b32_e32 v28, 0x7fffffff, v28
	v_lshrrev_b32_e32 v2, s68, v28
	v_and_b32_e32 v3, s9, v2
	v_mul_lo_u32 v2, v3, 20
	v_and_b32_e32 v4, 1, v3
	; wave barrier
	v_lshl_add_u32 v49, v20, 2, v2
	v_add_co_u32_e32 v2, vcc, -1, v4
	v_addc_co_u32_e64 v50, s[0:1], 0, -1, vcc
	v_cmp_ne_u32_e32 vcc, 0, v4
	v_xor_b32_e32 v2, vcc_lo, v2
	v_xor_b32_e32 v4, vcc_hi, v50
	v_and_b32_e32 v50, exec_lo, v2
	v_lshlrev_b32_e32 v2, 30, v3
	v_cmp_gt_i64_e32 vcc, 0, v[1:2]
	v_not_b32_e32 v2, v2
	v_ashrrev_i32_e32 v2, 31, v2
	v_xor_b32_e32 v51, vcc_hi, v2
	v_xor_b32_e32 v2, vcc_lo, v2
	v_and_b32_e32 v50, v50, v2
	v_lshlrev_b32_e32 v2, 29, v3
	v_cmp_gt_i64_e32 vcc, 0, v[1:2]
	v_not_b32_e32 v2, v2
	v_and_b32_e32 v4, exec_hi, v4
	v_ashrrev_i32_e32 v2, 31, v2
	v_and_b32_e32 v4, v4, v51
	v_xor_b32_e32 v51, vcc_hi, v2
	v_xor_b32_e32 v2, vcc_lo, v2
	v_and_b32_e32 v50, v50, v2
	v_lshlrev_b32_e32 v2, 28, v3
	v_cmp_gt_i64_e32 vcc, 0, v[1:2]
	v_not_b32_e32 v2, v2
	v_ashrrev_i32_e32 v2, 31, v2
	v_and_b32_e32 v4, v4, v51
	v_xor_b32_e32 v51, vcc_hi, v2
	v_xor_b32_e32 v2, vcc_lo, v2
	v_and_b32_e32 v50, v50, v2
	v_lshlrev_b32_e32 v2, 27, v3
	v_cmp_gt_i64_e32 vcc, 0, v[1:2]
	v_not_b32_e32 v2, v2
	;; [unrolled: 8-line block ×5, first 2 shown]
	v_ashrrev_i32_e32 v1, 31, v1
	v_xor_b32_e32 v2, vcc_hi, v1
	v_xor_b32_e32 v1, vcc_lo, v1
	ds_read_b32 v48, v49 offset:16
	v_and_b32_e32 v4, v4, v51
	v_and_b32_e32 v1, v50, v1
	;; [unrolled: 1-line block ×3, first 2 shown]
	v_mbcnt_lo_u32_b32 v3, v1, 0
	v_mbcnt_hi_u32_b32 v52, v2, v3
	v_cmp_ne_u64_e32 vcc, 0, v[1:2]
	v_cmp_eq_u32_e64 s[0:1], 0, v52
	s_and_b64 s[2:3], vcc, s[0:1]
	; wave barrier
	s_and_saveexec_b64 s[0:1], s[2:3]
	s_cbranch_execz .LBB86_173
; %bb.172:
	v_bcnt_u32_b32 v1, v1, 0
	v_bcnt_u32_b32 v1, v2, v1
	s_waitcnt lgkmcnt(0)
	v_add_u32_e32 v1, v48, v1
	ds_write_b32 v49, v1 offset:16
.LBB86_173:
	s_or_b64 exec, exec, s[0:1]
	v_xor_b32_e32 v51, 0x7fffffff, v23
	v_lshrrev_b32_e32 v1, s68, v51
	v_and_b32_e32 v3, s9, v1
	v_mul_lo_u32 v1, v3, 20
	v_and_b32_e32 v2, 1, v3
	v_add_co_u32_e32 v4, vcc, -1, v2
	v_addc_co_u32_e64 v50, s[0:1], 0, -1, vcc
	v_cmp_ne_u32_e32 vcc, 0, v2
	v_xor_b32_e32 v2, vcc_hi, v50
	v_lshl_add_u32 v23, v20, 2, v1
	v_mov_b32_e32 v1, 0
	v_and_b32_e32 v50, exec_hi, v2
	v_lshlrev_b32_e32 v2, 30, v3
	v_xor_b32_e32 v4, vcc_lo, v4
	v_cmp_gt_i64_e32 vcc, 0, v[1:2]
	v_not_b32_e32 v2, v2
	v_ashrrev_i32_e32 v2, 31, v2
	v_and_b32_e32 v4, exec_lo, v4
	v_xor_b32_e32 v54, vcc_hi, v2
	v_xor_b32_e32 v2, vcc_lo, v2
	v_and_b32_e32 v4, v4, v2
	v_lshlrev_b32_e32 v2, 29, v3
	v_cmp_gt_i64_e32 vcc, 0, v[1:2]
	v_not_b32_e32 v2, v2
	v_ashrrev_i32_e32 v2, 31, v2
	v_and_b32_e32 v50, v50, v54
	v_xor_b32_e32 v54, vcc_hi, v2
	v_xor_b32_e32 v2, vcc_lo, v2
	v_and_b32_e32 v4, v4, v2
	v_lshlrev_b32_e32 v2, 28, v3
	v_cmp_gt_i64_e32 vcc, 0, v[1:2]
	v_not_b32_e32 v2, v2
	v_ashrrev_i32_e32 v2, 31, v2
	v_and_b32_e32 v50, v50, v54
	;; [unrolled: 8-line block ×5, first 2 shown]
	v_xor_b32_e32 v54, vcc_hi, v2
	v_xor_b32_e32 v2, vcc_lo, v2
	v_and_b32_e32 v4, v4, v2
	v_lshlrev_b32_e32 v2, 24, v3
	v_cmp_gt_i64_e32 vcc, 0, v[1:2]
	v_not_b32_e32 v2, v2
	v_ashrrev_i32_e32 v2, 31, v2
	v_xor_b32_e32 v3, vcc_hi, v2
	v_xor_b32_e32 v2, vcc_lo, v2
	; wave barrier
	ds_read_b32 v53, v23 offset:16
	v_and_b32_e32 v50, v50, v54
	v_and_b32_e32 v2, v4, v2
	;; [unrolled: 1-line block ×3, first 2 shown]
	v_mbcnt_lo_u32_b32 v4, v2, 0
	v_mbcnt_hi_u32_b32 v55, v3, v4
	v_cmp_ne_u64_e32 vcc, 0, v[2:3]
	v_cmp_eq_u32_e64 s[0:1], 0, v55
	s_and_b64 s[2:3], vcc, s[0:1]
	; wave barrier
	s_and_saveexec_b64 s[0:1], s[2:3]
	s_cbranch_execz .LBB86_175
; %bb.174:
	v_bcnt_u32_b32 v2, v2, 0
	v_bcnt_u32_b32 v2, v3, v2
	s_waitcnt lgkmcnt(0)
	v_add_u32_e32 v2, v53, v2
	ds_write_b32 v23, v2 offset:16
.LBB86_175:
	s_or_b64 exec, exec, s[0:1]
	v_xor_b32_e32 v54, 0x7fffffff, v17
	v_lshrrev_b32_e32 v2, s68, v54
	v_and_b32_e32 v3, s9, v2
	v_mul_lo_u32 v2, v3, 20
	v_and_b32_e32 v4, 1, v3
	; wave barrier
	v_lshl_add_u32 v17, v20, 2, v2
	v_add_co_u32_e32 v2, vcc, -1, v4
	v_addc_co_u32_e64 v20, s[0:1], 0, -1, vcc
	v_cmp_ne_u32_e32 vcc, 0, v4
	v_xor_b32_e32 v2, vcc_lo, v2
	v_xor_b32_e32 v4, vcc_hi, v20
	v_and_b32_e32 v20, exec_lo, v2
	v_lshlrev_b32_e32 v2, 30, v3
	v_cmp_gt_i64_e32 vcc, 0, v[1:2]
	v_not_b32_e32 v2, v2
	v_ashrrev_i32_e32 v2, 31, v2
	v_xor_b32_e32 v50, vcc_hi, v2
	v_xor_b32_e32 v2, vcc_lo, v2
	v_and_b32_e32 v20, v20, v2
	v_lshlrev_b32_e32 v2, 29, v3
	v_cmp_gt_i64_e32 vcc, 0, v[1:2]
	v_not_b32_e32 v2, v2
	v_and_b32_e32 v4, exec_hi, v4
	v_ashrrev_i32_e32 v2, 31, v2
	v_and_b32_e32 v4, v4, v50
	v_xor_b32_e32 v50, vcc_hi, v2
	v_xor_b32_e32 v2, vcc_lo, v2
	v_and_b32_e32 v20, v20, v2
	v_lshlrev_b32_e32 v2, 28, v3
	v_cmp_gt_i64_e32 vcc, 0, v[1:2]
	v_not_b32_e32 v2, v2
	v_ashrrev_i32_e32 v2, 31, v2
	v_and_b32_e32 v4, v4, v50
	v_xor_b32_e32 v50, vcc_hi, v2
	v_xor_b32_e32 v2, vcc_lo, v2
	v_and_b32_e32 v20, v20, v2
	v_lshlrev_b32_e32 v2, 27, v3
	v_cmp_gt_i64_e32 vcc, 0, v[1:2]
	v_not_b32_e32 v2, v2
	;; [unrolled: 8-line block ×5, first 2 shown]
	v_ashrrev_i32_e32 v1, 31, v1
	v_xor_b32_e32 v2, vcc_hi, v1
	v_xor_b32_e32 v1, vcc_lo, v1
	ds_read_b32 v56, v17 offset:16
	v_and_b32_e32 v4, v4, v50
	v_and_b32_e32 v1, v20, v1
	;; [unrolled: 1-line block ×3, first 2 shown]
	v_mbcnt_lo_u32_b32 v3, v1, 0
	v_mbcnt_hi_u32_b32 v57, v2, v3
	v_cmp_ne_u64_e32 vcc, 0, v[1:2]
	v_cmp_eq_u32_e64 s[0:1], 0, v57
	s_and_b64 s[2:3], vcc, s[0:1]
	; wave barrier
	s_and_saveexec_b64 s[0:1], s[2:3]
	s_cbranch_execz .LBB86_177
; %bb.176:
	v_bcnt_u32_b32 v1, v1, 0
	v_bcnt_u32_b32 v1, v2, v1
	s_waitcnt lgkmcnt(0)
	v_add_u32_e32 v1, v56, v1
	ds_write_b32 v17, v1 offset:16
.LBB86_177:
	s_or_b64 exec, exec, s[0:1]
	; wave barrier
	s_waitcnt lgkmcnt(0)
	s_barrier
	ds_read2_b32 v[3:4], v6 offset0:4 offset1:5
	ds_read2_b32 v[1:2], v6 offset0:6 offset1:7
	ds_read_b32 v20, v6 offset:32
	v_min_u32_e32 v9, 0xc0, v9
	v_or_b32_e32 v9, 63, v9
	s_waitcnt lgkmcnt(1)
	v_add3_u32 v50, v4, v3, v1
	s_waitcnt lgkmcnt(0)
	v_add3_u32 v20, v50, v2, v20
	v_and_b32_e32 v50, 15, v8
	v_cmp_ne_u32_e32 vcc, 0, v50
	v_mov_b32_dpp v58, v20 row_shr:1 row_mask:0xf bank_mask:0xf
	v_cndmask_b32_e32 v58, 0, v58, vcc
	v_add_u32_e32 v20, v58, v20
	v_cmp_lt_u32_e32 vcc, 1, v50
	s_nop 0
	v_mov_b32_dpp v58, v20 row_shr:2 row_mask:0xf bank_mask:0xf
	v_cndmask_b32_e32 v58, 0, v58, vcc
	v_add_u32_e32 v20, v20, v58
	v_cmp_lt_u32_e32 vcc, 3, v50
	s_nop 0
	;; [unrolled: 5-line block ×3, first 2 shown]
	v_mov_b32_dpp v58, v20 row_shr:8 row_mask:0xf bank_mask:0xf
	v_cndmask_b32_e32 v50, 0, v58, vcc
	v_add_u32_e32 v20, v20, v50
	v_bfe_i32 v58, v8, 4, 1
	v_cmp_lt_u32_e32 vcc, 31, v8
	v_mov_b32_dpp v50, v20 row_bcast:15 row_mask:0xf bank_mask:0xf
	v_and_b32_e32 v50, v58, v50
	v_add_u32_e32 v20, v20, v50
	v_lshrrev_b32_e32 v58, 6, v0
	s_nop 0
	v_mov_b32_dpp v50, v20 row_bcast:31 row_mask:0xf bank_mask:0xf
	v_cndmask_b32_e32 v50, 0, v50, vcc
	v_add_u32_e32 v20, v20, v50
	v_cmp_eq_u32_e32 vcc, v0, v9
	s_and_saveexec_b64 s[0:1], vcc
; %bb.178:
	v_lshlrev_b32_e32 v9, 2, v58
	ds_write_b32 v9, v20
; %bb.179:
	s_or_b64 exec, exec, s[0:1]
	v_cmp_gt_u32_e32 vcc, 4, v0
	v_lshlrev_b32_e32 v50, 2, v0
	s_waitcnt lgkmcnt(0)
	s_barrier
	s_and_saveexec_b64 s[0:1], vcc
	s_cbranch_execz .LBB86_181
; %bb.180:
	ds_read_b32 v9, v50
	v_and_b32_e32 v59, 3, v8
	v_cmp_ne_u32_e32 vcc, 0, v59
	s_waitcnt lgkmcnt(0)
	v_mov_b32_dpp v60, v9 row_shr:1 row_mask:0xf bank_mask:0xf
	v_cndmask_b32_e32 v60, 0, v60, vcc
	v_add_u32_e32 v9, v60, v9
	v_cmp_lt_u32_e32 vcc, 1, v59
	s_nop 0
	v_mov_b32_dpp v60, v9 row_shr:2 row_mask:0xf bank_mask:0xf
	v_cndmask_b32_e32 v59, 0, v60, vcc
	v_add_u32_e32 v9, v9, v59
	ds_write_b32 v50, v9
.LBB86_181:
	s_or_b64 exec, exec, s[0:1]
	v_cmp_lt_u32_e32 vcc, 63, v0
	v_mov_b32_e32 v9, 0
	s_waitcnt lgkmcnt(0)
	s_barrier
	s_and_saveexec_b64 s[0:1], vcc
; %bb.182:
	v_lshl_add_u32 v9, v58, 2, -4
	ds_read_b32 v9, v9
; %bb.183:
	s_or_b64 exec, exec, s[0:1]
	v_add_u32_e32 v58, -1, v8
	v_and_b32_e32 v59, 64, v8
	v_cmp_lt_i32_e32 vcc, v58, v59
	v_cndmask_b32_e32 v58, v58, v8, vcc
	s_waitcnt lgkmcnt(0)
	v_add_u32_e32 v20, v9, v20
	v_lshlrev_b32_e32 v58, 2, v58
	ds_bpermute_b32 v20, v58, v20
	v_cmp_eq_u32_e32 vcc, 0, v8
	s_movk_i32 s0, 0x100
	s_waitcnt lgkmcnt(0)
	v_cndmask_b32_e32 v9, v20, v9, vcc
	v_cmp_ne_u32_e32 vcc, 0, v0
	v_cndmask_b32_e32 v9, 0, v9, vcc
	v_add_u32_e32 v3, v9, v3
	v_add_u32_e32 v4, v3, v4
	v_add_u32_e32 v1, v4, v1
	v_add_u32_e32 v2, v1, v2
	ds_write2_b32 v6, v9, v3 offset0:4 offset1:5
	ds_write2_b32 v6, v4, v1 offset0:6 offset1:7
	ds_write_b32 v6, v2 offset:32
	s_waitcnt lgkmcnt(0)
	s_barrier
	ds_read_b32 v2, v43 offset:16
	ds_read_b32 v3, v46 offset:16
	;; [unrolled: 1-line block ×13, first 2 shown]
	v_add_u32_e32 v6, 1, v0
	v_cmp_ne_u32_e32 vcc, s0, v6
	v_mov_b32_e32 v1, 0xc00
	s_and_saveexec_b64 s[0:1], vcc
; %bb.184:
	v_mul_u32_u24_e32 v1, 20, v6
	ds_read_b32 v1, v1 offset:16
; %bb.185:
	s_or_b64 exec, exec, s[0:1]
	s_waitcnt lgkmcnt(7)
	v_add_u32_e32 v30, v10, v12
	s_waitcnt lgkmcnt(6)
	v_add3_u32 v25, v16, v13, v14
	s_waitcnt lgkmcnt(5)
	v_add3_u32 v23, v22, v18, v17
	v_add3_u32 v17, v44, v42, v2
	v_lshlrev_b32_e32 v2, 2, v30
	s_waitcnt lgkmcnt(0)
	s_barrier
	ds_write_b32 v2, v5 offset:2048
	v_lshlrev_b32_e32 v2, 2, v25
	v_add3_u32 v22, v27, v24, v19
	ds_write_b32 v2, v11 offset:2048
	v_lshlrev_b32_e32 v2, 2, v23
	v_add3_u32 v20, v32, v29, v20
	;; [unrolled: 3-line block ×4, first 2 shown]
	ds_write_b32 v2, v26 offset:2048
	v_lshlrev_b32_e32 v2, 2, v19
	ds_write_b32 v2, v31 offset:2048
	v_lshlrev_b32_e32 v2, 2, v18
	v_add3_u32 v16, v47, v45, v3
	ds_write_b32 v2, v36 offset:2048
	v_lshlrev_b32_e32 v2, 2, v17
	v_add3_u32 v14, v52, v48, v4
	;; [unrolled: 3-line block ×4, first 2 shown]
	ds_write_b32 v2, v28 offset:2048
	v_lshlrev_b32_e32 v2, 2, v13
	ds_write_b32 v2, v51 offset:2048
	v_lshlrev_b32_e32 v2, 2, v12
	ds_write_b32 v2, v54 offset:2048
	v_sub_u32_e32 v10, v1, v9
	v_lshl_or_b32 v1, s6, 8, v0
	v_mov_b32_e32 v2, 0
	v_lshlrev_b64 v[3:4], 2, v[1:2]
	v_mov_b32_e32 v11, s73
	v_add_co_u32_e32 v3, vcc, s72, v3
	v_addc_co_u32_e32 v4, vcc, v11, v4, vcc
	v_or_b32_e32 v1, 2.0, v10
	s_mov_b64 s[0:1], 0
	s_brev_b32 s10, -4
	v_mov_b32_e32 v15, 0
	s_waitcnt lgkmcnt(0)
	s_barrier
	global_store_dword v[3:4], v1, off
                                        ; implicit-def: $sgpr2_sgpr3
	s_branch .LBB86_188
.LBB86_186:                             ;   in Loop: Header=BB86_188 Depth=1
	s_or_b64 exec, exec, s[4:5]
.LBB86_187:                             ;   in Loop: Header=BB86_188 Depth=1
	s_or_b64 exec, exec, s[2:3]
	v_and_b32_e32 v5, 0x3fffffff, v1
	v_add_u32_e32 v15, v5, v15
	v_cmp_gt_i32_e64 s[2:3], -2.0, v1
	s_and_b64 s[4:5], exec, s[2:3]
	s_or_b64 s[0:1], s[4:5], s[0:1]
	s_andn2_b64 exec, exec, s[0:1]
	s_cbranch_execz .LBB86_193
.LBB86_188:                             ; =>This Loop Header: Depth=1
                                        ;     Child Loop BB86_191 Depth 2
	s_or_b64 s[2:3], s[2:3], exec
	s_cmp_eq_u32 s7, 0
	s_cbranch_scc1 .LBB86_192
; %bb.189:                              ;   in Loop: Header=BB86_188 Depth=1
	s_add_i32 s7, s7, -1
	v_lshl_or_b32 v1, s7, 8, v0
	v_lshlrev_b64 v[5:6], 2, v[1:2]
	v_add_co_u32_e32 v5, vcc, s72, v5
	v_addc_co_u32_e32 v6, vcc, v11, v6, vcc
	global_load_dword v1, v[5:6], off glc
	s_waitcnt vmcnt(0)
	v_cmp_gt_u32_e32 vcc, 2.0, v1
	s_and_saveexec_b64 s[2:3], vcc
	s_cbranch_execz .LBB86_187
; %bb.190:                              ;   in Loop: Header=BB86_188 Depth=1
	s_mov_b64 s[4:5], 0
.LBB86_191:                             ;   Parent Loop BB86_188 Depth=1
                                        ; =>  This Inner Loop Header: Depth=2
	global_load_dword v1, v[5:6], off glc
	s_waitcnt vmcnt(0)
	v_cmp_lt_u32_e32 vcc, s10, v1
	s_or_b64 s[4:5], vcc, s[4:5]
	s_andn2_b64 exec, exec, s[4:5]
	s_cbranch_execnz .LBB86_191
	s_branch .LBB86_186
.LBB86_192:                             ;   in Loop: Header=BB86_188 Depth=1
                                        ; implicit-def: $sgpr7
	s_and_b64 s[4:5], exec, s[2:3]
	s_or_b64 s[0:1], s[4:5], s[0:1]
	s_andn2_b64 exec, exec, s[0:1]
	s_cbranch_execnz .LBB86_188
.LBB86_193:
	s_or_b64 exec, exec, s[0:1]
	v_add_u32_e32 v2, v15, v10
	v_or_b32_e32 v2, 0x80000000, v2
	v_lshlrev_b32_e32 v1, 3, v0
	global_store_dword v[3:4], v2, off
	global_load_dwordx2 v[2:3], v1, s[64:65]
	v_sub_co_u32_e32 v4, vcc, v15, v9
	v_subb_co_u32_e64 v5, s[0:1], 0, 0, vcc
	v_sub_u32_e32 v24, v1, v50
	v_mov_b32_e32 v6, s59
	v_mov_b32_e32 v11, s59
	;; [unrolled: 1-line block ×4, first 2 shown]
	v_or_b32_e32 v57, 0x400, v0
	v_or_b32_e32 v66, 0x600, v0
	;; [unrolled: 1-line block ×3, first 2 shown]
	s_lshl_b64 s[0:1], s[54:55], 3
	s_add_u32 s0, s60, s0
	s_addc_u32 s1, s61, s1
	v_lshlrev_b32_e32 v7, 3, v7
	v_or_b32_e32 v68, 0x800, v0
	s_add_i32 s8, s8, -1
	s_cmp_lg_u32 s6, s8
	s_waitcnt vmcnt(0)
	v_add_co_u32_e32 v2, vcc, v4, v2
	v_addc_co_u32_e32 v3, vcc, v5, v3, vcc
	ds_write_b64 v1, v[2:3]
	s_waitcnt lgkmcnt(0)
	s_barrier
	ds_read2st64_b32 v[2:3], v24 offset0:8 offset1:12
	ds_read2st64_b32 v[4:5], v24 offset0:16 offset1:20
	;; [unrolled: 1-line block ×4, first 2 shown]
	s_waitcnt lgkmcnt(2)
	v_xor_b32_e32 v39, 0x7fffffff, v4
	v_lshrrev_b32_e32 v31, s68, v2
	v_xor_b32_e32 v37, 0x7fffffff, v2
	v_lshrrev_b32_e32 v2, s68, v3
	;; [unrolled: 2-line block ×3, first 2 shown]
	v_lshrrev_b32_e32 v4, s68, v5
	v_xor_b32_e32 v40, 0x7fffffff, v5
	s_waitcnt lgkmcnt(1)
	v_lshrrev_b32_e32 v5, s68, v26
	v_lshrrev_b32_e32 v32, s68, v27
	s_waitcnt lgkmcnt(0)
	v_lshrrev_b32_e32 v33, s68, v28
	v_lshrrev_b32_e32 v34, s68, v29
	v_and_b32_e32 v31, s9, v31
	v_and_b32_e32 v2, s9, v2
	;; [unrolled: 1-line block ×8, first 2 shown]
	v_lshlrev_b32_e32 v58, 3, v31
	v_lshlrev_b32_e32 v59, 3, v2
	;; [unrolled: 1-line block ×8, first 2 shown]
	ds_read_b64 v[2:3], v58
	ds_read_b64 v[4:5], v59
	;; [unrolled: 1-line block ×5, first 2 shown]
	s_waitcnt lgkmcnt(4)
	v_lshlrev_b64 v[2:3], 2, v[2:3]
	s_waitcnt lgkmcnt(3)
	v_lshlrev_b64 v[4:5], 2, v[4:5]
	v_add_co_u32_e32 v2, vcc, s58, v2
	v_addc_co_u32_e32 v3, vcc, v6, v3, vcc
	s_waitcnt lgkmcnt(2)
	v_lshlrev_b64 v[31:32], 2, v[31:32]
	v_add_co_u32_e32 v4, vcc, s58, v4
	v_addc_co_u32_e32 v5, vcc, v11, v5, vcc
	;; [unrolled: 4-line block ×3, first 2 shown]
	v_add_co_u32_e32 v15, vcc, s58, v33
	v_addc_co_u32_e32 v21, vcc, v21, v34, vcc
	v_add_co_u32_e32 v2, vcc, v2, v50
	v_addc_co_u32_e32 v3, vcc, 0, v3, vcc
	v_add_co_u32_e32 v4, vcc, v4, v50
	v_addc_co_u32_e32 v5, vcc, 0, v5, vcc
	v_add_co_u32_e32 v31, vcc, v6, v50
	v_addc_co_u32_e32 v32, vcc, 0, v11, vcc
	v_add_co_u32_e32 v33, vcc, v15, v50
	v_addc_co_u32_e32 v34, vcc, 0, v21, vcc
	global_store_dword v[2:3], v37, off
	global_store_dword v[4:5], v38, off offset:1024
	global_store_dword v[31:32], v39, off offset:2048
	;; [unrolled: 1-line block ×3, first 2 shown]
	s_waitcnt lgkmcnt(0)
	v_lshlrev_b64 v[33:34], 2, v[35:36]
	ds_read_b64 v[2:3], v63
	ds_read_b64 v[4:5], v64
	ds_read_b64 v[31:32], v65
	v_mov_b32_e32 v6, s59
	v_add_co_u32_e32 v11, vcc, s58, v33
	v_addc_co_u32_e32 v6, vcc, v6, v34, vcc
	v_lshlrev_b32_e32 v15, 2, v57
	v_add_co_u32_e32 v33, vcc, v11, v15
	s_waitcnt lgkmcnt(2)
	v_lshlrev_b64 v[2:3], 2, v[2:3]
	v_addc_co_u32_e32 v34, vcc, 0, v6, vcc
	v_or_b32_e32 v21, 0x500, v0
	v_mov_b32_e32 v11, s59
	v_add_co_u32_e32 v2, vcc, s58, v2
	v_addc_co_u32_e32 v3, vcc, v11, v3, vcc
	v_lshlrev_b32_e32 v11, 2, v21
	v_add_co_u32_e32 v2, vcc, v2, v11
	v_xor_b32_e32 v26, 0x7fffffff, v26
	v_xor_b32_e32 v6, 0x7fffffff, v27
	v_addc_co_u32_e32 v3, vcc, 0, v3, vcc
	global_store_dword v[33:34], v26, off
	global_store_dword v[2:3], v6, off
	s_waitcnt lgkmcnt(1)
	v_lshlrev_b64 v[2:3], 2, v[4:5]
	v_mov_b32_e32 v4, s59
	v_add_co_u32_e32 v2, vcc, s58, v2
	v_addc_co_u32_e32 v3, vcc, v4, v3, vcc
	v_lshlrev_b32_e32 v4, 2, v66
	v_add_co_u32_e32 v2, vcc, v2, v4
	v_xor_b32_e32 v6, 0x7fffffff, v28
	v_addc_co_u32_e32 v3, vcc, 0, v3, vcc
	global_store_dword v[2:3], v6, off
	s_waitcnt lgkmcnt(0)
	v_lshlrev_b64 v[2:3], 2, v[31:32]
	v_mov_b32_e32 v4, s59
	v_add_co_u32_e32 v5, vcc, s58, v2
	v_addc_co_u32_e32 v11, vcc, v4, v3, vcc
	ds_read2st64_b32 v[2:3], v24 offset0:40 offset1:44
	v_lshlrev_b32_e32 v4, 2, v67
	v_add_co_u32_e32 v4, vcc, v5, v4
	v_xor_b32_e32 v6, 0x7fffffff, v29
	v_addc_co_u32_e32 v5, vcc, 0, v11, vcc
	global_store_dword v[4:5], v6, off
	s_waitcnt lgkmcnt(0)
	v_lshrrev_b32_e32 v4, s68, v2
	v_and_b32_e32 v6, s9, v4
	ds_read2st64_b32 v[4:5], v24 offset0:48 offset1:52
	v_lshlrev_b32_e32 v24, 3, v6
	v_lshrrev_b32_e32 v6, s68, v3
	v_and_b32_e32 v6, s9, v6
	v_lshlrev_b32_e32 v69, 3, v6
	s_waitcnt lgkmcnt(0)
	v_lshrrev_b32_e32 v6, s68, v4
	v_and_b32_e32 v6, s9, v6
	v_lshlrev_b32_e32 v70, 3, v6
	v_lshrrev_b32_e32 v6, s68, v5
	v_and_b32_e32 v11, s9, v6
	v_lshlrev_b32_e32 v6, 3, v8
	v_mov_b32_e32 v8, s1
	v_add_co_u32_e32 v6, vcc, s0, v6
	v_addc_co_u32_e32 v8, vcc, 0, v8, vcc
	v_add_co_u32_e32 v6, vcc, v6, v7
	v_addc_co_u32_e32 v7, vcc, 0, v8, vcc
	global_load_dwordx2 v[26:27], v[6:7], off
	s_movk_i32 s0, 0x1000
	global_load_dwordx2 v[28:29], v[6:7], off offset:512
	global_load_dwordx2 v[31:32], v[6:7], off offset:1024
	;; [unrolled: 1-line block ×7, first 2 shown]
	v_add_co_u32_e32 v6, vcc, s0, v6
	v_addc_co_u32_e32 v7, vcc, 0, v7, vcc
	global_load_dwordx2 v[43:44], v[6:7], off
	global_load_dwordx2 v[45:46], v[6:7], off offset:512
	v_lshlrev_b32_e32 v8, 3, v11
	ds_read_b64 v[47:48], v24
	ds_read_b64 v[49:50], v69
	;; [unrolled: 1-line block ×4, first 2 shown]
	global_load_dwordx2 v[55:56], v[6:7], off offset:1024
	s_waitcnt lgkmcnt(3)
	v_lshlrev_b64 v[47:48], 2, v[47:48]
	global_load_dwordx2 v[6:7], v[6:7], off offset:1536
	v_mov_b32_e32 v11, s59
	v_add_co_u32_e32 v15, vcc, s58, v47
	v_addc_co_u32_e32 v11, vcc, v11, v48, vcc
	v_lshlrev_b32_e32 v47, 2, v68
	v_add_co_u32_e32 v47, vcc, v15, v47
	v_xor_b32_e32 v2, 0x7fffffff, v2
	v_addc_co_u32_e32 v48, vcc, 0, v11, vcc
	global_store_dword v[47:48], v2, off
	v_xor_b32_e32 v11, 0x7fffffff, v3
	s_waitcnt lgkmcnt(2)
	v_lshlrev_b64 v[2:3], 2, v[49:50]
	v_or_b32_e32 v47, 0x900, v0
	v_mov_b32_e32 v15, s59
	v_add_co_u32_e32 v2, vcc, s58, v2
	v_addc_co_u32_e32 v3, vcc, v15, v3, vcc
	v_lshlrev_b32_e32 v15, 2, v47
	v_add_co_u32_e32 v2, vcc, v2, v15
	v_addc_co_u32_e32 v3, vcc, 0, v3, vcc
	global_store_dword v[2:3], v11, off
	s_waitcnt lgkmcnt(1)
	v_lshlrev_b64 v[2:3], 2, v[51:52]
	v_or_b32_e32 v48, 0xa00, v0
	v_mov_b32_e32 v11, s59
	v_add_co_u32_e32 v2, vcc, s58, v2
	v_addc_co_u32_e32 v3, vcc, v11, v3, vcc
	v_lshlrev_b32_e32 v11, 2, v48
	v_add_co_u32_e32 v2, vcc, v2, v11
	v_xor_b32_e32 v4, 0x7fffffff, v4
	v_addc_co_u32_e32 v3, vcc, 0, v3, vcc
	global_store_dword v[2:3], v4, off
	s_waitcnt lgkmcnt(0)
	v_lshlrev_b64 v[2:3], 2, v[53:54]
	v_or_b32_e32 v0, 0xb00, v0
	v_xor_b32_e32 v4, 0x7fffffff, v5
	v_mov_b32_e32 v5, s59
	v_add_co_u32_e32 v2, vcc, s58, v2
	v_addc_co_u32_e32 v3, vcc, v5, v3, vcc
	v_lshlrev_b32_e32 v5, 2, v0
	v_add_co_u32_e32 v2, vcc, v2, v5
	v_addc_co_u32_e32 v3, vcc, 0, v3, vcc
	global_store_dword v[2:3], v4, off
	v_lshlrev_b32_e32 v2, 3, v30
	s_waitcnt vmcnt(0)
	s_barrier
	v_lshlrev_b32_e32 v0, 3, v0
	ds_write_b64 v2, v[26:27] offset:2048
	v_lshlrev_b32_e32 v2, 3, v25
	ds_write_b64 v2, v[28:29] offset:2048
	;; [unrolled: 2-line block ×12, first 2 shown]
	s_waitcnt lgkmcnt(0)
	s_barrier
	ds_read_b64 v[6:7], v58
	ds_read2st64_b64 v[2:5], v1 offset0:4 offset1:8
	ds_read_b64 v[11:12], v59
	ds_read_b64 v[13:14], v60
	;; [unrolled: 1-line block ×3, first 2 shown]
	s_waitcnt lgkmcnt(4)
	v_lshlrev_b64 v[6:7], 3, v[6:7]
	v_mov_b32_e32 v17, s63
	v_add_co_u32_e32 v6, vcc, s62, v6
	v_addc_co_u32_e32 v7, vcc, v17, v7, vcc
	v_add_co_u32_e32 v6, vcc, v6, v1
	v_addc_co_u32_e32 v7, vcc, 0, v7, vcc
	s_waitcnt lgkmcnt(3)
	global_store_dwordx2 v[6:7], v[2:3], off
	s_waitcnt lgkmcnt(2)
	v_lshlrev_b64 v[2:3], 3, v[11:12]
	v_mov_b32_e32 v6, s63
	v_add_co_u32_e32 v2, vcc, s62, v2
	v_addc_co_u32_e32 v3, vcc, v6, v3, vcc
	v_add_co_u32_e32 v2, vcc, v2, v1
	v_addc_co_u32_e32 v3, vcc, 0, v3, vcc
	s_waitcnt lgkmcnt(1)
	v_lshlrev_b64 v[6:7], 3, v[13:14]
	global_store_dwordx2 v[2:3], v[4:5], off offset:2048
	ds_read2st64_b64 v[2:5], v1 offset0:12 offset1:16
	v_mov_b32_e32 v11, s63
	v_add_co_u32_e32 v6, vcc, s62, v6
	v_addc_co_u32_e32 v7, vcc, v11, v7, vcc
	v_or_b32_e32 v11, 0x1000, v1
	v_add_co_u32_e32 v6, vcc, v6, v11
	v_addc_co_u32_e32 v7, vcc, 0, v7, vcc
	s_waitcnt lgkmcnt(0)
	global_store_dwordx2 v[6:7], v[2:3], off
	v_lshlrev_b64 v[2:3], 3, v[15:16]
	v_mov_b32_e32 v6, s63
	v_add_co_u32_e32 v2, vcc, s62, v2
	v_addc_co_u32_e32 v3, vcc, v6, v3, vcc
	v_or_b32_e32 v6, 0x1800, v1
	v_add_co_u32_e32 v2, vcc, v2, v6
	v_addc_co_u32_e32 v3, vcc, 0, v3, vcc
	global_store_dwordx2 v[2:3], v[4:5], off
	ds_read_b64 v[6:7], v62
	ds_read2st64_b64 v[2:5], v1 offset0:20 offset1:24
	ds_read_b64 v[11:12], v63
	ds_read_b64 v[13:14], v64
	;; [unrolled: 1-line block ×3, first 2 shown]
	s_waitcnt lgkmcnt(4)
	v_lshlrev_b64 v[6:7], 3, v[6:7]
	v_add_co_u32_e32 v6, vcc, s62, v6
	v_addc_co_u32_e32 v7, vcc, v17, v7, vcc
	v_lshlrev_b32_e32 v17, 3, v57
	v_add_co_u32_e32 v6, vcc, v6, v17
	v_addc_co_u32_e32 v7, vcc, 0, v7, vcc
	s_waitcnt lgkmcnt(3)
	global_store_dwordx2 v[6:7], v[2:3], off
	s_waitcnt lgkmcnt(2)
	v_lshlrev_b64 v[2:3], 3, v[11:12]
	v_mov_b32_e32 v6, s63
	v_add_co_u32_e32 v2, vcc, s62, v2
	v_addc_co_u32_e32 v3, vcc, v6, v3, vcc
	v_lshlrev_b32_e32 v6, 3, v21
	v_add_co_u32_e32 v2, vcc, v2, v6
	v_addc_co_u32_e32 v3, vcc, 0, v3, vcc
	s_waitcnt lgkmcnt(1)
	v_lshlrev_b64 v[6:7], 3, v[13:14]
	global_store_dwordx2 v[2:3], v[4:5], off
	ds_read2st64_b64 v[2:5], v1 offset0:28 offset1:32
	v_mov_b32_e32 v11, s63
	v_add_co_u32_e32 v6, vcc, s62, v6
	v_addc_co_u32_e32 v7, vcc, v11, v7, vcc
	v_lshlrev_b32_e32 v11, 3, v66
	v_add_co_u32_e32 v6, vcc, v6, v11
	v_addc_co_u32_e32 v7, vcc, 0, v7, vcc
	s_waitcnt lgkmcnt(0)
	global_store_dwordx2 v[6:7], v[2:3], off
	v_lshlrev_b64 v[2:3], 3, v[15:16]
	v_mov_b32_e32 v6, s63
	v_add_co_u32_e32 v2, vcc, s62, v2
	v_addc_co_u32_e32 v3, vcc, v6, v3, vcc
	v_lshlrev_b32_e32 v6, 3, v67
	v_add_co_u32_e32 v2, vcc, v2, v6
	v_addc_co_u32_e32 v3, vcc, 0, v3, vcc
	global_store_dwordx2 v[2:3], v[4:5], off
	ds_read_b64 v[6:7], v24
	ds_read2st64_b64 v[2:5], v1 offset0:36 offset1:40
	ds_read_b64 v[11:12], v69
	ds_read_b64 v[13:14], v70
	;; [unrolled: 1-line block ×3, first 2 shown]
	s_waitcnt lgkmcnt(4)
	v_lshlrev_b64 v[6:7], 3, v[6:7]
	v_mov_b32_e32 v8, s63
	v_add_co_u32_e32 v6, vcc, s62, v6
	v_addc_co_u32_e32 v7, vcc, v8, v7, vcc
	v_lshlrev_b32_e32 v8, 3, v68
	v_add_co_u32_e32 v6, vcc, v6, v8
	v_addc_co_u32_e32 v7, vcc, 0, v7, vcc
	s_waitcnt lgkmcnt(3)
	global_store_dwordx2 v[6:7], v[2:3], off
	s_waitcnt lgkmcnt(2)
	v_lshlrev_b64 v[2:3], 3, v[11:12]
	v_mov_b32_e32 v6, s63
	v_add_co_u32_e32 v2, vcc, s62, v2
	v_addc_co_u32_e32 v3, vcc, v6, v3, vcc
	v_lshlrev_b32_e32 v6, 3, v47
	v_add_co_u32_e32 v2, vcc, v2, v6
	v_addc_co_u32_e32 v3, vcc, 0, v3, vcc
	s_waitcnt lgkmcnt(1)
	v_lshlrev_b64 v[6:7], 3, v[13:14]
	global_store_dwordx2 v[2:3], v[4:5], off
	ds_read2st64_b64 v[2:5], v1 offset0:44 offset1:48
	v_mov_b32_e32 v8, s63
	v_add_co_u32_e32 v6, vcc, s62, v6
	v_addc_co_u32_e32 v7, vcc, v8, v7, vcc
	v_lshlrev_b32_e32 v8, 3, v48
	v_add_co_u32_e32 v6, vcc, v6, v8
	v_addc_co_u32_e32 v7, vcc, 0, v7, vcc
	s_waitcnt lgkmcnt(0)
	global_store_dwordx2 v[6:7], v[2:3], off
	v_lshlrev_b64 v[2:3], 3, v[15:16]
	v_mov_b32_e32 v6, s63
	v_add_co_u32_e32 v2, vcc, s62, v2
	v_addc_co_u32_e32 v3, vcc, v6, v3, vcc
	v_add_co_u32_e32 v2, vcc, v2, v0
	v_addc_co_u32_e32 v3, vcc, 0, v3, vcc
	global_store_dwordx2 v[2:3], v[4:5], off
	s_cbranch_scc1 .LBB86_195
; %bb.194:
	ds_read_b64 v[2:3], v1
	v_add_co_u32_e32 v0, vcc, v10, v9
	v_addc_co_u32_e64 v4, s[0:1], 0, 0, vcc
	s_waitcnt lgkmcnt(0)
	v_add_co_u32_e32 v2, vcc, v0, v2
	v_addc_co_u32_e32 v3, vcc, v4, v3, vcc
	global_store_dwordx2 v1, v[2:3], s[66:67]
.LBB86_195:
	s_endpgm
.LBB86_196:
	s_or_b64 exec, exec, s[0:1]
	s_and_saveexec_b64 s[0:1], s[26:27]
	s_cbranch_execz .LBB86_139
.LBB86_197:
	v_lshlrev_b32_e32 v3, 3, v62
	ds_read_b64 v[3:4], v3
	ds_read_b64 v[5:6], v32 offset:4096
	v_mov_b32_e32 v7, s63
	s_waitcnt lgkmcnt(1)
	v_lshlrev_b64 v[3:4], 3, v[3:4]
	v_add_co_u32_e32 v3, vcc, s62, v3
	v_addc_co_u32_e32 v4, vcc, v7, v4, vcc
	v_add_co_u32_e32 v3, vcc, v3, v32
	v_addc_co_u32_e32 v4, vcc, 0, v4, vcc
	s_waitcnt lgkmcnt(0)
	global_store_dwordx2 v[3:4], v[5:6], off offset:2048
	s_or_b64 exec, exec, s[0:1]
	s_and_saveexec_b64 s[0:1], s[28:29]
	s_cbranch_execnz .LBB86_140
.LBB86_198:
	s_or_b64 exec, exec, s[0:1]
	s_and_saveexec_b64 s[0:1], s[30:31]
	s_cbranch_execz .LBB86_141
.LBB86_199:
	v_lshlrev_b32_e32 v3, 3, v60
	ds_read_b64 v[3:4], v3
	ds_read_b64 v[5:6], v32 offset:8192
	v_mov_b32_e32 v7, s63
	s_waitcnt lgkmcnt(1)
	v_lshlrev_b64 v[3:4], 3, v[3:4]
	v_add_co_u32_e32 v3, vcc, s62, v3
	v_addc_co_u32_e32 v4, vcc, v7, v4, vcc
	v_lshlrev_b32_e32 v7, 3, v46
	v_add_co_u32_e32 v3, vcc, v3, v7
	v_addc_co_u32_e32 v4, vcc, 0, v4, vcc
	s_waitcnt lgkmcnt(0)
	global_store_dwordx2 v[3:4], v[5:6], off
	s_or_b64 exec, exec, s[0:1]
	s_and_saveexec_b64 s[0:1], s[34:35]
	s_cbranch_execnz .LBB86_142
.LBB86_200:
	s_or_b64 exec, exec, s[0:1]
	s_and_saveexec_b64 s[0:1], s[36:37]
	s_cbranch_execz .LBB86_143
.LBB86_201:
	v_lshlrev_b32_e32 v3, 3, v58
	ds_read_b64 v[3:4], v3
	ds_read_b64 v[5:6], v32 offset:12288
	v_mov_b32_e32 v7, s63
	s_waitcnt lgkmcnt(1)
	v_lshlrev_b64 v[3:4], 3, v[3:4]
	v_add_co_u32_e32 v3, vcc, s62, v3
	v_addc_co_u32_e32 v4, vcc, v7, v4, vcc
	v_lshlrev_b32_e32 v7, 3, v48
	v_add_co_u32_e32 v3, vcc, v3, v7
	v_addc_co_u32_e32 v4, vcc, 0, v4, vcc
	s_waitcnt lgkmcnt(0)
	global_store_dwordx2 v[3:4], v[5:6], off
	s_or_b64 exec, exec, s[0:1]
	s_and_saveexec_b64 s[0:1], s[38:39]
	s_cbranch_execnz .LBB86_144
.LBB86_202:
	s_or_b64 exec, exec, s[0:1]
	s_and_saveexec_b64 s[0:1], s[40:41]
	s_cbranch_execz .LBB86_145
.LBB86_203:
	v_lshlrev_b32_e32 v3, 3, v56
	ds_read_b64 v[3:4], v3
	ds_read_b64 v[5:6], v32 offset:16384
	v_mov_b32_e32 v7, s63
	s_waitcnt lgkmcnt(1)
	v_lshlrev_b64 v[3:4], 3, v[3:4]
	v_add_co_u32_e32 v3, vcc, s62, v3
	v_addc_co_u32_e32 v4, vcc, v7, v4, vcc
	v_lshlrev_b32_e32 v7, 3, v50
	v_add_co_u32_e32 v3, vcc, v3, v7
	v_addc_co_u32_e32 v4, vcc, 0, v4, vcc
	s_waitcnt lgkmcnt(0)
	global_store_dwordx2 v[3:4], v[5:6], off
	s_or_b64 exec, exec, s[0:1]
	s_and_saveexec_b64 s[0:1], s[42:43]
	s_cbranch_execnz .LBB86_146
.LBB86_204:
	s_or_b64 exec, exec, s[0:1]
	s_and_saveexec_b64 s[0:1], s[44:45]
	s_cbranch_execz .LBB86_147
.LBB86_205:
	v_lshlrev_b32_e32 v3, 3, v28
	ds_read_b64 v[3:4], v3
	ds_read_b64 v[5:6], v32 offset:20480
	v_mov_b32_e32 v7, s63
	s_waitcnt lgkmcnt(1)
	v_lshlrev_b64 v[3:4], 3, v[3:4]
	v_add_co_u32_e32 v3, vcc, s62, v3
	v_addc_co_u32_e32 v4, vcc, v7, v4, vcc
	v_lshlrev_b32_e32 v7, 3, v52
	v_add_co_u32_e32 v3, vcc, v3, v7
	v_addc_co_u32_e32 v4, vcc, 0, v4, vcc
	s_waitcnt lgkmcnt(0)
	global_store_dwordx2 v[3:4], v[5:6], off
	s_or_b64 exec, exec, s[0:1]
	s_and_saveexec_b64 s[0:1], s[46:47]
	s_cbranch_execnz .LBB86_148
.LBB86_206:
	s_or_b64 exec, exec, s[0:1]
	s_and_saveexec_b64 s[0:1], s[48:49]
	s_cbranch_execz .LBB86_149
.LBB86_207:
	v_lshlrev_b32_e32 v3, 3, v27
	ds_read_b64 v[3:4], v3
	ds_read_b64 v[5:6], v32 offset:24576
	v_mov_b32_e32 v7, s63
	s_waitcnt lgkmcnt(1)
	v_lshlrev_b64 v[3:4], 3, v[3:4]
	v_add_co_u32_e32 v3, vcc, s62, v3
	v_addc_co_u32_e32 v4, vcc, v7, v4, vcc
	v_lshlrev_b32_e32 v7, 3, v54
	v_add_co_u32_e32 v3, vcc, v3, v7
	v_addc_co_u32_e32 v4, vcc, 0, v4, vcc
	s_waitcnt lgkmcnt(0)
	global_store_dwordx2 v[3:4], v[5:6], off
	s_or_b64 exec, exec, s[0:1]
	s_add_i32 s33, s33, -1
	s_cmp_eq_u32 s6, s33
	s_cbranch_scc1 .LBB86_150
	s_branch .LBB86_151
	.section	.rodata,"a",@progbits
	.p2align	6, 0x0
	.amdhsa_kernel _ZN7rocprim17ROCPRIM_304000_NS6detail25onesweep_iteration_kernelINS1_34wrapped_radix_sort_onesweep_configINS0_14default_configEiN2at4cuda3cub6detail10OpaqueTypeILi8EEEEELb1EPKiPiPKSA_PSA_mNS0_19identity_decomposerEEEvT1_T2_T3_T4_jPT5_SO_PNS1_23onesweep_lookback_stateET6_jjj
		.amdhsa_group_segment_fixed_size 26624
		.amdhsa_private_segment_fixed_size 0
		.amdhsa_kernarg_size 336
		.amdhsa_user_sgpr_count 6
		.amdhsa_user_sgpr_private_segment_buffer 1
		.amdhsa_user_sgpr_dispatch_ptr 0
		.amdhsa_user_sgpr_queue_ptr 0
		.amdhsa_user_sgpr_kernarg_segment_ptr 1
		.amdhsa_user_sgpr_dispatch_id 0
		.amdhsa_user_sgpr_flat_scratch_init 0
		.amdhsa_user_sgpr_private_segment_size 0
		.amdhsa_uses_dynamic_stack 0
		.amdhsa_system_sgpr_private_segment_wavefront_offset 0
		.amdhsa_system_sgpr_workgroup_id_x 1
		.amdhsa_system_sgpr_workgroup_id_y 0
		.amdhsa_system_sgpr_workgroup_id_z 0
		.amdhsa_system_sgpr_workgroup_info 0
		.amdhsa_system_vgpr_workitem_id 2
		.amdhsa_next_free_vgpr 85
		.amdhsa_next_free_sgpr 98
		.amdhsa_reserve_vcc 1
		.amdhsa_reserve_flat_scratch 0
		.amdhsa_float_round_mode_32 0
		.amdhsa_float_round_mode_16_64 0
		.amdhsa_float_denorm_mode_32 3
		.amdhsa_float_denorm_mode_16_64 3
		.amdhsa_dx10_clamp 1
		.amdhsa_ieee_mode 1
		.amdhsa_fp16_overflow 0
		.amdhsa_exception_fp_ieee_invalid_op 0
		.amdhsa_exception_fp_denorm_src 0
		.amdhsa_exception_fp_ieee_div_zero 0
		.amdhsa_exception_fp_ieee_overflow 0
		.amdhsa_exception_fp_ieee_underflow 0
		.amdhsa_exception_fp_ieee_inexact 0
		.amdhsa_exception_int_div_zero 0
	.end_amdhsa_kernel
	.section	.text._ZN7rocprim17ROCPRIM_304000_NS6detail25onesweep_iteration_kernelINS1_34wrapped_radix_sort_onesweep_configINS0_14default_configEiN2at4cuda3cub6detail10OpaqueTypeILi8EEEEELb1EPKiPiPKSA_PSA_mNS0_19identity_decomposerEEEvT1_T2_T3_T4_jPT5_SO_PNS1_23onesweep_lookback_stateET6_jjj,"axG",@progbits,_ZN7rocprim17ROCPRIM_304000_NS6detail25onesweep_iteration_kernelINS1_34wrapped_radix_sort_onesweep_configINS0_14default_configEiN2at4cuda3cub6detail10OpaqueTypeILi8EEEEELb1EPKiPiPKSA_PSA_mNS0_19identity_decomposerEEEvT1_T2_T3_T4_jPT5_SO_PNS1_23onesweep_lookback_stateET6_jjj,comdat
.Lfunc_end86:
	.size	_ZN7rocprim17ROCPRIM_304000_NS6detail25onesweep_iteration_kernelINS1_34wrapped_radix_sort_onesweep_configINS0_14default_configEiN2at4cuda3cub6detail10OpaqueTypeILi8EEEEELb1EPKiPiPKSA_PSA_mNS0_19identity_decomposerEEEvT1_T2_T3_T4_jPT5_SO_PNS1_23onesweep_lookback_stateET6_jjj, .Lfunc_end86-_ZN7rocprim17ROCPRIM_304000_NS6detail25onesweep_iteration_kernelINS1_34wrapped_radix_sort_onesweep_configINS0_14default_configEiN2at4cuda3cub6detail10OpaqueTypeILi8EEEEELb1EPKiPiPKSA_PSA_mNS0_19identity_decomposerEEEvT1_T2_T3_T4_jPT5_SO_PNS1_23onesweep_lookback_stateET6_jjj
                                        ; -- End function
	.set _ZN7rocprim17ROCPRIM_304000_NS6detail25onesweep_iteration_kernelINS1_34wrapped_radix_sort_onesweep_configINS0_14default_configEiN2at4cuda3cub6detail10OpaqueTypeILi8EEEEELb1EPKiPiPKSA_PSA_mNS0_19identity_decomposerEEEvT1_T2_T3_T4_jPT5_SO_PNS1_23onesweep_lookback_stateET6_jjj.num_vgpr, 71
	.set _ZN7rocprim17ROCPRIM_304000_NS6detail25onesweep_iteration_kernelINS1_34wrapped_radix_sort_onesweep_configINS0_14default_configEiN2at4cuda3cub6detail10OpaqueTypeILi8EEEEELb1EPKiPiPKSA_PSA_mNS0_19identity_decomposerEEEvT1_T2_T3_T4_jPT5_SO_PNS1_23onesweep_lookback_stateET6_jjj.num_agpr, 0
	.set _ZN7rocprim17ROCPRIM_304000_NS6detail25onesweep_iteration_kernelINS1_34wrapped_radix_sort_onesweep_configINS0_14default_configEiN2at4cuda3cub6detail10OpaqueTypeILi8EEEEELb1EPKiPiPKSA_PSA_mNS0_19identity_decomposerEEEvT1_T2_T3_T4_jPT5_SO_PNS1_23onesweep_lookback_stateET6_jjj.numbered_sgpr, 75
	.set _ZN7rocprim17ROCPRIM_304000_NS6detail25onesweep_iteration_kernelINS1_34wrapped_radix_sort_onesweep_configINS0_14default_configEiN2at4cuda3cub6detail10OpaqueTypeILi8EEEEELb1EPKiPiPKSA_PSA_mNS0_19identity_decomposerEEEvT1_T2_T3_T4_jPT5_SO_PNS1_23onesweep_lookback_stateET6_jjj.num_named_barrier, 0
	.set _ZN7rocprim17ROCPRIM_304000_NS6detail25onesweep_iteration_kernelINS1_34wrapped_radix_sort_onesweep_configINS0_14default_configEiN2at4cuda3cub6detail10OpaqueTypeILi8EEEEELb1EPKiPiPKSA_PSA_mNS0_19identity_decomposerEEEvT1_T2_T3_T4_jPT5_SO_PNS1_23onesweep_lookback_stateET6_jjj.private_seg_size, 0
	.set _ZN7rocprim17ROCPRIM_304000_NS6detail25onesweep_iteration_kernelINS1_34wrapped_radix_sort_onesweep_configINS0_14default_configEiN2at4cuda3cub6detail10OpaqueTypeILi8EEEEELb1EPKiPiPKSA_PSA_mNS0_19identity_decomposerEEEvT1_T2_T3_T4_jPT5_SO_PNS1_23onesweep_lookback_stateET6_jjj.uses_vcc, 1
	.set _ZN7rocprim17ROCPRIM_304000_NS6detail25onesweep_iteration_kernelINS1_34wrapped_radix_sort_onesweep_configINS0_14default_configEiN2at4cuda3cub6detail10OpaqueTypeILi8EEEEELb1EPKiPiPKSA_PSA_mNS0_19identity_decomposerEEEvT1_T2_T3_T4_jPT5_SO_PNS1_23onesweep_lookback_stateET6_jjj.uses_flat_scratch, 0
	.set _ZN7rocprim17ROCPRIM_304000_NS6detail25onesweep_iteration_kernelINS1_34wrapped_radix_sort_onesweep_configINS0_14default_configEiN2at4cuda3cub6detail10OpaqueTypeILi8EEEEELb1EPKiPiPKSA_PSA_mNS0_19identity_decomposerEEEvT1_T2_T3_T4_jPT5_SO_PNS1_23onesweep_lookback_stateET6_jjj.has_dyn_sized_stack, 0
	.set _ZN7rocprim17ROCPRIM_304000_NS6detail25onesweep_iteration_kernelINS1_34wrapped_radix_sort_onesweep_configINS0_14default_configEiN2at4cuda3cub6detail10OpaqueTypeILi8EEEEELb1EPKiPiPKSA_PSA_mNS0_19identity_decomposerEEEvT1_T2_T3_T4_jPT5_SO_PNS1_23onesweep_lookback_stateET6_jjj.has_recursion, 0
	.set _ZN7rocprim17ROCPRIM_304000_NS6detail25onesweep_iteration_kernelINS1_34wrapped_radix_sort_onesweep_configINS0_14default_configEiN2at4cuda3cub6detail10OpaqueTypeILi8EEEEELb1EPKiPiPKSA_PSA_mNS0_19identity_decomposerEEEvT1_T2_T3_T4_jPT5_SO_PNS1_23onesweep_lookback_stateET6_jjj.has_indirect_call, 0
	.section	.AMDGPU.csdata,"",@progbits
; Kernel info:
; codeLenInByte = 19016
; TotalNumSgprs: 79
; NumVgprs: 71
; ScratchSize: 0
; MemoryBound: 0
; FloatMode: 240
; IeeeMode: 1
; LDSByteSize: 26624 bytes/workgroup (compile time only)
; SGPRBlocks: 12
; VGPRBlocks: 21
; NumSGPRsForWavesPerEU: 102
; NumVGPRsForWavesPerEU: 85
; Occupancy: 2
; WaveLimiterHint : 1
; COMPUTE_PGM_RSRC2:SCRATCH_EN: 0
; COMPUTE_PGM_RSRC2:USER_SGPR: 6
; COMPUTE_PGM_RSRC2:TRAP_HANDLER: 0
; COMPUTE_PGM_RSRC2:TGID_X_EN: 1
; COMPUTE_PGM_RSRC2:TGID_Y_EN: 0
; COMPUTE_PGM_RSRC2:TGID_Z_EN: 0
; COMPUTE_PGM_RSRC2:TIDIG_COMP_CNT: 2
	.section	.text._ZN7rocprim17ROCPRIM_304000_NS6detail25onesweep_iteration_kernelINS1_34wrapped_radix_sort_onesweep_configINS0_14default_configEiN2at4cuda3cub6detail10OpaqueTypeILi8EEEEELb1EPiSC_PSA_SD_mNS0_19identity_decomposerEEEvT1_T2_T3_T4_jPT5_SK_PNS1_23onesweep_lookback_stateET6_jjj,"axG",@progbits,_ZN7rocprim17ROCPRIM_304000_NS6detail25onesweep_iteration_kernelINS1_34wrapped_radix_sort_onesweep_configINS0_14default_configEiN2at4cuda3cub6detail10OpaqueTypeILi8EEEEELb1EPiSC_PSA_SD_mNS0_19identity_decomposerEEEvT1_T2_T3_T4_jPT5_SK_PNS1_23onesweep_lookback_stateET6_jjj,comdat
	.protected	_ZN7rocprim17ROCPRIM_304000_NS6detail25onesweep_iteration_kernelINS1_34wrapped_radix_sort_onesweep_configINS0_14default_configEiN2at4cuda3cub6detail10OpaqueTypeILi8EEEEELb1EPiSC_PSA_SD_mNS0_19identity_decomposerEEEvT1_T2_T3_T4_jPT5_SK_PNS1_23onesweep_lookback_stateET6_jjj ; -- Begin function _ZN7rocprim17ROCPRIM_304000_NS6detail25onesweep_iteration_kernelINS1_34wrapped_radix_sort_onesweep_configINS0_14default_configEiN2at4cuda3cub6detail10OpaqueTypeILi8EEEEELb1EPiSC_PSA_SD_mNS0_19identity_decomposerEEEvT1_T2_T3_T4_jPT5_SK_PNS1_23onesweep_lookback_stateET6_jjj
	.globl	_ZN7rocprim17ROCPRIM_304000_NS6detail25onesweep_iteration_kernelINS1_34wrapped_radix_sort_onesweep_configINS0_14default_configEiN2at4cuda3cub6detail10OpaqueTypeILi8EEEEELb1EPiSC_PSA_SD_mNS0_19identity_decomposerEEEvT1_T2_T3_T4_jPT5_SK_PNS1_23onesweep_lookback_stateET6_jjj
	.p2align	8
	.type	_ZN7rocprim17ROCPRIM_304000_NS6detail25onesweep_iteration_kernelINS1_34wrapped_radix_sort_onesweep_configINS0_14default_configEiN2at4cuda3cub6detail10OpaqueTypeILi8EEEEELb1EPiSC_PSA_SD_mNS0_19identity_decomposerEEEvT1_T2_T3_T4_jPT5_SK_PNS1_23onesweep_lookback_stateET6_jjj,@function
_ZN7rocprim17ROCPRIM_304000_NS6detail25onesweep_iteration_kernelINS1_34wrapped_radix_sort_onesweep_configINS0_14default_configEiN2at4cuda3cub6detail10OpaqueTypeILi8EEEEELb1EPiSC_PSA_SD_mNS0_19identity_decomposerEEEvT1_T2_T3_T4_jPT5_SK_PNS1_23onesweep_lookback_stateET6_jjj: ; @_ZN7rocprim17ROCPRIM_304000_NS6detail25onesweep_iteration_kernelINS1_34wrapped_radix_sort_onesweep_configINS0_14default_configEiN2at4cuda3cub6detail10OpaqueTypeILi8EEEEELb1EPiSC_PSA_SD_mNS0_19identity_decomposerEEEvT1_T2_T3_T4_jPT5_SK_PNS1_23onesweep_lookback_stateET6_jjj
; %bb.0:
	s_load_dwordx8 s[56:63], s[4:5], 0x0
	s_load_dwordx4 s[68:71], s[4:5], 0x44
	s_load_dwordx4 s[64:67], s[4:5], 0x28
	s_load_dwordx2 s[72:73], s[4:5], 0x38
	s_mov_b32 s7, s6
	s_mov_b64 s[0:1], -1
	s_waitcnt lgkmcnt(0)
	s_cmp_ge_u32 s6, s70
	s_mul_i32 s54, s6, 0xc00
	v_mbcnt_lo_u32_b32 v29, -1, 0
	s_cbranch_scc0 .LBB87_152
; %bb.1:
	s_load_dword s2, s[4:5], 0x20
	s_mulk_i32 s70, 0xf400
	s_mov_b32 s55, 0
	s_lshl_b64 s[0:1], s[54:55], 2
	v_mbcnt_hi_u32_b32 v10, -1, v29
	s_waitcnt lgkmcnt(0)
	s_add_i32 s70, s70, s2
	s_add_u32 s0, s56, s0
	s_addc_u32 s1, s57, s1
	v_and_b32_e32 v19, 0xc0, v0
	v_lshlrev_b32_e32 v3, 2, v10
	v_mul_u32_u24_e32 v9, 12, v19
	v_mov_b32_e32 v4, s1
	v_add_co_u32_e32 v3, vcc, s0, v3
	v_addc_co_u32_e32 v4, vcc, 0, v4, vcc
	v_lshlrev_b32_e32 v5, 2, v9
	v_add_co_u32_e32 v3, vcc, v3, v5
	v_addc_co_u32_e32 v4, vcc, 0, v4, vcc
	v_or_b32_e32 v5, v10, v9
	v_mov_b32_e32 v7, -1
	v_cmp_gt_u32_e32 vcc, s70, v5
	v_mov_b32_e32 v8, -1
	s_and_saveexec_b64 s[0:1], vcc
	s_cbranch_execz .LBB87_3
; %bb.2:
	global_load_dword v6, v[3:4], off
	s_waitcnt vmcnt(0)
	v_xor_b32_e32 v8, 0x7fffffff, v6
.LBB87_3:
	s_or_b64 exec, exec, s[0:1]
	v_add_u32_e32 v6, 64, v5
	v_cmp_gt_u32_e64 s[0:1], s70, v6
	s_and_saveexec_b64 s[2:3], s[0:1]
	s_cbranch_execz .LBB87_5
; %bb.4:
	global_load_dword v6, v[3:4], off offset:256
	s_waitcnt vmcnt(0)
	v_xor_b32_e32 v7, 0x7fffffff, v6
.LBB87_5:
	s_or_b64 exec, exec, s[2:3]
	v_add_u32_e32 v6, 0x80, v5
	v_cmp_gt_u32_e64 s[2:3], s70, v6
	v_mov_b32_e32 v11, -1
	v_mov_b32_e32 v12, -1
	s_and_saveexec_b64 s[8:9], s[2:3]
	s_cbranch_execz .LBB87_7
; %bb.6:
	global_load_dword v6, v[3:4], off offset:512
	s_waitcnt vmcnt(0)
	v_xor_b32_e32 v12, 0x7fffffff, v6
.LBB87_7:
	s_or_b64 exec, exec, s[8:9]
	v_add_u32_e32 v6, 0xc0, v5
	v_cmp_gt_u32_e64 s[50:51], s70, v6
	s_and_saveexec_b64 s[8:9], s[50:51]
	s_cbranch_execz .LBB87_9
; %bb.8:
	global_load_dword v6, v[3:4], off offset:768
	s_waitcnt vmcnt(0)
	v_xor_b32_e32 v11, 0x7fffffff, v6
.LBB87_9:
	s_or_b64 exec, exec, s[8:9]
	v_add_u32_e32 v6, 0x100, v5
	v_cmp_gt_u32_e64 s[8:9], s70, v6
	v_mov_b32_e32 v13, -1
	v_mov_b32_e32 v14, -1
	s_and_saveexec_b64 s[10:11], s[8:9]
	s_cbranch_execz .LBB87_11
; %bb.10:
	global_load_dword v6, v[3:4], off offset:1024
	s_waitcnt vmcnt(0)
	v_xor_b32_e32 v14, 0x7fffffff, v6
.LBB87_11:
	;; [unrolled: 22-line block ×5, first 2 shown]
	s_or_b64 exec, exec, s[14:15]
	v_add_u32_e32 v5, 0x2c0, v5
	v_cmp_gt_u32_e64 s[14:15], s70, v5
	s_and_saveexec_b64 s[24:25], s[14:15]
	s_cbranch_execz .LBB87_25
; %bb.24:
	global_load_dword v3, v[3:4], off offset:2816
	s_waitcnt vmcnt(0)
	v_xor_b32_e32 v20, 0x7fffffff, v3
.LBB87_25:
	s_or_b64 exec, exec, s[24:25]
	s_load_dword s24, s[4:5], 0x5c
	s_load_dword s33, s[4:5], 0x50
	s_add_u32 s25, s4, 0x50
	s_addc_u32 s26, s5, 0
	v_mov_b32_e32 v3, 0
	s_waitcnt lgkmcnt(0)
	s_lshr_b32 s27, s24, 16
	s_cmp_lt_u32 s6, s33
	s_cselect_b32 s24, 12, 18
	s_add_u32 s24, s25, s24
	s_addc_u32 s25, s26, 0
	global_load_ushort v5, v3, s[24:25]
	s_lshl_b32 s24, -1, s69
	v_lshrrev_b32_e32 v4, s68, v8
	s_not_b32 s74, s24
	v_and_b32_e32 v23, s74, v4
	v_and_b32_e32 v24, 1, v23
	v_add_co_u32_e64 v26, s[24:25], -1, v24
	v_lshlrev_b32_e32 v4, 30, v23
	v_addc_co_u32_e64 v27, s[24:25], 0, -1, s[24:25]
	v_mad_u32_u24 v6, v2, s27, v1
	v_cmp_ne_u32_e64 s[24:25], 0, v24
	v_cmp_gt_i64_e64 s[26:27], 0, v[3:4]
	v_not_b32_e32 v24, v4
	v_lshlrev_b32_e32 v4, 29, v23
	v_xor_b32_e32 v27, s25, v27
	v_xor_b32_e32 v26, s24, v26
	v_ashrrev_i32_e32 v24, 31, v24
	v_cmp_gt_i64_e64 s[24:25], 0, v[3:4]
	v_not_b32_e32 v28, v4
	v_lshlrev_b32_e32 v4, 28, v23
	v_and_b32_e32 v27, exec_hi, v27
	v_and_b32_e32 v26, exec_lo, v26
	v_xor_b32_e32 v30, s27, v24
	v_xor_b32_e32 v24, s26, v24
	v_ashrrev_i32_e32 v28, 31, v28
	v_cmp_gt_i64_e64 s[26:27], 0, v[3:4]
	v_not_b32_e32 v31, v4
	v_lshlrev_b32_e32 v4, 27, v23
	v_and_b32_e32 v27, v27, v30
	v_and_b32_e32 v24, v26, v24
	v_xor_b32_e32 v26, s25, v28
	v_xor_b32_e32 v28, s24, v28
	v_ashrrev_i32_e32 v30, 31, v31
	v_cmp_gt_i64_e64 s[24:25], 0, v[3:4]
	v_not_b32_e32 v31, v4
	v_lshlrev_b32_e32 v4, 26, v23
	v_and_b32_e32 v26, v27, v26
	v_and_b32_e32 v24, v24, v28
	;; [unrolled: 8-line block ×3, first 2 shown]
	v_xor_b32_e32 v27, s25, v30
	v_xor_b32_e32 v28, s24, v30
	v_ashrrev_i32_e32 v30, 31, v31
	v_cmp_gt_i64_e64 s[24:25], 0, v[3:4]
	v_not_b32_e32 v31, v4
	v_mul_lo_u32 v25, v23, 20
	v_lshlrev_b32_e32 v4, 24, v23
	v_and_b32_e32 v23, v26, v27
	v_and_b32_e32 v24, v24, v28
	v_xor_b32_e32 v26, s27, v30
	v_xor_b32_e32 v27, s26, v30
	v_ashrrev_i32_e32 v28, 31, v31
	v_and_b32_e32 v23, v23, v26
	v_and_b32_e32 v24, v24, v27
	v_xor_b32_e32 v26, s25, v28
	v_xor_b32_e32 v27, s24, v28
	v_cmp_gt_i64_e64 s[26:27], 0, v[3:4]
	v_not_b32_e32 v4, v4
	v_and_b32_e32 v26, v23, v26
	v_and_b32_e32 v27, v24, v27
	v_ashrrev_i32_e32 v4, 31, v4
	v_xor_b32_e32 v28, s27, v4
	v_xor_b32_e32 v4, s26, v4
	v_and_b32_e32 v4, v27, v4
	v_mul_u32_u24_e32 v22, 20, v0
	ds_write2_b32 v22, v3, v3 offset0:4 offset1:5
	ds_write2_b32 v22, v3, v3 offset0:6 offset1:7
	ds_write_b32 v22, v3 offset:32
	s_waitcnt vmcnt(0) lgkmcnt(0)
	s_barrier
	; wave barrier
	v_mad_u64_u32 v[23:24], s[24:25], v6, v5, v[0:1]
	v_and_b32_e32 v5, v26, v28
	v_cmp_ne_u64_e64 s[24:25], 0, v[4:5]
	v_lshrrev_b32_e32 v6, 6, v23
	v_mbcnt_lo_u32_b32 v23, v4, 0
	v_mbcnt_hi_u32_b32 v23, v5, v23
	v_cmp_eq_u32_e64 s[26:27], 0, v23
	v_lshl_add_u32 v24, v6, 2, v25
	s_and_b64 s[26:27], s[24:25], s[26:27]
	s_and_saveexec_b64 s[24:25], s[26:27]
; %bb.26:
	v_bcnt_u32_b32 v4, v4, 0
	v_bcnt_u32_b32 v4, v5, v4
	ds_write_b32 v24, v4 offset:16
; %bb.27:
	s_or_b64 exec, exec, s[24:25]
	v_lshrrev_b32_e32 v4, s68, v7
	v_and_b32_e32 v5, s74, v4
	v_mul_lo_u32 v4, v5, 20
	v_and_b32_e32 v27, 1, v5
	; wave barrier
	v_lshl_add_u32 v26, v6, 2, v4
	v_add_co_u32_e64 v4, s[24:25], -1, v27
	v_addc_co_u32_e64 v28, s[24:25], 0, -1, s[24:25]
	v_cmp_ne_u32_e64 s[24:25], 0, v27
	v_xor_b32_e32 v4, s24, v4
	v_xor_b32_e32 v27, s25, v28
	v_and_b32_e32 v28, exec_lo, v4
	v_lshlrev_b32_e32 v4, 30, v5
	v_cmp_gt_i64_e64 s[24:25], 0, v[3:4]
	v_not_b32_e32 v4, v4
	v_ashrrev_i32_e32 v4, 31, v4
	v_xor_b32_e32 v30, s25, v4
	v_xor_b32_e32 v4, s24, v4
	v_and_b32_e32 v28, v28, v4
	v_lshlrev_b32_e32 v4, 29, v5
	v_cmp_gt_i64_e64 s[24:25], 0, v[3:4]
	v_not_b32_e32 v4, v4
	v_and_b32_e32 v27, exec_hi, v27
	v_ashrrev_i32_e32 v4, 31, v4
	v_and_b32_e32 v27, v27, v30
	v_xor_b32_e32 v30, s25, v4
	v_xor_b32_e32 v4, s24, v4
	v_and_b32_e32 v28, v28, v4
	v_lshlrev_b32_e32 v4, 28, v5
	v_cmp_gt_i64_e64 s[24:25], 0, v[3:4]
	v_not_b32_e32 v4, v4
	v_ashrrev_i32_e32 v4, 31, v4
	v_and_b32_e32 v27, v27, v30
	v_xor_b32_e32 v30, s25, v4
	v_xor_b32_e32 v4, s24, v4
	v_and_b32_e32 v28, v28, v4
	v_lshlrev_b32_e32 v4, 27, v5
	v_cmp_gt_i64_e64 s[24:25], 0, v[3:4]
	v_not_b32_e32 v4, v4
	;; [unrolled: 8-line block ×5, first 2 shown]
	v_ashrrev_i32_e32 v3, 31, v3
	v_xor_b32_e32 v4, s25, v3
	v_xor_b32_e32 v3, s24, v3
	ds_read_b32 v25, v26 offset:16
	v_and_b32_e32 v27, v27, v30
	v_and_b32_e32 v3, v28, v3
	;; [unrolled: 1-line block ×3, first 2 shown]
	v_mbcnt_lo_u32_b32 v5, v3, 0
	v_mbcnt_hi_u32_b32 v27, v4, v5
	v_cmp_ne_u64_e64 s[24:25], 0, v[3:4]
	v_cmp_eq_u32_e64 s[26:27], 0, v27
	s_and_b64 s[26:27], s[24:25], s[26:27]
	; wave barrier
	s_and_saveexec_b64 s[24:25], s[26:27]
	s_cbranch_execz .LBB87_29
; %bb.28:
	v_bcnt_u32_b32 v3, v3, 0
	v_bcnt_u32_b32 v3, v4, v3
	s_waitcnt lgkmcnt(0)
	v_add_u32_e32 v3, v25, v3
	ds_write_b32 v26, v3 offset:16
.LBB87_29:
	s_or_b64 exec, exec, s[24:25]
	v_lshrrev_b32_e32 v3, s68, v12
	v_and_b32_e32 v5, s74, v3
	v_and_b32_e32 v4, 1, v5
	v_mul_lo_u32 v3, v5, 20
	v_add_co_u32_e64 v31, s[24:25], -1, v4
	v_addc_co_u32_e64 v32, s[24:25], 0, -1, s[24:25]
	v_cmp_ne_u32_e64 s[24:25], 0, v4
	v_xor_b32_e32 v4, s25, v32
	v_lshl_add_u32 v30, v6, 2, v3
	v_mov_b32_e32 v3, 0
	v_and_b32_e32 v32, exec_hi, v4
	v_lshlrev_b32_e32 v4, 30, v5
	v_xor_b32_e32 v31, s24, v31
	v_cmp_gt_i64_e64 s[24:25], 0, v[3:4]
	v_not_b32_e32 v4, v4
	v_ashrrev_i32_e32 v4, 31, v4
	v_and_b32_e32 v31, exec_lo, v31
	v_xor_b32_e32 v33, s25, v4
	v_xor_b32_e32 v4, s24, v4
	v_and_b32_e32 v31, v31, v4
	v_lshlrev_b32_e32 v4, 29, v5
	v_cmp_gt_i64_e64 s[24:25], 0, v[3:4]
	v_not_b32_e32 v4, v4
	v_ashrrev_i32_e32 v4, 31, v4
	v_and_b32_e32 v32, v32, v33
	v_xor_b32_e32 v33, s25, v4
	v_xor_b32_e32 v4, s24, v4
	v_and_b32_e32 v31, v31, v4
	v_lshlrev_b32_e32 v4, 28, v5
	v_cmp_gt_i64_e64 s[24:25], 0, v[3:4]
	v_not_b32_e32 v4, v4
	v_ashrrev_i32_e32 v4, 31, v4
	v_and_b32_e32 v32, v32, v33
	;; [unrolled: 8-line block ×5, first 2 shown]
	v_xor_b32_e32 v33, s25, v4
	v_xor_b32_e32 v4, s24, v4
	v_and_b32_e32 v31, v31, v4
	v_lshlrev_b32_e32 v4, 24, v5
	v_cmp_gt_i64_e64 s[24:25], 0, v[3:4]
	v_not_b32_e32 v4, v4
	v_ashrrev_i32_e32 v4, 31, v4
	v_xor_b32_e32 v5, s25, v4
	v_xor_b32_e32 v4, s24, v4
	; wave barrier
	ds_read_b32 v28, v30 offset:16
	v_and_b32_e32 v32, v32, v33
	v_and_b32_e32 v4, v31, v4
	;; [unrolled: 1-line block ×3, first 2 shown]
	v_mbcnt_lo_u32_b32 v31, v4, 0
	v_mbcnt_hi_u32_b32 v31, v5, v31
	v_cmp_ne_u64_e64 s[24:25], 0, v[4:5]
	v_cmp_eq_u32_e64 s[26:27], 0, v31
	s_and_b64 s[26:27], s[24:25], s[26:27]
	; wave barrier
	s_and_saveexec_b64 s[24:25], s[26:27]
	s_cbranch_execz .LBB87_31
; %bb.30:
	v_bcnt_u32_b32 v4, v4, 0
	v_bcnt_u32_b32 v4, v5, v4
	s_waitcnt lgkmcnt(0)
	v_add_u32_e32 v4, v28, v4
	ds_write_b32 v30, v4 offset:16
.LBB87_31:
	s_or_b64 exec, exec, s[24:25]
	v_lshrrev_b32_e32 v4, s68, v11
	v_and_b32_e32 v5, s74, v4
	v_mul_lo_u32 v4, v5, 20
	v_and_b32_e32 v34, 1, v5
	; wave barrier
	v_lshl_add_u32 v33, v6, 2, v4
	v_add_co_u32_e64 v4, s[24:25], -1, v34
	v_addc_co_u32_e64 v35, s[24:25], 0, -1, s[24:25]
	v_cmp_ne_u32_e64 s[24:25], 0, v34
	v_xor_b32_e32 v4, s24, v4
	v_xor_b32_e32 v34, s25, v35
	v_and_b32_e32 v35, exec_lo, v4
	v_lshlrev_b32_e32 v4, 30, v5
	v_cmp_gt_i64_e64 s[24:25], 0, v[3:4]
	v_not_b32_e32 v4, v4
	v_ashrrev_i32_e32 v4, 31, v4
	v_xor_b32_e32 v36, s25, v4
	v_xor_b32_e32 v4, s24, v4
	v_and_b32_e32 v35, v35, v4
	v_lshlrev_b32_e32 v4, 29, v5
	v_cmp_gt_i64_e64 s[24:25], 0, v[3:4]
	v_not_b32_e32 v4, v4
	v_and_b32_e32 v34, exec_hi, v34
	v_ashrrev_i32_e32 v4, 31, v4
	v_and_b32_e32 v34, v34, v36
	v_xor_b32_e32 v36, s25, v4
	v_xor_b32_e32 v4, s24, v4
	v_and_b32_e32 v35, v35, v4
	v_lshlrev_b32_e32 v4, 28, v5
	v_cmp_gt_i64_e64 s[24:25], 0, v[3:4]
	v_not_b32_e32 v4, v4
	v_ashrrev_i32_e32 v4, 31, v4
	v_and_b32_e32 v34, v34, v36
	v_xor_b32_e32 v36, s25, v4
	v_xor_b32_e32 v4, s24, v4
	v_and_b32_e32 v35, v35, v4
	v_lshlrev_b32_e32 v4, 27, v5
	v_cmp_gt_i64_e64 s[24:25], 0, v[3:4]
	v_not_b32_e32 v4, v4
	;; [unrolled: 8-line block ×5, first 2 shown]
	v_ashrrev_i32_e32 v3, 31, v3
	v_xor_b32_e32 v4, s25, v3
	v_xor_b32_e32 v3, s24, v3
	ds_read_b32 v32, v33 offset:16
	v_and_b32_e32 v34, v34, v36
	v_and_b32_e32 v3, v35, v3
	;; [unrolled: 1-line block ×3, first 2 shown]
	v_mbcnt_lo_u32_b32 v5, v3, 0
	v_mbcnt_hi_u32_b32 v34, v4, v5
	v_cmp_ne_u64_e64 s[24:25], 0, v[3:4]
	v_cmp_eq_u32_e64 s[26:27], 0, v34
	s_and_b64 s[26:27], s[24:25], s[26:27]
	; wave barrier
	s_and_saveexec_b64 s[24:25], s[26:27]
	s_cbranch_execz .LBB87_33
; %bb.32:
	v_bcnt_u32_b32 v3, v3, 0
	v_bcnt_u32_b32 v3, v4, v3
	s_waitcnt lgkmcnt(0)
	v_add_u32_e32 v3, v32, v3
	ds_write_b32 v33, v3 offset:16
.LBB87_33:
	s_or_b64 exec, exec, s[24:25]
	v_lshrrev_b32_e32 v3, s68, v14
	v_and_b32_e32 v5, s74, v3
	v_and_b32_e32 v4, 1, v5
	v_mul_lo_u32 v3, v5, 20
	v_add_co_u32_e64 v37, s[24:25], -1, v4
	v_addc_co_u32_e64 v38, s[24:25], 0, -1, s[24:25]
	v_cmp_ne_u32_e64 s[24:25], 0, v4
	v_xor_b32_e32 v4, s25, v38
	v_lshl_add_u32 v36, v6, 2, v3
	v_mov_b32_e32 v3, 0
	v_and_b32_e32 v38, exec_hi, v4
	v_lshlrev_b32_e32 v4, 30, v5
	v_xor_b32_e32 v37, s24, v37
	v_cmp_gt_i64_e64 s[24:25], 0, v[3:4]
	v_not_b32_e32 v4, v4
	v_ashrrev_i32_e32 v4, 31, v4
	v_and_b32_e32 v37, exec_lo, v37
	v_xor_b32_e32 v39, s25, v4
	v_xor_b32_e32 v4, s24, v4
	v_and_b32_e32 v37, v37, v4
	v_lshlrev_b32_e32 v4, 29, v5
	v_cmp_gt_i64_e64 s[24:25], 0, v[3:4]
	v_not_b32_e32 v4, v4
	v_ashrrev_i32_e32 v4, 31, v4
	v_and_b32_e32 v38, v38, v39
	v_xor_b32_e32 v39, s25, v4
	v_xor_b32_e32 v4, s24, v4
	v_and_b32_e32 v37, v37, v4
	v_lshlrev_b32_e32 v4, 28, v5
	v_cmp_gt_i64_e64 s[24:25], 0, v[3:4]
	v_not_b32_e32 v4, v4
	v_ashrrev_i32_e32 v4, 31, v4
	v_and_b32_e32 v38, v38, v39
	;; [unrolled: 8-line block ×5, first 2 shown]
	v_xor_b32_e32 v39, s25, v4
	v_xor_b32_e32 v4, s24, v4
	v_and_b32_e32 v37, v37, v4
	v_lshlrev_b32_e32 v4, 24, v5
	v_cmp_gt_i64_e64 s[24:25], 0, v[3:4]
	v_not_b32_e32 v4, v4
	v_ashrrev_i32_e32 v4, 31, v4
	v_xor_b32_e32 v5, s25, v4
	v_xor_b32_e32 v4, s24, v4
	; wave barrier
	ds_read_b32 v35, v36 offset:16
	v_and_b32_e32 v38, v38, v39
	v_and_b32_e32 v4, v37, v4
	;; [unrolled: 1-line block ×3, first 2 shown]
	v_mbcnt_lo_u32_b32 v37, v4, 0
	v_mbcnt_hi_u32_b32 v37, v5, v37
	v_cmp_ne_u64_e64 s[24:25], 0, v[4:5]
	v_cmp_eq_u32_e64 s[26:27], 0, v37
	s_and_b64 s[26:27], s[24:25], s[26:27]
	; wave barrier
	s_and_saveexec_b64 s[24:25], s[26:27]
	s_cbranch_execz .LBB87_35
; %bb.34:
	v_bcnt_u32_b32 v4, v4, 0
	v_bcnt_u32_b32 v4, v5, v4
	s_waitcnt lgkmcnt(0)
	v_add_u32_e32 v4, v35, v4
	ds_write_b32 v36, v4 offset:16
.LBB87_35:
	s_or_b64 exec, exec, s[24:25]
	v_lshrrev_b32_e32 v4, s68, v13
	v_and_b32_e32 v5, s74, v4
	v_mul_lo_u32 v4, v5, 20
	v_and_b32_e32 v40, 1, v5
	; wave barrier
	v_lshl_add_u32 v39, v6, 2, v4
	v_add_co_u32_e64 v4, s[24:25], -1, v40
	v_addc_co_u32_e64 v41, s[24:25], 0, -1, s[24:25]
	v_cmp_ne_u32_e64 s[24:25], 0, v40
	v_xor_b32_e32 v4, s24, v4
	v_xor_b32_e32 v40, s25, v41
	v_and_b32_e32 v41, exec_lo, v4
	v_lshlrev_b32_e32 v4, 30, v5
	v_cmp_gt_i64_e64 s[24:25], 0, v[3:4]
	v_not_b32_e32 v4, v4
	v_ashrrev_i32_e32 v4, 31, v4
	v_xor_b32_e32 v42, s25, v4
	v_xor_b32_e32 v4, s24, v4
	v_and_b32_e32 v41, v41, v4
	v_lshlrev_b32_e32 v4, 29, v5
	v_cmp_gt_i64_e64 s[24:25], 0, v[3:4]
	v_not_b32_e32 v4, v4
	v_and_b32_e32 v40, exec_hi, v40
	v_ashrrev_i32_e32 v4, 31, v4
	v_and_b32_e32 v40, v40, v42
	v_xor_b32_e32 v42, s25, v4
	v_xor_b32_e32 v4, s24, v4
	v_and_b32_e32 v41, v41, v4
	v_lshlrev_b32_e32 v4, 28, v5
	v_cmp_gt_i64_e64 s[24:25], 0, v[3:4]
	v_not_b32_e32 v4, v4
	v_ashrrev_i32_e32 v4, 31, v4
	v_and_b32_e32 v40, v40, v42
	v_xor_b32_e32 v42, s25, v4
	v_xor_b32_e32 v4, s24, v4
	v_and_b32_e32 v41, v41, v4
	v_lshlrev_b32_e32 v4, 27, v5
	v_cmp_gt_i64_e64 s[24:25], 0, v[3:4]
	v_not_b32_e32 v4, v4
	;; [unrolled: 8-line block ×5, first 2 shown]
	v_ashrrev_i32_e32 v3, 31, v3
	v_xor_b32_e32 v4, s25, v3
	v_xor_b32_e32 v3, s24, v3
	ds_read_b32 v38, v39 offset:16
	v_and_b32_e32 v40, v40, v42
	v_and_b32_e32 v3, v41, v3
	;; [unrolled: 1-line block ×3, first 2 shown]
	v_mbcnt_lo_u32_b32 v5, v3, 0
	v_mbcnt_hi_u32_b32 v45, v4, v5
	v_cmp_ne_u64_e64 s[24:25], 0, v[3:4]
	v_cmp_eq_u32_e64 s[26:27], 0, v45
	s_and_b64 s[26:27], s[24:25], s[26:27]
	; wave barrier
	s_and_saveexec_b64 s[24:25], s[26:27]
	s_cbranch_execz .LBB87_37
; %bb.36:
	v_bcnt_u32_b32 v3, v3, 0
	v_bcnt_u32_b32 v3, v4, v3
	s_waitcnt lgkmcnt(0)
	v_add_u32_e32 v3, v38, v3
	ds_write_b32 v39, v3 offset:16
.LBB87_37:
	s_or_b64 exec, exec, s[24:25]
	v_lshrrev_b32_e32 v3, s68, v16
	v_and_b32_e32 v5, s74, v3
	v_and_b32_e32 v4, 1, v5
	v_mul_lo_u32 v3, v5, 20
	v_add_co_u32_e64 v41, s[24:25], -1, v4
	v_addc_co_u32_e64 v42, s[24:25], 0, -1, s[24:25]
	v_cmp_ne_u32_e64 s[24:25], 0, v4
	v_xor_b32_e32 v4, s25, v42
	v_lshl_add_u32 v40, v6, 2, v3
	v_mov_b32_e32 v3, 0
	v_and_b32_e32 v42, exec_hi, v4
	v_lshlrev_b32_e32 v4, 30, v5
	v_xor_b32_e32 v41, s24, v41
	v_cmp_gt_i64_e64 s[24:25], 0, v[3:4]
	v_not_b32_e32 v4, v4
	v_ashrrev_i32_e32 v4, 31, v4
	v_and_b32_e32 v41, exec_lo, v41
	v_xor_b32_e32 v43, s25, v4
	v_xor_b32_e32 v4, s24, v4
	v_and_b32_e32 v41, v41, v4
	v_lshlrev_b32_e32 v4, 29, v5
	v_cmp_gt_i64_e64 s[24:25], 0, v[3:4]
	v_not_b32_e32 v4, v4
	v_ashrrev_i32_e32 v4, 31, v4
	v_and_b32_e32 v42, v42, v43
	v_xor_b32_e32 v43, s25, v4
	v_xor_b32_e32 v4, s24, v4
	v_and_b32_e32 v41, v41, v4
	v_lshlrev_b32_e32 v4, 28, v5
	v_cmp_gt_i64_e64 s[24:25], 0, v[3:4]
	v_not_b32_e32 v4, v4
	v_ashrrev_i32_e32 v4, 31, v4
	v_and_b32_e32 v42, v42, v43
	v_xor_b32_e32 v43, s25, v4
	v_xor_b32_e32 v4, s24, v4
	v_and_b32_e32 v41, v41, v4
	v_lshlrev_b32_e32 v4, 27, v5
	v_cmp_gt_i64_e64 s[24:25], 0, v[3:4]
	v_not_b32_e32 v4, v4
	v_ashrrev_i32_e32 v4, 31, v4
	v_and_b32_e32 v42, v42, v43
	v_xor_b32_e32 v43, s25, v4
	v_xor_b32_e32 v4, s24, v4
	v_and_b32_e32 v41, v41, v4
	v_lshlrev_b32_e32 v4, 26, v5
	v_cmp_gt_i64_e64 s[24:25], 0, v[3:4]
	v_not_b32_e32 v4, v4
	v_ashrrev_i32_e32 v4, 31, v4
	v_and_b32_e32 v42, v42, v43
	v_xor_b32_e32 v43, s25, v4
	v_xor_b32_e32 v4, s24, v4
	v_and_b32_e32 v41, v41, v4
	v_lshlrev_b32_e32 v4, 25, v5
	v_cmp_gt_i64_e64 s[24:25], 0, v[3:4]
	v_not_b32_e32 v4, v4
	v_ashrrev_i32_e32 v4, 31, v4
	v_and_b32_e32 v42, v42, v43
	v_xor_b32_e32 v43, s25, v4
	v_xor_b32_e32 v4, s24, v4
	v_and_b32_e32 v41, v41, v4
	v_lshlrev_b32_e32 v4, 24, v5
	v_cmp_gt_i64_e64 s[24:25], 0, v[3:4]
	v_not_b32_e32 v4, v4
	v_ashrrev_i32_e32 v4, 31, v4
	v_xor_b32_e32 v5, s25, v4
	v_xor_b32_e32 v4, s24, v4
	; wave barrier
	ds_read_b32 v46, v40 offset:16
	v_and_b32_e32 v42, v42, v43
	v_and_b32_e32 v4, v41, v4
	v_and_b32_e32 v5, v42, v5
	v_mbcnt_lo_u32_b32 v41, v4, 0
	v_mbcnt_hi_u32_b32 v47, v5, v41
	v_cmp_ne_u64_e64 s[24:25], 0, v[4:5]
	v_cmp_eq_u32_e64 s[26:27], 0, v47
	s_and_b64 s[26:27], s[24:25], s[26:27]
	; wave barrier
	s_and_saveexec_b64 s[24:25], s[26:27]
	s_cbranch_execz .LBB87_39
; %bb.38:
	v_bcnt_u32_b32 v4, v4, 0
	v_bcnt_u32_b32 v4, v5, v4
	s_waitcnt lgkmcnt(0)
	v_add_u32_e32 v4, v46, v4
	ds_write_b32 v40, v4 offset:16
.LBB87_39:
	s_or_b64 exec, exec, s[24:25]
	v_lshrrev_b32_e32 v4, s68, v15
	v_and_b32_e32 v5, s74, v4
	v_mul_lo_u32 v4, v5, 20
	v_and_b32_e32 v42, 1, v5
	; wave barrier
	v_lshl_add_u32 v41, v6, 2, v4
	v_add_co_u32_e64 v4, s[24:25], -1, v42
	v_addc_co_u32_e64 v43, s[24:25], 0, -1, s[24:25]
	v_cmp_ne_u32_e64 s[24:25], 0, v42
	v_xor_b32_e32 v4, s24, v4
	v_xor_b32_e32 v42, s25, v43
	v_and_b32_e32 v43, exec_lo, v4
	v_lshlrev_b32_e32 v4, 30, v5
	v_cmp_gt_i64_e64 s[24:25], 0, v[3:4]
	v_not_b32_e32 v4, v4
	v_ashrrev_i32_e32 v4, 31, v4
	v_xor_b32_e32 v44, s25, v4
	v_xor_b32_e32 v4, s24, v4
	v_and_b32_e32 v43, v43, v4
	v_lshlrev_b32_e32 v4, 29, v5
	v_cmp_gt_i64_e64 s[24:25], 0, v[3:4]
	v_not_b32_e32 v4, v4
	v_and_b32_e32 v42, exec_hi, v42
	v_ashrrev_i32_e32 v4, 31, v4
	v_and_b32_e32 v42, v42, v44
	v_xor_b32_e32 v44, s25, v4
	v_xor_b32_e32 v4, s24, v4
	v_and_b32_e32 v43, v43, v4
	v_lshlrev_b32_e32 v4, 28, v5
	v_cmp_gt_i64_e64 s[24:25], 0, v[3:4]
	v_not_b32_e32 v4, v4
	v_ashrrev_i32_e32 v4, 31, v4
	v_and_b32_e32 v42, v42, v44
	v_xor_b32_e32 v44, s25, v4
	v_xor_b32_e32 v4, s24, v4
	v_and_b32_e32 v43, v43, v4
	v_lshlrev_b32_e32 v4, 27, v5
	v_cmp_gt_i64_e64 s[24:25], 0, v[3:4]
	v_not_b32_e32 v4, v4
	;; [unrolled: 8-line block ×5, first 2 shown]
	v_ashrrev_i32_e32 v3, 31, v3
	v_xor_b32_e32 v4, s25, v3
	v_xor_b32_e32 v3, s24, v3
	ds_read_b32 v48, v41 offset:16
	v_and_b32_e32 v42, v42, v44
	v_and_b32_e32 v3, v43, v3
	;; [unrolled: 1-line block ×3, first 2 shown]
	v_mbcnt_lo_u32_b32 v5, v3, 0
	v_mbcnt_hi_u32_b32 v49, v4, v5
	v_cmp_ne_u64_e64 s[24:25], 0, v[3:4]
	v_cmp_eq_u32_e64 s[26:27], 0, v49
	s_and_b64 s[26:27], s[24:25], s[26:27]
	; wave barrier
	s_and_saveexec_b64 s[24:25], s[26:27]
	s_cbranch_execz .LBB87_41
; %bb.40:
	v_bcnt_u32_b32 v3, v3, 0
	v_bcnt_u32_b32 v3, v4, v3
	s_waitcnt lgkmcnt(0)
	v_add_u32_e32 v3, v48, v3
	ds_write_b32 v41, v3 offset:16
.LBB87_41:
	s_or_b64 exec, exec, s[24:25]
	v_lshrrev_b32_e32 v3, s68, v18
	v_and_b32_e32 v5, s74, v3
	v_and_b32_e32 v4, 1, v5
	v_mul_lo_u32 v3, v5, 20
	v_add_co_u32_e64 v43, s[24:25], -1, v4
	v_addc_co_u32_e64 v44, s[24:25], 0, -1, s[24:25]
	v_cmp_ne_u32_e64 s[24:25], 0, v4
	v_xor_b32_e32 v4, s25, v44
	v_lshl_add_u32 v42, v6, 2, v3
	v_mov_b32_e32 v3, 0
	v_and_b32_e32 v44, exec_hi, v4
	v_lshlrev_b32_e32 v4, 30, v5
	v_xor_b32_e32 v43, s24, v43
	v_cmp_gt_i64_e64 s[24:25], 0, v[3:4]
	v_not_b32_e32 v4, v4
	v_ashrrev_i32_e32 v4, 31, v4
	v_and_b32_e32 v43, exec_lo, v43
	v_xor_b32_e32 v51, s25, v4
	v_xor_b32_e32 v4, s24, v4
	v_and_b32_e32 v43, v43, v4
	v_lshlrev_b32_e32 v4, 29, v5
	v_cmp_gt_i64_e64 s[24:25], 0, v[3:4]
	v_not_b32_e32 v4, v4
	v_ashrrev_i32_e32 v4, 31, v4
	v_and_b32_e32 v44, v44, v51
	v_xor_b32_e32 v51, s25, v4
	v_xor_b32_e32 v4, s24, v4
	v_and_b32_e32 v43, v43, v4
	v_lshlrev_b32_e32 v4, 28, v5
	v_cmp_gt_i64_e64 s[24:25], 0, v[3:4]
	v_not_b32_e32 v4, v4
	v_ashrrev_i32_e32 v4, 31, v4
	v_and_b32_e32 v44, v44, v51
	;; [unrolled: 8-line block ×5, first 2 shown]
	v_xor_b32_e32 v51, s25, v4
	v_xor_b32_e32 v4, s24, v4
	v_and_b32_e32 v43, v43, v4
	v_lshlrev_b32_e32 v4, 24, v5
	v_cmp_gt_i64_e64 s[24:25], 0, v[3:4]
	v_not_b32_e32 v4, v4
	v_ashrrev_i32_e32 v4, 31, v4
	v_xor_b32_e32 v5, s25, v4
	v_xor_b32_e32 v4, s24, v4
	; wave barrier
	ds_read_b32 v50, v42 offset:16
	v_and_b32_e32 v44, v44, v51
	v_and_b32_e32 v4, v43, v4
	;; [unrolled: 1-line block ×3, first 2 shown]
	v_mbcnt_lo_u32_b32 v43, v4, 0
	v_mbcnt_hi_u32_b32 v51, v5, v43
	v_cmp_ne_u64_e64 s[24:25], 0, v[4:5]
	v_cmp_eq_u32_e64 s[26:27], 0, v51
	s_and_b64 s[26:27], s[24:25], s[26:27]
	; wave barrier
	s_and_saveexec_b64 s[24:25], s[26:27]
	s_cbranch_execz .LBB87_43
; %bb.42:
	v_bcnt_u32_b32 v4, v4, 0
	v_bcnt_u32_b32 v4, v5, v4
	s_waitcnt lgkmcnt(0)
	v_add_u32_e32 v4, v50, v4
	ds_write_b32 v42, v4 offset:16
.LBB87_43:
	s_or_b64 exec, exec, s[24:25]
	v_lshrrev_b32_e32 v4, s68, v17
	v_and_b32_e32 v5, s74, v4
	v_mul_lo_u32 v4, v5, 20
	v_and_b32_e32 v44, 1, v5
	; wave barrier
	v_lshl_add_u32 v43, v6, 2, v4
	v_add_co_u32_e64 v4, s[24:25], -1, v44
	v_addc_co_u32_e64 v53, s[24:25], 0, -1, s[24:25]
	v_cmp_ne_u32_e64 s[24:25], 0, v44
	v_xor_b32_e32 v4, s24, v4
	v_xor_b32_e32 v44, s25, v53
	v_and_b32_e32 v53, exec_lo, v4
	v_lshlrev_b32_e32 v4, 30, v5
	v_cmp_gt_i64_e64 s[24:25], 0, v[3:4]
	v_not_b32_e32 v4, v4
	v_ashrrev_i32_e32 v4, 31, v4
	v_xor_b32_e32 v54, s25, v4
	v_xor_b32_e32 v4, s24, v4
	v_and_b32_e32 v53, v53, v4
	v_lshlrev_b32_e32 v4, 29, v5
	v_cmp_gt_i64_e64 s[24:25], 0, v[3:4]
	v_not_b32_e32 v4, v4
	v_and_b32_e32 v44, exec_hi, v44
	v_ashrrev_i32_e32 v4, 31, v4
	v_and_b32_e32 v44, v44, v54
	v_xor_b32_e32 v54, s25, v4
	v_xor_b32_e32 v4, s24, v4
	v_and_b32_e32 v53, v53, v4
	v_lshlrev_b32_e32 v4, 28, v5
	v_cmp_gt_i64_e64 s[24:25], 0, v[3:4]
	v_not_b32_e32 v4, v4
	v_ashrrev_i32_e32 v4, 31, v4
	v_and_b32_e32 v44, v44, v54
	v_xor_b32_e32 v54, s25, v4
	v_xor_b32_e32 v4, s24, v4
	v_and_b32_e32 v53, v53, v4
	v_lshlrev_b32_e32 v4, 27, v5
	v_cmp_gt_i64_e64 s[24:25], 0, v[3:4]
	v_not_b32_e32 v4, v4
	;; [unrolled: 8-line block ×5, first 2 shown]
	v_ashrrev_i32_e32 v3, 31, v3
	v_xor_b32_e32 v4, s25, v3
	v_xor_b32_e32 v3, s24, v3
	ds_read_b32 v52, v43 offset:16
	v_and_b32_e32 v44, v44, v54
	v_and_b32_e32 v3, v53, v3
	;; [unrolled: 1-line block ×3, first 2 shown]
	v_mbcnt_lo_u32_b32 v5, v3, 0
	v_mbcnt_hi_u32_b32 v53, v4, v5
	v_cmp_ne_u64_e64 s[24:25], 0, v[3:4]
	v_cmp_eq_u32_e64 s[26:27], 0, v53
	s_and_b64 s[26:27], s[24:25], s[26:27]
	; wave barrier
	s_and_saveexec_b64 s[24:25], s[26:27]
	s_cbranch_execz .LBB87_45
; %bb.44:
	v_bcnt_u32_b32 v3, v3, 0
	v_bcnt_u32_b32 v3, v4, v3
	s_waitcnt lgkmcnt(0)
	v_add_u32_e32 v3, v52, v3
	ds_write_b32 v43, v3 offset:16
.LBB87_45:
	s_or_b64 exec, exec, s[24:25]
	v_lshrrev_b32_e32 v3, s68, v21
	v_and_b32_e32 v5, s74, v3
	v_and_b32_e32 v4, 1, v5
	v_mul_lo_u32 v3, v5, 20
	v_add_co_u32_e64 v55, s[24:25], -1, v4
	v_addc_co_u32_e64 v56, s[24:25], 0, -1, s[24:25]
	v_cmp_ne_u32_e64 s[24:25], 0, v4
	v_xor_b32_e32 v4, s25, v56
	v_lshl_add_u32 v44, v6, 2, v3
	v_mov_b32_e32 v3, 0
	v_and_b32_e32 v56, exec_hi, v4
	v_lshlrev_b32_e32 v4, 30, v5
	v_xor_b32_e32 v55, s24, v55
	v_cmp_gt_i64_e64 s[24:25], 0, v[3:4]
	v_not_b32_e32 v4, v4
	v_ashrrev_i32_e32 v4, 31, v4
	v_and_b32_e32 v55, exec_lo, v55
	v_xor_b32_e32 v57, s25, v4
	v_xor_b32_e32 v4, s24, v4
	v_and_b32_e32 v55, v55, v4
	v_lshlrev_b32_e32 v4, 29, v5
	v_cmp_gt_i64_e64 s[24:25], 0, v[3:4]
	v_not_b32_e32 v4, v4
	v_ashrrev_i32_e32 v4, 31, v4
	v_and_b32_e32 v56, v56, v57
	v_xor_b32_e32 v57, s25, v4
	v_xor_b32_e32 v4, s24, v4
	v_and_b32_e32 v55, v55, v4
	v_lshlrev_b32_e32 v4, 28, v5
	v_cmp_gt_i64_e64 s[24:25], 0, v[3:4]
	v_not_b32_e32 v4, v4
	v_ashrrev_i32_e32 v4, 31, v4
	v_and_b32_e32 v56, v56, v57
	;; [unrolled: 8-line block ×5, first 2 shown]
	v_xor_b32_e32 v57, s25, v4
	v_xor_b32_e32 v4, s24, v4
	v_and_b32_e32 v55, v55, v4
	v_lshlrev_b32_e32 v4, 24, v5
	v_cmp_gt_i64_e64 s[24:25], 0, v[3:4]
	v_not_b32_e32 v4, v4
	v_ashrrev_i32_e32 v4, 31, v4
	v_xor_b32_e32 v5, s25, v4
	v_xor_b32_e32 v4, s24, v4
	; wave barrier
	ds_read_b32 v54, v44 offset:16
	v_and_b32_e32 v56, v56, v57
	v_and_b32_e32 v4, v55, v4
	;; [unrolled: 1-line block ×3, first 2 shown]
	v_mbcnt_lo_u32_b32 v55, v4, 0
	v_mbcnt_hi_u32_b32 v55, v5, v55
	v_cmp_ne_u64_e64 s[24:25], 0, v[4:5]
	v_cmp_eq_u32_e64 s[26:27], 0, v55
	s_and_b64 s[26:27], s[24:25], s[26:27]
	; wave barrier
	s_and_saveexec_b64 s[24:25], s[26:27]
	s_cbranch_execz .LBB87_47
; %bb.46:
	v_bcnt_u32_b32 v4, v4, 0
	v_bcnt_u32_b32 v4, v5, v4
	s_waitcnt lgkmcnt(0)
	v_add_u32_e32 v4, v54, v4
	ds_write_b32 v44, v4 offset:16
.LBB87_47:
	s_or_b64 exec, exec, s[24:25]
	v_lshrrev_b32_e32 v4, s68, v20
	v_and_b32_e32 v5, s74, v4
	v_mul_lo_u32 v4, v5, 20
	v_and_b32_e32 v58, 1, v5
	; wave barrier
	v_lshl_add_u32 v57, v6, 2, v4
	v_add_co_u32_e64 v4, s[24:25], -1, v58
	v_addc_co_u32_e64 v6, s[24:25], 0, -1, s[24:25]
	v_cmp_ne_u32_e64 s[24:25], 0, v58
	v_xor_b32_e32 v4, s24, v4
	v_and_b32_e32 v58, exec_lo, v4
	v_lshlrev_b32_e32 v4, 30, v5
	v_xor_b32_e32 v6, s25, v6
	v_cmp_gt_i64_e64 s[24:25], 0, v[3:4]
	v_not_b32_e32 v4, v4
	v_ashrrev_i32_e32 v4, 31, v4
	v_xor_b32_e32 v59, s25, v4
	v_xor_b32_e32 v4, s24, v4
	v_and_b32_e32 v58, v58, v4
	v_lshlrev_b32_e32 v4, 29, v5
	v_cmp_gt_i64_e64 s[24:25], 0, v[3:4]
	v_not_b32_e32 v4, v4
	v_and_b32_e32 v6, exec_hi, v6
	v_ashrrev_i32_e32 v4, 31, v4
	v_and_b32_e32 v6, v6, v59
	v_xor_b32_e32 v59, s25, v4
	v_xor_b32_e32 v4, s24, v4
	v_and_b32_e32 v58, v58, v4
	v_lshlrev_b32_e32 v4, 28, v5
	v_cmp_gt_i64_e64 s[24:25], 0, v[3:4]
	v_not_b32_e32 v4, v4
	v_ashrrev_i32_e32 v4, 31, v4
	v_and_b32_e32 v6, v6, v59
	v_xor_b32_e32 v59, s25, v4
	v_xor_b32_e32 v4, s24, v4
	v_and_b32_e32 v58, v58, v4
	v_lshlrev_b32_e32 v4, 27, v5
	v_cmp_gt_i64_e64 s[24:25], 0, v[3:4]
	v_not_b32_e32 v4, v4
	;; [unrolled: 8-line block ×5, first 2 shown]
	v_ashrrev_i32_e32 v3, 31, v3
	v_xor_b32_e32 v4, s25, v3
	v_xor_b32_e32 v3, s24, v3
	ds_read_b32 v56, v57 offset:16
	v_and_b32_e32 v6, v6, v59
	v_and_b32_e32 v3, v58, v3
	;; [unrolled: 1-line block ×3, first 2 shown]
	v_mbcnt_lo_u32_b32 v5, v3, 0
	v_mbcnt_hi_u32_b32 v58, v4, v5
	v_cmp_ne_u64_e64 s[24:25], 0, v[3:4]
	v_cmp_eq_u32_e64 s[26:27], 0, v58
	s_and_b64 s[26:27], s[24:25], s[26:27]
	; wave barrier
	s_and_saveexec_b64 s[24:25], s[26:27]
	s_cbranch_execz .LBB87_49
; %bb.48:
	v_bcnt_u32_b32 v3, v3, 0
	v_bcnt_u32_b32 v3, v4, v3
	s_waitcnt lgkmcnt(0)
	v_add_u32_e32 v3, v56, v3
	ds_write_b32 v57, v3 offset:16
.LBB87_49:
	s_or_b64 exec, exec, s[24:25]
	; wave barrier
	s_waitcnt lgkmcnt(0)
	s_barrier
	ds_read2_b32 v[5:6], v22 offset0:4 offset1:5
	ds_read2_b32 v[3:4], v22 offset0:6 offset1:7
	ds_read_b32 v59, v22 offset:32
	v_min_u32_e32 v19, 0xc0, v19
	v_or_b32_e32 v19, 63, v19
	s_waitcnt lgkmcnt(1)
	v_add3_u32 v60, v6, v5, v3
	s_waitcnt lgkmcnt(0)
	v_add3_u32 v59, v60, v4, v59
	v_and_b32_e32 v60, 15, v10
	v_cmp_ne_u32_e64 s[24:25], 0, v60
	v_mov_b32_dpp v61, v59 row_shr:1 row_mask:0xf bank_mask:0xf
	v_cndmask_b32_e64 v61, 0, v61, s[24:25]
	v_add_u32_e32 v59, v61, v59
	v_cmp_lt_u32_e64 s[24:25], 1, v60
	s_nop 0
	v_mov_b32_dpp v61, v59 row_shr:2 row_mask:0xf bank_mask:0xf
	v_cndmask_b32_e64 v61, 0, v61, s[24:25]
	v_add_u32_e32 v59, v59, v61
	v_cmp_lt_u32_e64 s[24:25], 3, v60
	s_nop 0
	;; [unrolled: 5-line block ×3, first 2 shown]
	v_mov_b32_dpp v61, v59 row_shr:8 row_mask:0xf bank_mask:0xf
	v_cndmask_b32_e64 v60, 0, v61, s[24:25]
	v_add_u32_e32 v59, v59, v60
	v_bfe_i32 v61, v10, 4, 1
	v_cmp_lt_u32_e64 s[24:25], 31, v10
	v_mov_b32_dpp v60, v59 row_bcast:15 row_mask:0xf bank_mask:0xf
	v_and_b32_e32 v60, v61, v60
	v_add_u32_e32 v59, v59, v60
	s_nop 1
	v_mov_b32_dpp v60, v59 row_bcast:31 row_mask:0xf bank_mask:0xf
	v_cndmask_b32_e64 v60, 0, v60, s[24:25]
	v_add_u32_e32 v59, v59, v60
	v_lshrrev_b32_e32 v60, 6, v0
	v_cmp_eq_u32_e64 s[24:25], v0, v19
	s_and_saveexec_b64 s[26:27], s[24:25]
; %bb.50:
	v_lshlrev_b32_e32 v19, 2, v60
	ds_write_b32 v19, v59
; %bb.51:
	s_or_b64 exec, exec, s[26:27]
	v_cmp_gt_u32_e64 s[24:25], 4, v0
	s_waitcnt lgkmcnt(0)
	s_barrier
	s_and_saveexec_b64 s[26:27], s[24:25]
	s_cbranch_execz .LBB87_53
; %bb.52:
	v_lshlrev_b32_e32 v19, 2, v0
	ds_read_b32 v61, v19
	v_and_b32_e32 v62, 3, v10
	v_cmp_ne_u32_e64 s[24:25], 0, v62
	s_waitcnt lgkmcnt(0)
	v_mov_b32_dpp v63, v61 row_shr:1 row_mask:0xf bank_mask:0xf
	v_cndmask_b32_e64 v63, 0, v63, s[24:25]
	v_add_u32_e32 v61, v63, v61
	v_cmp_lt_u32_e64 s[24:25], 1, v62
	s_nop 0
	v_mov_b32_dpp v63, v61 row_shr:2 row_mask:0xf bank_mask:0xf
	v_cndmask_b32_e64 v62, 0, v63, s[24:25]
	v_add_u32_e32 v61, v61, v62
	ds_write_b32 v19, v61
.LBB87_53:
	s_or_b64 exec, exec, s[26:27]
	v_cmp_lt_u32_e64 s[24:25], 63, v0
	v_mov_b32_e32 v19, 0
	s_waitcnt lgkmcnt(0)
	s_barrier
	s_and_saveexec_b64 s[26:27], s[24:25]
; %bb.54:
	v_lshl_add_u32 v19, v60, 2, -4
	ds_read_b32 v19, v19
; %bb.55:
	s_or_b64 exec, exec, s[26:27]
	v_add_u32_e32 v60, -1, v10
	v_and_b32_e32 v61, 64, v10
	v_cmp_lt_i32_e64 s[24:25], v60, v61
	v_cndmask_b32_e64 v60, v60, v10, s[24:25]
	s_waitcnt lgkmcnt(0)
	v_add_u32_e32 v59, v19, v59
	v_lshlrev_b32_e32 v60, 2, v60
	ds_bpermute_b32 v59, v60, v59
	v_cmp_eq_u32_e64 s[24:25], 0, v10
	s_waitcnt lgkmcnt(0)
	v_cndmask_b32_e64 v19, v59, v19, s[24:25]
	v_cmp_ne_u32_e64 s[24:25], 0, v0
	v_cndmask_b32_e64 v19, 0, v19, s[24:25]
	v_add_u32_e32 v5, v19, v5
	v_add_u32_e32 v6, v5, v6
	;; [unrolled: 1-line block ×4, first 2 shown]
	ds_write2_b32 v22, v19, v5 offset0:4 offset1:5
	ds_write2_b32 v22, v6, v3 offset0:6 offset1:7
	ds_write_b32 v22, v4 offset:32
	s_waitcnt lgkmcnt(0)
	s_barrier
	ds_read_b32 v4, v41 offset:16
	ds_read_b32 v5, v42 offset:16
	;; [unrolled: 1-line block ×13, first 2 shown]
	v_add_u32_e32 v22, 1, v0
	s_movk_i32 s24, 0x100
	v_cmp_ne_u32_e64 s[24:25], s24, v22
	v_mov_b32_e32 v3, 0xc00
	s_and_saveexec_b64 s[26:27], s[24:25]
; %bb.56:
	v_mul_u32_u24_e32 v3, 20, v22
	ds_read_b32 v3, v3 offset:16
; %bb.57:
	s_or_b64 exec, exec, s[26:27]
	s_waitcnt lgkmcnt(7)
	v_add_u32_e32 v44, v24, v23
	s_waitcnt lgkmcnt(6)
	v_add3_u32 v43, v27, v25, v26
	s_waitcnt lgkmcnt(3)
	v_add3_u32 v40, v37, v35, v36
	v_add3_u32 v37, v49, v48, v4
	v_lshlrev_b32_e32 v4, 2, v44
	v_add3_u32 v42, v31, v28, v41
	s_waitcnt lgkmcnt(0)
	s_barrier
	ds_write_b32 v4, v8 offset:2048
	v_lshlrev_b32_e32 v4, 2, v43
	v_add3_u32 v41, v34, v32, v33
	ds_write_b32 v4, v7 offset:2048
	v_lshlrev_b32_e32 v4, 2, v42
	ds_write_b32 v4, v12 offset:2048
	v_lshlrev_b32_e32 v4, 2, v41
	v_add3_u32 v39, v45, v38, v39
	ds_write_b32 v4, v11 offset:2048
	v_lshlrev_b32_e32 v4, 2, v40
	v_add3_u32 v38, v47, v46, v59
	ds_write_b32 v4, v14 offset:2048
	v_lshlrev_b32_e32 v4, 2, v39
	ds_write_b32 v4, v13 offset:2048
	v_lshlrev_b32_e32 v4, 2, v38
	v_add3_u32 v36, v51, v50, v5
	ds_write_b32 v4, v16 offset:2048
	v_lshlrev_b32_e32 v4, 2, v37
	v_add3_u32 v35, v53, v52, v6
	;; [unrolled: 3-line block ×4, first 2 shown]
	ds_write_b32 v4, v17 offset:2048
	v_lshlrev_b32_e32 v4, 2, v34
	ds_write_b32 v4, v21 offset:2048
	v_lshlrev_b32_e32 v4, 2, v33
	ds_write_b32 v4, v20 offset:2048
	v_sub_u32_e32 v31, v3, v30
	v_lshl_or_b32 v3, s6, 8, v0
	v_mov_b32_e32 v4, 0
	v_lshlrev_b64 v[5:6], 2, v[3:4]
	v_mov_b32_e32 v11, s73
	v_add_co_u32_e64 v5, s[24:25], s72, v5
	v_addc_co_u32_e64 v6, s[24:25], v11, v6, s[24:25]
	v_or_b32_e32 v3, 2.0, v31
	s_mov_b64 s[26:27], 0
	s_brev_b32 s34, -4
	s_mov_b32 s35, s7
	v_mov_b32_e32 v12, 0
	s_waitcnt lgkmcnt(0)
	s_barrier
	global_store_dword v[5:6], v3, off
                                        ; implicit-def: $sgpr24_sgpr25
	s_branch .LBB87_60
.LBB87_58:                              ;   in Loop: Header=BB87_60 Depth=1
	s_or_b64 exec, exec, s[30:31]
.LBB87_59:                              ;   in Loop: Header=BB87_60 Depth=1
	s_or_b64 exec, exec, s[28:29]
	v_and_b32_e32 v7, 0x3fffffff, v3
	v_add_u32_e32 v12, v7, v12
	v_cmp_gt_i32_e64 s[24:25], -2.0, v3
	s_and_b64 s[28:29], exec, s[24:25]
	s_or_b64 s[26:27], s[28:29], s[26:27]
	s_andn2_b64 exec, exec, s[26:27]
	s_cbranch_execz .LBB87_65
.LBB87_60:                              ; =>This Loop Header: Depth=1
                                        ;     Child Loop BB87_63 Depth 2
	s_or_b64 s[24:25], s[24:25], exec
	s_cmp_eq_u32 s35, 0
	s_cbranch_scc1 .LBB87_64
; %bb.61:                               ;   in Loop: Header=BB87_60 Depth=1
	s_add_i32 s35, s35, -1
	v_lshl_or_b32 v3, s35, 8, v0
	v_lshlrev_b64 v[7:8], 2, v[3:4]
	v_add_co_u32_e64 v7, s[24:25], s72, v7
	v_addc_co_u32_e64 v8, s[24:25], v11, v8, s[24:25]
	global_load_dword v3, v[7:8], off glc
	s_waitcnt vmcnt(0)
	v_cmp_gt_u32_e64 s[24:25], 2.0, v3
	s_and_saveexec_b64 s[28:29], s[24:25]
	s_cbranch_execz .LBB87_59
; %bb.62:                               ;   in Loop: Header=BB87_60 Depth=1
	s_mov_b64 s[30:31], 0
.LBB87_63:                              ;   Parent Loop BB87_60 Depth=1
                                        ; =>  This Inner Loop Header: Depth=2
	global_load_dword v3, v[7:8], off glc
	s_waitcnt vmcnt(0)
	v_cmp_lt_u32_e64 s[24:25], s34, v3
	s_or_b64 s[30:31], s[24:25], s[30:31]
	s_andn2_b64 exec, exec, s[30:31]
	s_cbranch_execnz .LBB87_63
	s_branch .LBB87_58
.LBB87_64:                              ;   in Loop: Header=BB87_60 Depth=1
                                        ; implicit-def: $sgpr35
	s_and_b64 s[28:29], exec, s[24:25]
	s_or_b64 s[26:27], s[28:29], s[26:27]
	s_andn2_b64 exec, exec, s[26:27]
	s_cbranch_execnz .LBB87_60
.LBB87_65:
	s_or_b64 exec, exec, s[26:27]
	v_add_u32_e32 v3, v12, v31
	v_or_b32_e32 v3, 0x80000000, v3
	v_lshlrev_b32_e32 v32, 3, v0
	global_store_dword v[5:6], v3, off
	global_load_dwordx2 v[3:4], v32, s[64:65]
	v_sub_co_u32_e64 v5, s[24:25], v12, v30
	v_subb_co_u32_e64 v6, s[24:25], 0, 0, s[24:25]
	s_waitcnt vmcnt(0)
	v_add_co_u32_e64 v3, s[24:25], v5, v3
	v_addc_co_u32_e64 v4, s[24:25], v6, v4, s[24:25]
	v_cmp_gt_u32_e64 s[24:25], s70, v0
	ds_write_b64 v32, v[3:4]
	s_waitcnt lgkmcnt(0)
	s_barrier
	s_and_saveexec_b64 s[28:29], s[24:25]
	s_cbranch_execz .LBB87_67
; %bb.66:
	v_lshlrev_b32_e32 v5, 2, v0
	v_sub_u32_e32 v3, v32, v5
	ds_read_b32 v6, v3 offset:2048
	v_mov_b32_e32 v7, s59
	s_waitcnt lgkmcnt(0)
	v_lshrrev_b32_e32 v3, s68, v6
	v_and_b32_e32 v3, s74, v3
	v_lshlrev_b32_e32 v3, 3, v3
	ds_read_b64 v[3:4], v3
	v_xor_b32_e32 v6, 0x7fffffff, v6
	s_waitcnt lgkmcnt(0)
	v_lshlrev_b64 v[3:4], 2, v[3:4]
	v_add_co_u32_e64 v3, s[26:27], s58, v3
	v_addc_co_u32_e64 v4, s[26:27], v7, v4, s[26:27]
	v_add_co_u32_e64 v3, s[26:27], v3, v5
	v_addc_co_u32_e64 v4, s[26:27], 0, v4, s[26:27]
	global_store_dword v[3:4], v6, off
.LBB87_67:
	s_or_b64 exec, exec, s[28:29]
	v_or_b32_e32 v3, 0x100, v0
	v_cmp_gt_u32_e64 s[26:27], s70, v3
	s_and_saveexec_b64 s[30:31], s[26:27]
	s_cbranch_execz .LBB87_69
; %bb.68:
	v_lshlrev_b32_e32 v5, 2, v0
	v_sub_u32_e32 v3, v32, v5
	ds_read_b32 v6, v3 offset:3072
	v_mov_b32_e32 v7, s59
	s_waitcnt lgkmcnt(0)
	v_lshrrev_b32_e32 v3, s68, v6
	v_and_b32_e32 v3, s74, v3
	v_lshlrev_b32_e32 v3, 3, v3
	ds_read_b64 v[3:4], v3
	v_xor_b32_e32 v6, 0x7fffffff, v6
	s_waitcnt lgkmcnt(0)
	v_lshlrev_b64 v[3:4], 2, v[3:4]
	v_add_co_u32_e64 v3, s[28:29], s58, v3
	v_addc_co_u32_e64 v4, s[28:29], v7, v4, s[28:29]
	v_add_co_u32_e64 v3, s[28:29], v3, v5
	v_addc_co_u32_e64 v4, s[28:29], 0, v4, s[28:29]
	global_store_dword v[3:4], v6, off offset:1024
.LBB87_69:
	s_or_b64 exec, exec, s[30:31]
	v_or_b32_e32 v45, 0x200, v0
	v_cmp_gt_u32_e64 s[28:29], s70, v45
	s_and_saveexec_b64 s[34:35], s[28:29]
	s_cbranch_execz .LBB87_71
; %bb.70:
	v_lshlrev_b32_e32 v5, 2, v0
	v_sub_u32_e32 v3, v32, v5
	ds_read_b32 v6, v3 offset:4096
	v_mov_b32_e32 v7, s59
	s_waitcnt lgkmcnt(0)
	v_lshrrev_b32_e32 v3, s68, v6
	v_and_b32_e32 v3, s74, v3
	v_lshlrev_b32_e32 v3, 3, v3
	ds_read_b64 v[3:4], v3
	v_xor_b32_e32 v6, 0x7fffffff, v6
	s_waitcnt lgkmcnt(0)
	v_lshlrev_b64 v[3:4], 2, v[3:4]
	v_add_co_u32_e64 v3, s[30:31], s58, v3
	v_addc_co_u32_e64 v4, s[30:31], v7, v4, s[30:31]
	v_add_co_u32_e64 v3, s[30:31], v3, v5
	v_addc_co_u32_e64 v4, s[30:31], 0, v4, s[30:31]
	global_store_dword v[3:4], v6, off offset:2048
.LBB87_71:
	;; [unrolled: 24-line block ×3, first 2 shown]
	s_or_b64 exec, exec, s[36:37]
	v_or_b32_e32 v47, 0x400, v0
	v_cmp_gt_u32_e64 s[34:35], s70, v47
	s_and_saveexec_b64 s[38:39], s[34:35]
	s_cbranch_execz .LBB87_75
; %bb.74:
	v_lshlrev_b32_e32 v3, 2, v0
	v_sub_u32_e32 v3, v32, v3
	ds_read_b32 v5, v3 offset:6144
	v_mov_b32_e32 v6, s59
	v_lshlrev_b32_e32 v7, 2, v47
	s_waitcnt lgkmcnt(0)
	v_lshrrev_b32_e32 v3, s68, v5
	v_and_b32_e32 v3, s74, v3
	v_lshlrev_b32_e32 v3, 3, v3
	ds_read_b64 v[3:4], v3
	v_xor_b32_e32 v5, 0x7fffffff, v5
	s_waitcnt lgkmcnt(0)
	v_lshlrev_b64 v[3:4], 2, v[3:4]
	v_add_co_u32_e64 v3, s[36:37], s58, v3
	v_addc_co_u32_e64 v4, s[36:37], v6, v4, s[36:37]
	v_add_co_u32_e64 v3, s[36:37], v3, v7
	v_addc_co_u32_e64 v4, s[36:37], 0, v4, s[36:37]
	global_store_dword v[3:4], v5, off
.LBB87_75:
	s_or_b64 exec, exec, s[38:39]
	v_or_b32_e32 v48, 0x500, v0
	v_cmp_gt_u32_e64 s[36:37], s70, v48
	s_and_saveexec_b64 s[40:41], s[36:37]
	s_cbranch_execz .LBB87_77
; %bb.76:
	v_lshlrev_b32_e32 v3, 2, v0
	v_sub_u32_e32 v3, v32, v3
	ds_read_b32 v5, v3 offset:7168
	v_mov_b32_e32 v6, s59
	v_lshlrev_b32_e32 v7, 2, v48
	s_waitcnt lgkmcnt(0)
	v_lshrrev_b32_e32 v3, s68, v5
	v_and_b32_e32 v3, s74, v3
	v_lshlrev_b32_e32 v3, 3, v3
	ds_read_b64 v[3:4], v3
	v_xor_b32_e32 v5, 0x7fffffff, v5
	s_waitcnt lgkmcnt(0)
	v_lshlrev_b64 v[3:4], 2, v[3:4]
	v_add_co_u32_e64 v3, s[38:39], s58, v3
	v_addc_co_u32_e64 v4, s[38:39], v6, v4, s[38:39]
	v_add_co_u32_e64 v3, s[38:39], v3, v7
	v_addc_co_u32_e64 v4, s[38:39], 0, v4, s[38:39]
	global_store_dword v[3:4], v5, off
.LBB87_77:
	;; [unrolled: 25-line block ×3, first 2 shown]
	s_or_b64 exec, exec, s[42:43]
	v_or_b32_e32 v50, 0x700, v0
	v_cmp_gt_u32_e64 s[40:41], s70, v50
	s_and_saveexec_b64 s[44:45], s[40:41]
	s_cbranch_execz .LBB87_81
; %bb.80:
	v_lshlrev_b32_e32 v3, 2, v0
	ds_read_b32 v5, v3 offset:9216
	v_mov_b32_e32 v6, s59
	v_lshlrev_b32_e32 v7, 2, v50
	s_waitcnt lgkmcnt(0)
	v_lshrrev_b32_e32 v3, s68, v5
	v_and_b32_e32 v3, s74, v3
	v_lshlrev_b32_e32 v3, 3, v3
	ds_read_b64 v[3:4], v3
	v_xor_b32_e32 v5, 0x7fffffff, v5
	s_waitcnt lgkmcnt(0)
	v_lshlrev_b64 v[3:4], 2, v[3:4]
	v_add_co_u32_e64 v3, s[42:43], s58, v3
	v_addc_co_u32_e64 v4, s[42:43], v6, v4, s[42:43]
	v_add_co_u32_e64 v3, s[42:43], v3, v7
	v_addc_co_u32_e64 v4, s[42:43], 0, v4, s[42:43]
	global_store_dword v[3:4], v5, off
.LBB87_81:
	s_or_b64 exec, exec, s[44:45]
	v_or_b32_e32 v51, 0x800, v0
	v_cmp_gt_u32_e64 s[42:43], s70, v51
	s_and_saveexec_b64 s[46:47], s[42:43]
	s_cbranch_execz .LBB87_83
; %bb.82:
	v_lshlrev_b32_e32 v3, 2, v0
	ds_read_b32 v5, v3 offset:10240
	v_mov_b32_e32 v6, s59
	v_lshlrev_b32_e32 v7, 2, v51
	s_waitcnt lgkmcnt(0)
	v_lshrrev_b32_e32 v3, s68, v5
	v_and_b32_e32 v3, s74, v3
	v_lshlrev_b32_e32 v3, 3, v3
	ds_read_b64 v[3:4], v3
	v_xor_b32_e32 v5, 0x7fffffff, v5
	s_waitcnt lgkmcnt(0)
	v_lshlrev_b64 v[3:4], 2, v[3:4]
	v_add_co_u32_e64 v3, s[44:45], s58, v3
	v_addc_co_u32_e64 v4, s[44:45], v6, v4, s[44:45]
	v_add_co_u32_e64 v3, s[44:45], v3, v7
	v_addc_co_u32_e64 v4, s[44:45], 0, v4, s[44:45]
	global_store_dword v[3:4], v5, off
.LBB87_83:
	;; [unrolled: 24-line block ×5, first 2 shown]
	s_or_b64 exec, exec, s[70:71]
	s_lshl_b64 s[52:53], s[54:55], 3
	s_add_u32 s52, s60, s52
	s_addc_u32 s53, s61, s53
	v_lshlrev_b32_e32 v3, 3, v10
	v_mov_b32_e32 v4, s53
	v_add_co_u32_e64 v3, s[52:53], s52, v3
	v_addc_co_u32_e64 v4, s[52:53], 0, v4, s[52:53]
	v_lshlrev_b32_e32 v5, 3, v9
	v_add_co_u32_e64 v27, s[52:53], v3, v5
	v_addc_co_u32_e64 v28, s[52:53], 0, v4, s[52:53]
                                        ; implicit-def: $vgpr3_vgpr4
	s_and_saveexec_b64 s[52:53], vcc
	s_xor_b64 s[52:53], exec, s[52:53]
	s_cbranch_execz .LBB87_101
; %bb.90:
	global_load_dwordx2 v[3:4], v[27:28], off
	s_or_b64 exec, exec, s[52:53]
                                        ; implicit-def: $vgpr5_vgpr6
	s_and_saveexec_b64 s[52:53], s[0:1]
	s_cbranch_execnz .LBB87_102
.LBB87_91:
	s_or_b64 exec, exec, s[52:53]
                                        ; implicit-def: $vgpr7_vgpr8
	s_and_saveexec_b64 s[0:1], s[2:3]
	s_cbranch_execz .LBB87_103
.LBB87_92:
	global_load_dwordx2 v[7:8], v[27:28], off offset:1024
	s_or_b64 exec, exec, s[0:1]
                                        ; implicit-def: $vgpr9_vgpr10
	s_and_saveexec_b64 s[0:1], s[50:51]
	s_cbranch_execnz .LBB87_104
.LBB87_93:
	s_or_b64 exec, exec, s[0:1]
                                        ; implicit-def: $vgpr11_vgpr12
	s_and_saveexec_b64 s[0:1], s[8:9]
	s_cbranch_execz .LBB87_105
.LBB87_94:
	global_load_dwordx2 v[11:12], v[27:28], off offset:2048
	s_or_b64 exec, exec, s[0:1]
                                        ; implicit-def: $vgpr13_vgpr14
	s_and_saveexec_b64 s[0:1], s[10:11]
	s_cbranch_execnz .LBB87_106
.LBB87_95:
	s_or_b64 exec, exec, s[0:1]
                                        ; implicit-def: $vgpr15_vgpr16
	s_and_saveexec_b64 s[0:1], s[12:13]
	s_cbranch_execz .LBB87_107
.LBB87_96:
	global_load_dwordx2 v[15:16], v[27:28], off offset:3072
	s_or_b64 exec, exec, s[0:1]
                                        ; implicit-def: $vgpr17_vgpr18
	s_and_saveexec_b64 s[0:1], s[18:19]
	s_cbranch_execnz .LBB87_108
.LBB87_97:
	s_or_b64 exec, exec, s[0:1]
                                        ; implicit-def: $vgpr19_vgpr20
	s_and_saveexec_b64 s[0:1], s[22:23]
	s_cbranch_execz .LBB87_109
.LBB87_98:
	v_add_co_u32_e32 v19, vcc, 0x1000, v27
	v_addc_co_u32_e32 v20, vcc, 0, v28, vcc
	global_load_dwordx2 v[19:20], v[19:20], off
	s_or_b64 exec, exec, s[0:1]
                                        ; implicit-def: $vgpr21_vgpr22
	s_and_saveexec_b64 s[0:1], s[20:21]
	s_cbranch_execnz .LBB87_110
.LBB87_99:
	s_or_b64 exec, exec, s[0:1]
                                        ; implicit-def: $vgpr23_vgpr24
	s_and_saveexec_b64 s[0:1], s[16:17]
	s_cbranch_execz .LBB87_111
.LBB87_100:
	v_add_co_u32_e32 v23, vcc, 0x1000, v27
	v_addc_co_u32_e32 v24, vcc, 0, v28, vcc
	global_load_dwordx2 v[23:24], v[23:24], off offset:1024
	s_or_b64 exec, exec, s[0:1]
                                        ; implicit-def: $vgpr25_vgpr26
	s_and_saveexec_b64 s[0:1], s[14:15]
	s_cbranch_execnz .LBB87_112
	s_branch .LBB87_113
.LBB87_101:
	s_or_b64 exec, exec, s[52:53]
                                        ; implicit-def: $vgpr5_vgpr6
	s_and_saveexec_b64 s[52:53], s[0:1]
	s_cbranch_execz .LBB87_91
.LBB87_102:
	global_load_dwordx2 v[5:6], v[27:28], off offset:512
	s_or_b64 exec, exec, s[52:53]
                                        ; implicit-def: $vgpr7_vgpr8
	s_and_saveexec_b64 s[0:1], s[2:3]
	s_cbranch_execnz .LBB87_92
.LBB87_103:
	s_or_b64 exec, exec, s[0:1]
                                        ; implicit-def: $vgpr9_vgpr10
	s_and_saveexec_b64 s[0:1], s[50:51]
	s_cbranch_execz .LBB87_93
.LBB87_104:
	global_load_dwordx2 v[9:10], v[27:28], off offset:1536
	s_or_b64 exec, exec, s[0:1]
                                        ; implicit-def: $vgpr11_vgpr12
	s_and_saveexec_b64 s[0:1], s[8:9]
	s_cbranch_execnz .LBB87_94
.LBB87_105:
	s_or_b64 exec, exec, s[0:1]
                                        ; implicit-def: $vgpr13_vgpr14
	s_and_saveexec_b64 s[0:1], s[10:11]
	s_cbranch_execz .LBB87_95
.LBB87_106:
	global_load_dwordx2 v[13:14], v[27:28], off offset:2560
	s_or_b64 exec, exec, s[0:1]
                                        ; implicit-def: $vgpr15_vgpr16
	s_and_saveexec_b64 s[0:1], s[12:13]
	s_cbranch_execnz .LBB87_96
.LBB87_107:
	s_or_b64 exec, exec, s[0:1]
                                        ; implicit-def: $vgpr17_vgpr18
	s_and_saveexec_b64 s[0:1], s[18:19]
	s_cbranch_execz .LBB87_97
.LBB87_108:
	global_load_dwordx2 v[17:18], v[27:28], off offset:3584
	s_or_b64 exec, exec, s[0:1]
                                        ; implicit-def: $vgpr19_vgpr20
	s_and_saveexec_b64 s[0:1], s[22:23]
	s_cbranch_execnz .LBB87_98
.LBB87_109:
	s_or_b64 exec, exec, s[0:1]
                                        ; implicit-def: $vgpr21_vgpr22
	s_and_saveexec_b64 s[0:1], s[20:21]
	s_cbranch_execz .LBB87_99
.LBB87_110:
	v_add_co_u32_e32 v21, vcc, 0x1000, v27
	v_addc_co_u32_e32 v22, vcc, 0, v28, vcc
	global_load_dwordx2 v[21:22], v[21:22], off offset:512
	s_or_b64 exec, exec, s[0:1]
                                        ; implicit-def: $vgpr23_vgpr24
	s_and_saveexec_b64 s[0:1], s[16:17]
	s_cbranch_execnz .LBB87_100
.LBB87_111:
	s_or_b64 exec, exec, s[0:1]
                                        ; implicit-def: $vgpr25_vgpr26
	s_and_saveexec_b64 s[0:1], s[14:15]
	s_cbranch_execz .LBB87_113
.LBB87_112:
	v_add_co_u32_e32 v25, vcc, 0x1000, v27
	v_addc_co_u32_e32 v26, vcc, 0, v28, vcc
	global_load_dwordx2 v[25:26], v[25:26], off offset:1536
.LBB87_113:
	s_or_b64 exec, exec, s[0:1]
	v_mov_b32_e32 v62, 0
	v_mov_b32_e32 v64, 0
	s_and_saveexec_b64 s[0:1], s[24:25]
	s_cbranch_execz .LBB87_115
; %bb.114:
	v_lshlrev_b32_e32 v27, 2, v0
	ds_read_b32 v27, v27 offset:2048
	s_waitcnt lgkmcnt(0)
	v_lshrrev_b32_e32 v27, s68, v27
	v_and_b32_e32 v64, s74, v27
.LBB87_115:
	s_or_b64 exec, exec, s[0:1]
	s_and_saveexec_b64 s[0:1], s[26:27]
	s_cbranch_execz .LBB87_117
; %bb.116:
	v_lshlrev_b32_e32 v27, 2, v0
	ds_read_b32 v27, v27 offset:3072
	s_waitcnt lgkmcnt(0)
	v_lshrrev_b32_e32 v27, s68, v27
	v_and_b32_e32 v62, s74, v27
.LBB87_117:
	s_or_b64 exec, exec, s[0:1]
	v_mov_b32_e32 v60, 0
	v_mov_b32_e32 v63, 0
	s_and_saveexec_b64 s[0:1], s[28:29]
	s_cbranch_execz .LBB87_119
; %bb.118:
	v_lshlrev_b32_e32 v27, 2, v0
	ds_read_b32 v27, v27 offset:4096
	s_waitcnt lgkmcnt(0)
	v_lshrrev_b32_e32 v27, s68, v27
	v_and_b32_e32 v63, s74, v27
.LBB87_119:
	s_or_b64 exec, exec, s[0:1]
	s_and_saveexec_b64 s[0:1], s[30:31]
	s_cbranch_execz .LBB87_121
; %bb.120:
	v_lshlrev_b32_e32 v27, 2, v0
	ds_read_b32 v27, v27 offset:5120
	s_waitcnt lgkmcnt(0)
	v_lshrrev_b32_e32 v27, s68, v27
	v_and_b32_e32 v60, s74, v27
.LBB87_121:
	;; [unrolled: 22-line block ×6, first 2 shown]
	s_or_b64 exec, exec, s[0:1]
	v_lshlrev_b32_e32 v44, 3, v44
	s_waitcnt vmcnt(0)
	s_barrier
	ds_write_b64 v44, v[3:4] offset:2048
	v_lshlrev_b32_e32 v3, 3, v43
	ds_write_b64 v3, v[5:6] offset:2048
	v_lshlrev_b32_e32 v3, 3, v42
	;; [unrolled: 2-line block ×11, first 2 shown]
	ds_write_b64 v3, v[25:26] offset:2048
	s_waitcnt lgkmcnt(0)
	s_barrier
	s_and_saveexec_b64 s[0:1], s[24:25]
	s_cbranch_execz .LBB87_196
; %bb.138:
	v_lshlrev_b32_e32 v3, 3, v64
	ds_read_b64 v[3:4], v3
	ds_read_b64 v[5:6], v32 offset:2048
	v_mov_b32_e32 v7, s63
	s_waitcnt lgkmcnt(1)
	v_lshlrev_b64 v[3:4], 3, v[3:4]
	v_add_co_u32_e32 v3, vcc, s62, v3
	v_addc_co_u32_e32 v4, vcc, v7, v4, vcc
	v_add_co_u32_e32 v3, vcc, v3, v32
	v_addc_co_u32_e32 v4, vcc, 0, v4, vcc
	s_waitcnt lgkmcnt(0)
	global_store_dwordx2 v[3:4], v[5:6], off
	s_or_b64 exec, exec, s[0:1]
	s_and_saveexec_b64 s[0:1], s[26:27]
	s_cbranch_execnz .LBB87_197
.LBB87_139:
	s_or_b64 exec, exec, s[0:1]
	s_and_saveexec_b64 s[0:1], s[28:29]
	s_cbranch_execz .LBB87_198
.LBB87_140:
	v_lshlrev_b32_e32 v3, 3, v63
	ds_read_b64 v[3:4], v3
	ds_read_b64 v[5:6], v32 offset:6144
	v_mov_b32_e32 v7, s63
	s_waitcnt lgkmcnt(1)
	v_lshlrev_b64 v[3:4], 3, v[3:4]
	v_add_co_u32_e32 v3, vcc, s62, v3
	v_addc_co_u32_e32 v4, vcc, v7, v4, vcc
	v_lshlrev_b32_e32 v7, 3, v45
	v_add_co_u32_e32 v3, vcc, v3, v7
	v_addc_co_u32_e32 v4, vcc, 0, v4, vcc
	s_waitcnt lgkmcnt(0)
	global_store_dwordx2 v[3:4], v[5:6], off
	s_or_b64 exec, exec, s[0:1]
	s_and_saveexec_b64 s[0:1], s[30:31]
	s_cbranch_execnz .LBB87_199
.LBB87_141:
	s_or_b64 exec, exec, s[0:1]
	s_and_saveexec_b64 s[0:1], s[34:35]
	s_cbranch_execz .LBB87_200
.LBB87_142:
	v_lshlrev_b32_e32 v3, 3, v61
	ds_read_b64 v[3:4], v3
	ds_read_b64 v[5:6], v32 offset:10240
	v_mov_b32_e32 v7, s63
	s_waitcnt lgkmcnt(1)
	v_lshlrev_b64 v[3:4], 3, v[3:4]
	v_add_co_u32_e32 v3, vcc, s62, v3
	v_addc_co_u32_e32 v4, vcc, v7, v4, vcc
	v_lshlrev_b32_e32 v7, 3, v47
	v_add_co_u32_e32 v3, vcc, v3, v7
	v_addc_co_u32_e32 v4, vcc, 0, v4, vcc
	s_waitcnt lgkmcnt(0)
	global_store_dwordx2 v[3:4], v[5:6], off
	s_or_b64 exec, exec, s[0:1]
	s_and_saveexec_b64 s[0:1], s[36:37]
	s_cbranch_execnz .LBB87_201
.LBB87_143:
	s_or_b64 exec, exec, s[0:1]
	s_and_saveexec_b64 s[0:1], s[38:39]
	s_cbranch_execz .LBB87_202
.LBB87_144:
	v_lshlrev_b32_e32 v3, 3, v59
	ds_read_b64 v[3:4], v3
	ds_read_b64 v[5:6], v32 offset:14336
	v_mov_b32_e32 v7, s63
	s_waitcnt lgkmcnt(1)
	v_lshlrev_b64 v[3:4], 3, v[3:4]
	v_add_co_u32_e32 v3, vcc, s62, v3
	v_addc_co_u32_e32 v4, vcc, v7, v4, vcc
	v_lshlrev_b32_e32 v7, 3, v49
	v_add_co_u32_e32 v3, vcc, v3, v7
	v_addc_co_u32_e32 v4, vcc, 0, v4, vcc
	s_waitcnt lgkmcnt(0)
	global_store_dwordx2 v[3:4], v[5:6], off
	s_or_b64 exec, exec, s[0:1]
	s_and_saveexec_b64 s[0:1], s[40:41]
	s_cbranch_execnz .LBB87_203
.LBB87_145:
	s_or_b64 exec, exec, s[0:1]
	s_and_saveexec_b64 s[0:1], s[42:43]
	s_cbranch_execz .LBB87_204
.LBB87_146:
	v_lshlrev_b32_e32 v3, 3, v57
	ds_read_b64 v[3:4], v3
	ds_read_b64 v[5:6], v32 offset:18432
	v_mov_b32_e32 v7, s63
	s_waitcnt lgkmcnt(1)
	v_lshlrev_b64 v[3:4], 3, v[3:4]
	v_add_co_u32_e32 v3, vcc, s62, v3
	v_addc_co_u32_e32 v4, vcc, v7, v4, vcc
	v_lshlrev_b32_e32 v7, 3, v51
	v_add_co_u32_e32 v3, vcc, v3, v7
	v_addc_co_u32_e32 v4, vcc, 0, v4, vcc
	s_waitcnt lgkmcnt(0)
	global_store_dwordx2 v[3:4], v[5:6], off
	s_or_b64 exec, exec, s[0:1]
	s_and_saveexec_b64 s[0:1], s[44:45]
	s_cbranch_execnz .LBB87_205
.LBB87_147:
	s_or_b64 exec, exec, s[0:1]
	s_and_saveexec_b64 s[0:1], s[46:47]
	s_cbranch_execz .LBB87_206
.LBB87_148:
	v_lshlrev_b32_e32 v3, 3, v55
	ds_read_b64 v[3:4], v3
	ds_read_b64 v[5:6], v32 offset:22528
	v_mov_b32_e32 v7, s63
	s_waitcnt lgkmcnt(1)
	v_lshlrev_b64 v[3:4], 3, v[3:4]
	v_add_co_u32_e32 v3, vcc, s62, v3
	v_addc_co_u32_e32 v4, vcc, v7, v4, vcc
	v_lshlrev_b32_e32 v7, 3, v53
	v_add_co_u32_e32 v3, vcc, v3, v7
	v_addc_co_u32_e32 v4, vcc, 0, v4, vcc
	s_waitcnt lgkmcnt(0)
	global_store_dwordx2 v[3:4], v[5:6], off
	s_or_b64 exec, exec, s[0:1]
	s_and_saveexec_b64 s[0:1], s[48:49]
	s_cbranch_execnz .LBB87_207
.LBB87_149:
	s_or_b64 exec, exec, s[0:1]
	s_add_i32 s33, s33, -1
	s_cmp_eq_u32 s6, s33
	s_cbranch_scc0 .LBB87_151
.LBB87_150:
	ds_read_b64 v[3:4], v32
	v_add_co_u32_e32 v5, vcc, v31, v30
	v_addc_co_u32_e64 v6, s[0:1], 0, 0, vcc
	s_waitcnt lgkmcnt(0)
	v_add_co_u32_e32 v3, vcc, v5, v3
	v_addc_co_u32_e32 v4, vcc, v6, v4, vcc
	global_store_dwordx2 v32, v[3:4], s[66:67]
.LBB87_151:
	s_mov_b64 s[0:1], 0
.LBB87_152:
	s_and_b64 vcc, exec, s[0:1]
	s_cbranch_vccz .LBB87_195
; %bb.153:
	s_mov_b32 s55, 0
	s_lshl_b64 s[0:1], s[54:55], 2
	v_mbcnt_hi_u32_b32 v8, -1, v29
	s_add_u32 s0, s56, s0
	v_lshlrev_b32_e32 v4, 2, v8
	v_add_co_u32_e32 v4, vcc, s0, v4
	s_load_dword s8, s[4:5], 0x50
	s_load_dword s0, s[4:5], 0x5c
	s_addc_u32 s1, s57, s1
	v_and_b32_e32 v9, 0xc0, v0
	v_mul_u32_u24_e32 v7, 12, v9
	v_mov_b32_e32 v5, s1
	v_addc_co_u32_e32 v5, vcc, 0, v5, vcc
	v_lshlrev_b32_e32 v6, 2, v7
	v_add_co_u32_e32 v4, vcc, v4, v6
	s_add_u32 s1, s4, 0x50
	v_addc_co_u32_e32 v5, vcc, 0, v5, vcc
	s_addc_u32 s2, s5, 0
	s_waitcnt lgkmcnt(0)
	s_lshr_b32 s3, s0, 16
	global_load_dword v10, v[4:5], off
	s_cmp_lt_u32 s6, s8
	s_cselect_b32 s0, 12, 18
	s_add_u32 s0, s1, s0
	v_mov_b32_e32 v3, 0
	s_addc_u32 s1, s2, 0
	global_load_ushort v12, v3, s[0:1]
	v_mul_u32_u24_e32 v6, 20, v0
	ds_write2_b32 v6, v3, v3 offset0:4 offset1:5
	ds_write2_b32 v6, v3, v3 offset0:6 offset1:7
	ds_write_b32 v6, v3 offset:32
	global_load_dword v11, v[4:5], off offset:256
	global_load_dword v15, v[4:5], off offset:512
	;; [unrolled: 1-line block ×11, first 2 shown]
	s_lshl_b32 s0, -1, s69
	v_mad_u32_u24 v1, v2, s3, v1
	s_not_b32 s9, s0
	s_waitcnt vmcnt(0) lgkmcnt(0)
	s_barrier
	; wave barrier
	v_xor_b32_e32 v5, 0x7fffffff, v10
	v_lshrrev_b32_e32 v2, s68, v5
	v_and_b32_e32 v13, s9, v2
	v_and_b32_e32 v10, 1, v13
	v_lshlrev_b32_e32 v4, 30, v13
	v_mad_u64_u32 v[1:2], s[0:1], v1, v12, v[0:1]
	v_add_co_u32_e32 v12, vcc, -1, v10
	v_addc_co_u32_e64 v14, s[0:1], 0, -1, vcc
	v_mul_lo_u32 v2, v13, 20
	v_cmp_ne_u32_e32 vcc, 0, v10
	v_cmp_gt_i64_e64 s[0:1], 0, v[3:4]
	v_not_b32_e32 v10, v4
	v_lshlrev_b32_e32 v4, 29, v13
	v_xor_b32_e32 v14, vcc_hi, v14
	v_xor_b32_e32 v12, vcc_lo, v12
	v_ashrrev_i32_e32 v10, 31, v10
	v_cmp_gt_i64_e32 vcc, 0, v[3:4]
	v_not_b32_e32 v16, v4
	v_lshlrev_b32_e32 v4, 28, v13
	v_and_b32_e32 v14, exec_hi, v14
	v_and_b32_e32 v12, exec_lo, v12
	v_xor_b32_e32 v18, s1, v10
	v_xor_b32_e32 v10, s0, v10
	v_ashrrev_i32_e32 v16, 31, v16
	v_cmp_gt_i64_e64 s[0:1], 0, v[3:4]
	v_not_b32_e32 v19, v4
	v_lshlrev_b32_e32 v4, 27, v13
	v_lshrrev_b32_e32 v20, 6, v1
	v_and_b32_e32 v1, v14, v18
	v_and_b32_e32 v12, v12, v10
	v_xor_b32_e32 v14, vcc_hi, v16
	v_xor_b32_e32 v16, vcc_lo, v16
	v_ashrrev_i32_e32 v18, 31, v19
	v_cmp_gt_i64_e32 vcc, 0, v[3:4]
	v_not_b32_e32 v4, v4
	v_lshl_add_u32 v10, v20, 2, v2
	v_and_b32_e32 v1, v1, v14
	v_and_b32_e32 v2, v12, v16
	v_xor_b32_e32 v12, s1, v18
	v_xor_b32_e32 v14, s0, v18
	v_ashrrev_i32_e32 v4, 31, v4
	v_and_b32_e32 v1, v1, v12
	v_and_b32_e32 v2, v2, v14
	v_xor_b32_e32 v12, vcc_hi, v4
	v_xor_b32_e32 v4, vcc_lo, v4
	v_and_b32_e32 v2, v2, v4
	v_lshlrev_b32_e32 v4, 26, v13
	v_cmp_gt_i64_e32 vcc, 0, v[3:4]
	v_not_b32_e32 v4, v4
	v_ashrrev_i32_e32 v4, 31, v4
	v_and_b32_e32 v1, v1, v12
	v_xor_b32_e32 v12, vcc_hi, v4
	v_xor_b32_e32 v4, vcc_lo, v4
	v_and_b32_e32 v2, v2, v4
	v_lshlrev_b32_e32 v4, 25, v13
	v_cmp_gt_i64_e32 vcc, 0, v[3:4]
	v_not_b32_e32 v4, v4
	v_ashrrev_i32_e32 v4, 31, v4
	v_and_b32_e32 v1, v1, v12
	v_xor_b32_e32 v12, vcc_hi, v4
	v_xor_b32_e32 v4, vcc_lo, v4
	v_and_b32_e32 v1, v1, v12
	v_and_b32_e32 v12, v2, v4
	v_lshlrev_b32_e32 v4, 24, v13
	v_cmp_gt_i64_e32 vcc, 0, v[3:4]
	v_not_b32_e32 v2, v4
	v_ashrrev_i32_e32 v2, 31, v2
	v_xor_b32_e32 v4, vcc_hi, v2
	v_xor_b32_e32 v13, vcc_lo, v2
	v_and_b32_e32 v2, v1, v4
	v_and_b32_e32 v1, v12, v13
	v_mbcnt_lo_u32_b32 v4, v1, 0
	v_mbcnt_hi_u32_b32 v12, v2, v4
	v_cmp_ne_u64_e32 vcc, 0, v[1:2]
	v_cmp_eq_u32_e64 s[0:1], 0, v12
	s_and_b64 s[2:3], vcc, s[0:1]
	s_and_saveexec_b64 s[0:1], s[2:3]
; %bb.154:
	v_bcnt_u32_b32 v1, v1, 0
	v_bcnt_u32_b32 v1, v2, v1
	ds_write_b32 v10, v1 offset:16
; %bb.155:
	s_or_b64 exec, exec, s[0:1]
	v_xor_b32_e32 v11, 0x7fffffff, v11
	v_lshrrev_b32_e32 v1, s68, v11
	v_and_b32_e32 v1, s9, v1
	v_mul_lo_u32 v2, v1, 20
	v_and_b32_e32 v4, 1, v1
	; wave barrier
	v_lshl_add_u32 v14, v20, 2, v2
	v_add_co_u32_e32 v2, vcc, -1, v4
	v_addc_co_u32_e64 v16, s[0:1], 0, -1, vcc
	v_cmp_ne_u32_e32 vcc, 0, v4
	v_xor_b32_e32 v4, vcc_hi, v16
	v_and_b32_e32 v16, exec_hi, v4
	v_lshlrev_b32_e32 v4, 30, v1
	v_xor_b32_e32 v2, vcc_lo, v2
	v_cmp_gt_i64_e32 vcc, 0, v[3:4]
	v_not_b32_e32 v4, v4
	v_ashrrev_i32_e32 v4, 31, v4
	v_and_b32_e32 v2, exec_lo, v2
	v_xor_b32_e32 v18, vcc_hi, v4
	v_xor_b32_e32 v4, vcc_lo, v4
	v_and_b32_e32 v2, v2, v4
	v_lshlrev_b32_e32 v4, 29, v1
	v_cmp_gt_i64_e32 vcc, 0, v[3:4]
	v_not_b32_e32 v4, v4
	v_ashrrev_i32_e32 v4, 31, v4
	v_and_b32_e32 v16, v16, v18
	v_xor_b32_e32 v18, vcc_hi, v4
	v_xor_b32_e32 v4, vcc_lo, v4
	v_and_b32_e32 v2, v2, v4
	v_lshlrev_b32_e32 v4, 28, v1
	v_cmp_gt_i64_e32 vcc, 0, v[3:4]
	v_not_b32_e32 v4, v4
	v_ashrrev_i32_e32 v4, 31, v4
	v_and_b32_e32 v16, v16, v18
	;; [unrolled: 8-line block ×5, first 2 shown]
	v_xor_b32_e32 v18, vcc_hi, v4
	v_xor_b32_e32 v4, vcc_lo, v4
	v_and_b32_e32 v16, v16, v18
	v_and_b32_e32 v18, v2, v4
	v_lshlrev_b32_e32 v4, 24, v1
	v_cmp_gt_i64_e32 vcc, 0, v[3:4]
	v_not_b32_e32 v1, v4
	v_ashrrev_i32_e32 v1, 31, v1
	v_xor_b32_e32 v2, vcc_hi, v1
	v_xor_b32_e32 v1, vcc_lo, v1
	ds_read_b32 v13, v14 offset:16
	v_and_b32_e32 v1, v18, v1
	v_and_b32_e32 v2, v16, v2
	v_mbcnt_lo_u32_b32 v3, v1, 0
	v_mbcnt_hi_u32_b32 v16, v2, v3
	v_cmp_ne_u64_e32 vcc, 0, v[1:2]
	v_cmp_eq_u32_e64 s[0:1], 0, v16
	s_and_b64 s[2:3], vcc, s[0:1]
	; wave barrier
	s_and_saveexec_b64 s[0:1], s[2:3]
	s_cbranch_execz .LBB87_157
; %bb.156:
	v_bcnt_u32_b32 v1, v1, 0
	v_bcnt_u32_b32 v1, v2, v1
	s_waitcnt lgkmcnt(0)
	v_add_u32_e32 v1, v13, v1
	ds_write_b32 v14, v1 offset:16
.LBB87_157:
	s_or_b64 exec, exec, s[0:1]
	v_xor_b32_e32 v15, 0x7fffffff, v15
	v_lshrrev_b32_e32 v1, s68, v15
	v_and_b32_e32 v3, s9, v1
	v_mul_lo_u32 v1, v3, 20
	v_and_b32_e32 v2, 1, v3
	v_add_co_u32_e32 v4, vcc, -1, v2
	v_addc_co_u32_e64 v22, s[0:1], 0, -1, vcc
	v_cmp_ne_u32_e32 vcc, 0, v2
	v_xor_b32_e32 v2, vcc_hi, v22
	v_lshl_add_u32 v19, v20, 2, v1
	v_mov_b32_e32 v1, 0
	v_and_b32_e32 v22, exec_hi, v2
	v_lshlrev_b32_e32 v2, 30, v3
	v_xor_b32_e32 v4, vcc_lo, v4
	v_cmp_gt_i64_e32 vcc, 0, v[1:2]
	v_not_b32_e32 v2, v2
	v_ashrrev_i32_e32 v2, 31, v2
	v_and_b32_e32 v4, exec_lo, v4
	v_xor_b32_e32 v24, vcc_hi, v2
	v_xor_b32_e32 v2, vcc_lo, v2
	v_and_b32_e32 v4, v4, v2
	v_lshlrev_b32_e32 v2, 29, v3
	v_cmp_gt_i64_e32 vcc, 0, v[1:2]
	v_not_b32_e32 v2, v2
	v_ashrrev_i32_e32 v2, 31, v2
	v_and_b32_e32 v22, v22, v24
	v_xor_b32_e32 v24, vcc_hi, v2
	v_xor_b32_e32 v2, vcc_lo, v2
	v_and_b32_e32 v4, v4, v2
	v_lshlrev_b32_e32 v2, 28, v3
	v_cmp_gt_i64_e32 vcc, 0, v[1:2]
	v_not_b32_e32 v2, v2
	v_ashrrev_i32_e32 v2, 31, v2
	v_and_b32_e32 v22, v22, v24
	;; [unrolled: 8-line block ×5, first 2 shown]
	v_xor_b32_e32 v24, vcc_hi, v2
	v_xor_b32_e32 v2, vcc_lo, v2
	v_and_b32_e32 v4, v4, v2
	v_lshlrev_b32_e32 v2, 24, v3
	v_cmp_gt_i64_e32 vcc, 0, v[1:2]
	v_not_b32_e32 v2, v2
	v_ashrrev_i32_e32 v2, 31, v2
	v_xor_b32_e32 v3, vcc_hi, v2
	v_xor_b32_e32 v2, vcc_lo, v2
	; wave barrier
	ds_read_b32 v18, v19 offset:16
	v_and_b32_e32 v22, v22, v24
	v_and_b32_e32 v2, v4, v2
	;; [unrolled: 1-line block ×3, first 2 shown]
	v_mbcnt_lo_u32_b32 v4, v2, 0
	v_mbcnt_hi_u32_b32 v22, v3, v4
	v_cmp_ne_u64_e32 vcc, 0, v[2:3]
	v_cmp_eq_u32_e64 s[0:1], 0, v22
	s_and_b64 s[2:3], vcc, s[0:1]
	; wave barrier
	s_and_saveexec_b64 s[0:1], s[2:3]
	s_cbranch_execz .LBB87_159
; %bb.158:
	v_bcnt_u32_b32 v2, v2, 0
	v_bcnt_u32_b32 v2, v3, v2
	s_waitcnt lgkmcnt(0)
	v_add_u32_e32 v2, v18, v2
	ds_write_b32 v19, v2 offset:16
.LBB87_159:
	s_or_b64 exec, exec, s[0:1]
	v_xor_b32_e32 v21, 0x7fffffff, v21
	v_lshrrev_b32_e32 v2, s68, v21
	v_and_b32_e32 v3, s9, v2
	v_mul_lo_u32 v2, v3, 20
	v_and_b32_e32 v4, 1, v3
	; wave barrier
	v_lshl_add_u32 v25, v20, 2, v2
	v_add_co_u32_e32 v2, vcc, -1, v4
	v_addc_co_u32_e64 v27, s[0:1], 0, -1, vcc
	v_cmp_ne_u32_e32 vcc, 0, v4
	v_xor_b32_e32 v2, vcc_lo, v2
	v_xor_b32_e32 v4, vcc_hi, v27
	v_and_b32_e32 v27, exec_lo, v2
	v_lshlrev_b32_e32 v2, 30, v3
	v_cmp_gt_i64_e32 vcc, 0, v[1:2]
	v_not_b32_e32 v2, v2
	v_ashrrev_i32_e32 v2, 31, v2
	v_xor_b32_e32 v29, vcc_hi, v2
	v_xor_b32_e32 v2, vcc_lo, v2
	v_and_b32_e32 v27, v27, v2
	v_lshlrev_b32_e32 v2, 29, v3
	v_cmp_gt_i64_e32 vcc, 0, v[1:2]
	v_not_b32_e32 v2, v2
	v_and_b32_e32 v4, exec_hi, v4
	v_ashrrev_i32_e32 v2, 31, v2
	v_and_b32_e32 v4, v4, v29
	v_xor_b32_e32 v29, vcc_hi, v2
	v_xor_b32_e32 v2, vcc_lo, v2
	v_and_b32_e32 v27, v27, v2
	v_lshlrev_b32_e32 v2, 28, v3
	v_cmp_gt_i64_e32 vcc, 0, v[1:2]
	v_not_b32_e32 v2, v2
	v_ashrrev_i32_e32 v2, 31, v2
	v_and_b32_e32 v4, v4, v29
	v_xor_b32_e32 v29, vcc_hi, v2
	v_xor_b32_e32 v2, vcc_lo, v2
	v_and_b32_e32 v27, v27, v2
	v_lshlrev_b32_e32 v2, 27, v3
	v_cmp_gt_i64_e32 vcc, 0, v[1:2]
	v_not_b32_e32 v2, v2
	;; [unrolled: 8-line block ×5, first 2 shown]
	v_ashrrev_i32_e32 v1, 31, v1
	v_xor_b32_e32 v2, vcc_hi, v1
	v_xor_b32_e32 v1, vcc_lo, v1
	ds_read_b32 v24, v25 offset:16
	v_and_b32_e32 v4, v4, v29
	v_and_b32_e32 v1, v27, v1
	;; [unrolled: 1-line block ×3, first 2 shown]
	v_mbcnt_lo_u32_b32 v3, v1, 0
	v_mbcnt_hi_u32_b32 v27, v2, v3
	v_cmp_ne_u64_e32 vcc, 0, v[1:2]
	v_cmp_eq_u32_e64 s[0:1], 0, v27
	s_and_b64 s[2:3], vcc, s[0:1]
	; wave barrier
	s_and_saveexec_b64 s[0:1], s[2:3]
	s_cbranch_execz .LBB87_161
; %bb.160:
	v_bcnt_u32_b32 v1, v1, 0
	v_bcnt_u32_b32 v1, v2, v1
	s_waitcnt lgkmcnt(0)
	v_add_u32_e32 v1, v24, v1
	ds_write_b32 v25, v1 offset:16
.LBB87_161:
	s_or_b64 exec, exec, s[0:1]
	v_xor_b32_e32 v26, 0x7fffffff, v26
	v_lshrrev_b32_e32 v1, s68, v26
	v_and_b32_e32 v3, s9, v1
	v_mul_lo_u32 v1, v3, 20
	v_and_b32_e32 v2, 1, v3
	v_add_co_u32_e32 v4, vcc, -1, v2
	v_addc_co_u32_e64 v32, s[0:1], 0, -1, vcc
	v_cmp_ne_u32_e32 vcc, 0, v2
	v_xor_b32_e32 v2, vcc_hi, v32
	v_lshl_add_u32 v30, v20, 2, v1
	v_mov_b32_e32 v1, 0
	v_and_b32_e32 v32, exec_hi, v2
	v_lshlrev_b32_e32 v2, 30, v3
	v_xor_b32_e32 v4, vcc_lo, v4
	v_cmp_gt_i64_e32 vcc, 0, v[1:2]
	v_not_b32_e32 v2, v2
	v_ashrrev_i32_e32 v2, 31, v2
	v_and_b32_e32 v4, exec_lo, v4
	v_xor_b32_e32 v34, vcc_hi, v2
	v_xor_b32_e32 v2, vcc_lo, v2
	v_and_b32_e32 v4, v4, v2
	v_lshlrev_b32_e32 v2, 29, v3
	v_cmp_gt_i64_e32 vcc, 0, v[1:2]
	v_not_b32_e32 v2, v2
	v_ashrrev_i32_e32 v2, 31, v2
	v_and_b32_e32 v32, v32, v34
	v_xor_b32_e32 v34, vcc_hi, v2
	v_xor_b32_e32 v2, vcc_lo, v2
	v_and_b32_e32 v4, v4, v2
	v_lshlrev_b32_e32 v2, 28, v3
	v_cmp_gt_i64_e32 vcc, 0, v[1:2]
	v_not_b32_e32 v2, v2
	v_ashrrev_i32_e32 v2, 31, v2
	v_and_b32_e32 v32, v32, v34
	;; [unrolled: 8-line block ×5, first 2 shown]
	v_xor_b32_e32 v34, vcc_hi, v2
	v_xor_b32_e32 v2, vcc_lo, v2
	v_and_b32_e32 v4, v4, v2
	v_lshlrev_b32_e32 v2, 24, v3
	v_cmp_gt_i64_e32 vcc, 0, v[1:2]
	v_not_b32_e32 v2, v2
	v_ashrrev_i32_e32 v2, 31, v2
	v_xor_b32_e32 v3, vcc_hi, v2
	v_xor_b32_e32 v2, vcc_lo, v2
	; wave barrier
	ds_read_b32 v29, v30 offset:16
	v_and_b32_e32 v32, v32, v34
	v_and_b32_e32 v2, v4, v2
	;; [unrolled: 1-line block ×3, first 2 shown]
	v_mbcnt_lo_u32_b32 v4, v2, 0
	v_mbcnt_hi_u32_b32 v32, v3, v4
	v_cmp_ne_u64_e32 vcc, 0, v[2:3]
	v_cmp_eq_u32_e64 s[0:1], 0, v32
	s_and_b64 s[2:3], vcc, s[0:1]
	; wave barrier
	s_and_saveexec_b64 s[0:1], s[2:3]
	s_cbranch_execz .LBB87_163
; %bb.162:
	v_bcnt_u32_b32 v2, v2, 0
	v_bcnt_u32_b32 v2, v3, v2
	s_waitcnt lgkmcnt(0)
	v_add_u32_e32 v2, v29, v2
	ds_write_b32 v30, v2 offset:16
.LBB87_163:
	s_or_b64 exec, exec, s[0:1]
	v_xor_b32_e32 v31, 0x7fffffff, v31
	v_lshrrev_b32_e32 v2, s68, v31
	v_and_b32_e32 v3, s9, v2
	v_mul_lo_u32 v2, v3, 20
	v_and_b32_e32 v4, 1, v3
	; wave barrier
	v_lshl_add_u32 v35, v20, 2, v2
	v_add_co_u32_e32 v2, vcc, -1, v4
	v_addc_co_u32_e64 v37, s[0:1], 0, -1, vcc
	v_cmp_ne_u32_e32 vcc, 0, v4
	v_xor_b32_e32 v2, vcc_lo, v2
	v_xor_b32_e32 v4, vcc_hi, v37
	v_and_b32_e32 v37, exec_lo, v2
	v_lshlrev_b32_e32 v2, 30, v3
	v_cmp_gt_i64_e32 vcc, 0, v[1:2]
	v_not_b32_e32 v2, v2
	v_ashrrev_i32_e32 v2, 31, v2
	v_xor_b32_e32 v39, vcc_hi, v2
	v_xor_b32_e32 v2, vcc_lo, v2
	v_and_b32_e32 v37, v37, v2
	v_lshlrev_b32_e32 v2, 29, v3
	v_cmp_gt_i64_e32 vcc, 0, v[1:2]
	v_not_b32_e32 v2, v2
	v_and_b32_e32 v4, exec_hi, v4
	v_ashrrev_i32_e32 v2, 31, v2
	v_and_b32_e32 v4, v4, v39
	v_xor_b32_e32 v39, vcc_hi, v2
	v_xor_b32_e32 v2, vcc_lo, v2
	v_and_b32_e32 v37, v37, v2
	v_lshlrev_b32_e32 v2, 28, v3
	v_cmp_gt_i64_e32 vcc, 0, v[1:2]
	v_not_b32_e32 v2, v2
	v_ashrrev_i32_e32 v2, 31, v2
	v_and_b32_e32 v4, v4, v39
	v_xor_b32_e32 v39, vcc_hi, v2
	v_xor_b32_e32 v2, vcc_lo, v2
	v_and_b32_e32 v37, v37, v2
	v_lshlrev_b32_e32 v2, 27, v3
	v_cmp_gt_i64_e32 vcc, 0, v[1:2]
	v_not_b32_e32 v2, v2
	;; [unrolled: 8-line block ×5, first 2 shown]
	v_ashrrev_i32_e32 v1, 31, v1
	v_xor_b32_e32 v2, vcc_hi, v1
	v_xor_b32_e32 v1, vcc_lo, v1
	ds_read_b32 v34, v35 offset:16
	v_and_b32_e32 v4, v4, v39
	v_and_b32_e32 v1, v37, v1
	;; [unrolled: 1-line block ×3, first 2 shown]
	v_mbcnt_lo_u32_b32 v3, v1, 0
	v_mbcnt_hi_u32_b32 v37, v2, v3
	v_cmp_ne_u64_e32 vcc, 0, v[1:2]
	v_cmp_eq_u32_e64 s[0:1], 0, v37
	s_and_b64 s[2:3], vcc, s[0:1]
	; wave barrier
	s_and_saveexec_b64 s[0:1], s[2:3]
	s_cbranch_execz .LBB87_165
; %bb.164:
	v_bcnt_u32_b32 v1, v1, 0
	v_bcnt_u32_b32 v1, v2, v1
	s_waitcnt lgkmcnt(0)
	v_add_u32_e32 v1, v34, v1
	ds_write_b32 v35, v1 offset:16
.LBB87_165:
	s_or_b64 exec, exec, s[0:1]
	v_xor_b32_e32 v36, 0x7fffffff, v36
	v_lshrrev_b32_e32 v1, s68, v36
	v_and_b32_e32 v3, s9, v1
	v_mul_lo_u32 v1, v3, 20
	v_and_b32_e32 v2, 1, v3
	v_add_co_u32_e32 v4, vcc, -1, v2
	v_addc_co_u32_e64 v41, s[0:1], 0, -1, vcc
	v_cmp_ne_u32_e32 vcc, 0, v2
	v_xor_b32_e32 v2, vcc_hi, v41
	v_lshl_add_u32 v40, v20, 2, v1
	v_mov_b32_e32 v1, 0
	v_and_b32_e32 v41, exec_hi, v2
	v_lshlrev_b32_e32 v2, 30, v3
	v_xor_b32_e32 v4, vcc_lo, v4
	v_cmp_gt_i64_e32 vcc, 0, v[1:2]
	v_not_b32_e32 v2, v2
	v_ashrrev_i32_e32 v2, 31, v2
	v_and_b32_e32 v4, exec_lo, v4
	v_xor_b32_e32 v42, vcc_hi, v2
	v_xor_b32_e32 v2, vcc_lo, v2
	v_and_b32_e32 v4, v4, v2
	v_lshlrev_b32_e32 v2, 29, v3
	v_cmp_gt_i64_e32 vcc, 0, v[1:2]
	v_not_b32_e32 v2, v2
	v_ashrrev_i32_e32 v2, 31, v2
	v_and_b32_e32 v41, v41, v42
	v_xor_b32_e32 v42, vcc_hi, v2
	v_xor_b32_e32 v2, vcc_lo, v2
	v_and_b32_e32 v4, v4, v2
	v_lshlrev_b32_e32 v2, 28, v3
	v_cmp_gt_i64_e32 vcc, 0, v[1:2]
	v_not_b32_e32 v2, v2
	v_ashrrev_i32_e32 v2, 31, v2
	v_and_b32_e32 v41, v41, v42
	;; [unrolled: 8-line block ×5, first 2 shown]
	v_xor_b32_e32 v42, vcc_hi, v2
	v_xor_b32_e32 v2, vcc_lo, v2
	v_and_b32_e32 v4, v4, v2
	v_lshlrev_b32_e32 v2, 24, v3
	v_cmp_gt_i64_e32 vcc, 0, v[1:2]
	v_not_b32_e32 v2, v2
	v_ashrrev_i32_e32 v2, 31, v2
	v_xor_b32_e32 v3, vcc_hi, v2
	v_xor_b32_e32 v2, vcc_lo, v2
	; wave barrier
	ds_read_b32 v39, v40 offset:16
	v_and_b32_e32 v41, v41, v42
	v_and_b32_e32 v2, v4, v2
	;; [unrolled: 1-line block ×3, first 2 shown]
	v_mbcnt_lo_u32_b32 v4, v2, 0
	v_mbcnt_hi_u32_b32 v41, v3, v4
	v_cmp_ne_u64_e32 vcc, 0, v[2:3]
	v_cmp_eq_u32_e64 s[0:1], 0, v41
	s_and_b64 s[2:3], vcc, s[0:1]
	; wave barrier
	s_and_saveexec_b64 s[0:1], s[2:3]
	s_cbranch_execz .LBB87_167
; %bb.166:
	v_bcnt_u32_b32 v2, v2, 0
	v_bcnt_u32_b32 v2, v3, v2
	s_waitcnt lgkmcnt(0)
	v_add_u32_e32 v2, v39, v2
	ds_write_b32 v40, v2 offset:16
.LBB87_167:
	s_or_b64 exec, exec, s[0:1]
	v_xor_b32_e32 v38, 0x7fffffff, v38
	v_lshrrev_b32_e32 v2, s68, v38
	v_and_b32_e32 v3, s9, v2
	v_mul_lo_u32 v2, v3, 20
	v_and_b32_e32 v4, 1, v3
	; wave barrier
	v_lshl_add_u32 v43, v20, 2, v2
	v_add_co_u32_e32 v2, vcc, -1, v4
	v_addc_co_u32_e64 v44, s[0:1], 0, -1, vcc
	v_cmp_ne_u32_e32 vcc, 0, v4
	v_xor_b32_e32 v2, vcc_lo, v2
	v_xor_b32_e32 v4, vcc_hi, v44
	v_and_b32_e32 v44, exec_lo, v2
	v_lshlrev_b32_e32 v2, 30, v3
	v_cmp_gt_i64_e32 vcc, 0, v[1:2]
	v_not_b32_e32 v2, v2
	v_ashrrev_i32_e32 v2, 31, v2
	v_xor_b32_e32 v45, vcc_hi, v2
	v_xor_b32_e32 v2, vcc_lo, v2
	v_and_b32_e32 v44, v44, v2
	v_lshlrev_b32_e32 v2, 29, v3
	v_cmp_gt_i64_e32 vcc, 0, v[1:2]
	v_not_b32_e32 v2, v2
	v_and_b32_e32 v4, exec_hi, v4
	v_ashrrev_i32_e32 v2, 31, v2
	v_and_b32_e32 v4, v4, v45
	v_xor_b32_e32 v45, vcc_hi, v2
	v_xor_b32_e32 v2, vcc_lo, v2
	v_and_b32_e32 v44, v44, v2
	v_lshlrev_b32_e32 v2, 28, v3
	v_cmp_gt_i64_e32 vcc, 0, v[1:2]
	v_not_b32_e32 v2, v2
	v_ashrrev_i32_e32 v2, 31, v2
	v_and_b32_e32 v4, v4, v45
	v_xor_b32_e32 v45, vcc_hi, v2
	v_xor_b32_e32 v2, vcc_lo, v2
	v_and_b32_e32 v44, v44, v2
	v_lshlrev_b32_e32 v2, 27, v3
	v_cmp_gt_i64_e32 vcc, 0, v[1:2]
	v_not_b32_e32 v2, v2
	v_ashrrev_i32_e32 v2, 31, v2
	v_and_b32_e32 v4, v4, v45
	v_xor_b32_e32 v45, vcc_hi, v2
	v_xor_b32_e32 v2, vcc_lo, v2
	v_and_b32_e32 v44, v44, v2
	v_lshlrev_b32_e32 v2, 26, v3
	v_cmp_gt_i64_e32 vcc, 0, v[1:2]
	v_not_b32_e32 v2, v2
	v_ashrrev_i32_e32 v2, 31, v2
	v_and_b32_e32 v4, v4, v45
	v_xor_b32_e32 v45, vcc_hi, v2
	v_xor_b32_e32 v2, vcc_lo, v2
	v_and_b32_e32 v44, v44, v2
	v_lshlrev_b32_e32 v2, 25, v3
	v_cmp_gt_i64_e32 vcc, 0, v[1:2]
	v_not_b32_e32 v2, v2
	v_ashrrev_i32_e32 v2, 31, v2
	v_and_b32_e32 v4, v4, v45
	v_xor_b32_e32 v45, vcc_hi, v2
	v_xor_b32_e32 v2, vcc_lo, v2
	v_and_b32_e32 v44, v44, v2
	v_lshlrev_b32_e32 v2, 24, v3
	v_cmp_gt_i64_e32 vcc, 0, v[1:2]
	v_not_b32_e32 v1, v2
	v_ashrrev_i32_e32 v1, 31, v1
	v_xor_b32_e32 v2, vcc_hi, v1
	v_xor_b32_e32 v1, vcc_lo, v1
	ds_read_b32 v42, v43 offset:16
	v_and_b32_e32 v4, v4, v45
	v_and_b32_e32 v1, v44, v1
	;; [unrolled: 1-line block ×3, first 2 shown]
	v_mbcnt_lo_u32_b32 v3, v1, 0
	v_mbcnt_hi_u32_b32 v44, v2, v3
	v_cmp_ne_u64_e32 vcc, 0, v[1:2]
	v_cmp_eq_u32_e64 s[0:1], 0, v44
	s_and_b64 s[2:3], vcc, s[0:1]
	; wave barrier
	s_and_saveexec_b64 s[0:1], s[2:3]
	s_cbranch_execz .LBB87_169
; %bb.168:
	v_bcnt_u32_b32 v1, v1, 0
	v_bcnt_u32_b32 v1, v2, v1
	s_waitcnt lgkmcnt(0)
	v_add_u32_e32 v1, v42, v1
	ds_write_b32 v43, v1 offset:16
.LBB87_169:
	s_or_b64 exec, exec, s[0:1]
	v_xor_b32_e32 v33, 0x7fffffff, v33
	v_lshrrev_b32_e32 v1, s68, v33
	v_and_b32_e32 v3, s9, v1
	v_mul_lo_u32 v1, v3, 20
	v_and_b32_e32 v2, 1, v3
	v_add_co_u32_e32 v4, vcc, -1, v2
	v_addc_co_u32_e64 v47, s[0:1], 0, -1, vcc
	v_cmp_ne_u32_e32 vcc, 0, v2
	v_xor_b32_e32 v2, vcc_hi, v47
	v_lshl_add_u32 v46, v20, 2, v1
	v_mov_b32_e32 v1, 0
	v_and_b32_e32 v47, exec_hi, v2
	v_lshlrev_b32_e32 v2, 30, v3
	v_xor_b32_e32 v4, vcc_lo, v4
	v_cmp_gt_i64_e32 vcc, 0, v[1:2]
	v_not_b32_e32 v2, v2
	v_ashrrev_i32_e32 v2, 31, v2
	v_and_b32_e32 v4, exec_lo, v4
	v_xor_b32_e32 v48, vcc_hi, v2
	v_xor_b32_e32 v2, vcc_lo, v2
	v_and_b32_e32 v4, v4, v2
	v_lshlrev_b32_e32 v2, 29, v3
	v_cmp_gt_i64_e32 vcc, 0, v[1:2]
	v_not_b32_e32 v2, v2
	v_ashrrev_i32_e32 v2, 31, v2
	v_and_b32_e32 v47, v47, v48
	v_xor_b32_e32 v48, vcc_hi, v2
	v_xor_b32_e32 v2, vcc_lo, v2
	v_and_b32_e32 v4, v4, v2
	v_lshlrev_b32_e32 v2, 28, v3
	v_cmp_gt_i64_e32 vcc, 0, v[1:2]
	v_not_b32_e32 v2, v2
	v_ashrrev_i32_e32 v2, 31, v2
	v_and_b32_e32 v47, v47, v48
	;; [unrolled: 8-line block ×5, first 2 shown]
	v_xor_b32_e32 v48, vcc_hi, v2
	v_xor_b32_e32 v2, vcc_lo, v2
	v_and_b32_e32 v4, v4, v2
	v_lshlrev_b32_e32 v2, 24, v3
	v_cmp_gt_i64_e32 vcc, 0, v[1:2]
	v_not_b32_e32 v2, v2
	v_ashrrev_i32_e32 v2, 31, v2
	v_xor_b32_e32 v3, vcc_hi, v2
	v_xor_b32_e32 v2, vcc_lo, v2
	; wave barrier
	ds_read_b32 v45, v46 offset:16
	v_and_b32_e32 v47, v47, v48
	v_and_b32_e32 v2, v4, v2
	;; [unrolled: 1-line block ×3, first 2 shown]
	v_mbcnt_lo_u32_b32 v4, v2, 0
	v_mbcnt_hi_u32_b32 v47, v3, v4
	v_cmp_ne_u64_e32 vcc, 0, v[2:3]
	v_cmp_eq_u32_e64 s[0:1], 0, v47
	s_and_b64 s[2:3], vcc, s[0:1]
	; wave barrier
	s_and_saveexec_b64 s[0:1], s[2:3]
	s_cbranch_execz .LBB87_171
; %bb.170:
	v_bcnt_u32_b32 v2, v2, 0
	v_bcnt_u32_b32 v2, v3, v2
	s_waitcnt lgkmcnt(0)
	v_add_u32_e32 v2, v45, v2
	ds_write_b32 v46, v2 offset:16
.LBB87_171:
	s_or_b64 exec, exec, s[0:1]
	v_xor_b32_e32 v28, 0x7fffffff, v28
	v_lshrrev_b32_e32 v2, s68, v28
	v_and_b32_e32 v3, s9, v2
	v_mul_lo_u32 v2, v3, 20
	v_and_b32_e32 v4, 1, v3
	; wave barrier
	v_lshl_add_u32 v49, v20, 2, v2
	v_add_co_u32_e32 v2, vcc, -1, v4
	v_addc_co_u32_e64 v50, s[0:1], 0, -1, vcc
	v_cmp_ne_u32_e32 vcc, 0, v4
	v_xor_b32_e32 v2, vcc_lo, v2
	v_xor_b32_e32 v4, vcc_hi, v50
	v_and_b32_e32 v50, exec_lo, v2
	v_lshlrev_b32_e32 v2, 30, v3
	v_cmp_gt_i64_e32 vcc, 0, v[1:2]
	v_not_b32_e32 v2, v2
	v_ashrrev_i32_e32 v2, 31, v2
	v_xor_b32_e32 v51, vcc_hi, v2
	v_xor_b32_e32 v2, vcc_lo, v2
	v_and_b32_e32 v50, v50, v2
	v_lshlrev_b32_e32 v2, 29, v3
	v_cmp_gt_i64_e32 vcc, 0, v[1:2]
	v_not_b32_e32 v2, v2
	v_and_b32_e32 v4, exec_hi, v4
	v_ashrrev_i32_e32 v2, 31, v2
	v_and_b32_e32 v4, v4, v51
	v_xor_b32_e32 v51, vcc_hi, v2
	v_xor_b32_e32 v2, vcc_lo, v2
	v_and_b32_e32 v50, v50, v2
	v_lshlrev_b32_e32 v2, 28, v3
	v_cmp_gt_i64_e32 vcc, 0, v[1:2]
	v_not_b32_e32 v2, v2
	v_ashrrev_i32_e32 v2, 31, v2
	v_and_b32_e32 v4, v4, v51
	v_xor_b32_e32 v51, vcc_hi, v2
	v_xor_b32_e32 v2, vcc_lo, v2
	v_and_b32_e32 v50, v50, v2
	v_lshlrev_b32_e32 v2, 27, v3
	v_cmp_gt_i64_e32 vcc, 0, v[1:2]
	v_not_b32_e32 v2, v2
	;; [unrolled: 8-line block ×5, first 2 shown]
	v_ashrrev_i32_e32 v1, 31, v1
	v_xor_b32_e32 v2, vcc_hi, v1
	v_xor_b32_e32 v1, vcc_lo, v1
	ds_read_b32 v48, v49 offset:16
	v_and_b32_e32 v4, v4, v51
	v_and_b32_e32 v1, v50, v1
	;; [unrolled: 1-line block ×3, first 2 shown]
	v_mbcnt_lo_u32_b32 v3, v1, 0
	v_mbcnt_hi_u32_b32 v52, v2, v3
	v_cmp_ne_u64_e32 vcc, 0, v[1:2]
	v_cmp_eq_u32_e64 s[0:1], 0, v52
	s_and_b64 s[2:3], vcc, s[0:1]
	; wave barrier
	s_and_saveexec_b64 s[0:1], s[2:3]
	s_cbranch_execz .LBB87_173
; %bb.172:
	v_bcnt_u32_b32 v1, v1, 0
	v_bcnt_u32_b32 v1, v2, v1
	s_waitcnt lgkmcnt(0)
	v_add_u32_e32 v1, v48, v1
	ds_write_b32 v49, v1 offset:16
.LBB87_173:
	s_or_b64 exec, exec, s[0:1]
	v_xor_b32_e32 v51, 0x7fffffff, v23
	v_lshrrev_b32_e32 v1, s68, v51
	v_and_b32_e32 v3, s9, v1
	v_mul_lo_u32 v1, v3, 20
	v_and_b32_e32 v2, 1, v3
	v_add_co_u32_e32 v4, vcc, -1, v2
	v_addc_co_u32_e64 v50, s[0:1], 0, -1, vcc
	v_cmp_ne_u32_e32 vcc, 0, v2
	v_xor_b32_e32 v2, vcc_hi, v50
	v_lshl_add_u32 v23, v20, 2, v1
	v_mov_b32_e32 v1, 0
	v_and_b32_e32 v50, exec_hi, v2
	v_lshlrev_b32_e32 v2, 30, v3
	v_xor_b32_e32 v4, vcc_lo, v4
	v_cmp_gt_i64_e32 vcc, 0, v[1:2]
	v_not_b32_e32 v2, v2
	v_ashrrev_i32_e32 v2, 31, v2
	v_and_b32_e32 v4, exec_lo, v4
	v_xor_b32_e32 v54, vcc_hi, v2
	v_xor_b32_e32 v2, vcc_lo, v2
	v_and_b32_e32 v4, v4, v2
	v_lshlrev_b32_e32 v2, 29, v3
	v_cmp_gt_i64_e32 vcc, 0, v[1:2]
	v_not_b32_e32 v2, v2
	v_ashrrev_i32_e32 v2, 31, v2
	v_and_b32_e32 v50, v50, v54
	v_xor_b32_e32 v54, vcc_hi, v2
	v_xor_b32_e32 v2, vcc_lo, v2
	v_and_b32_e32 v4, v4, v2
	v_lshlrev_b32_e32 v2, 28, v3
	v_cmp_gt_i64_e32 vcc, 0, v[1:2]
	v_not_b32_e32 v2, v2
	v_ashrrev_i32_e32 v2, 31, v2
	v_and_b32_e32 v50, v50, v54
	;; [unrolled: 8-line block ×5, first 2 shown]
	v_xor_b32_e32 v54, vcc_hi, v2
	v_xor_b32_e32 v2, vcc_lo, v2
	v_and_b32_e32 v4, v4, v2
	v_lshlrev_b32_e32 v2, 24, v3
	v_cmp_gt_i64_e32 vcc, 0, v[1:2]
	v_not_b32_e32 v2, v2
	v_ashrrev_i32_e32 v2, 31, v2
	v_xor_b32_e32 v3, vcc_hi, v2
	v_xor_b32_e32 v2, vcc_lo, v2
	; wave barrier
	ds_read_b32 v53, v23 offset:16
	v_and_b32_e32 v50, v50, v54
	v_and_b32_e32 v2, v4, v2
	;; [unrolled: 1-line block ×3, first 2 shown]
	v_mbcnt_lo_u32_b32 v4, v2, 0
	v_mbcnt_hi_u32_b32 v55, v3, v4
	v_cmp_ne_u64_e32 vcc, 0, v[2:3]
	v_cmp_eq_u32_e64 s[0:1], 0, v55
	s_and_b64 s[2:3], vcc, s[0:1]
	; wave barrier
	s_and_saveexec_b64 s[0:1], s[2:3]
	s_cbranch_execz .LBB87_175
; %bb.174:
	v_bcnt_u32_b32 v2, v2, 0
	v_bcnt_u32_b32 v2, v3, v2
	s_waitcnt lgkmcnt(0)
	v_add_u32_e32 v2, v53, v2
	ds_write_b32 v23, v2 offset:16
.LBB87_175:
	s_or_b64 exec, exec, s[0:1]
	v_xor_b32_e32 v54, 0x7fffffff, v17
	v_lshrrev_b32_e32 v2, s68, v54
	v_and_b32_e32 v3, s9, v2
	v_mul_lo_u32 v2, v3, 20
	v_and_b32_e32 v4, 1, v3
	; wave barrier
	v_lshl_add_u32 v17, v20, 2, v2
	v_add_co_u32_e32 v2, vcc, -1, v4
	v_addc_co_u32_e64 v20, s[0:1], 0, -1, vcc
	v_cmp_ne_u32_e32 vcc, 0, v4
	v_xor_b32_e32 v2, vcc_lo, v2
	v_xor_b32_e32 v4, vcc_hi, v20
	v_and_b32_e32 v20, exec_lo, v2
	v_lshlrev_b32_e32 v2, 30, v3
	v_cmp_gt_i64_e32 vcc, 0, v[1:2]
	v_not_b32_e32 v2, v2
	v_ashrrev_i32_e32 v2, 31, v2
	v_xor_b32_e32 v50, vcc_hi, v2
	v_xor_b32_e32 v2, vcc_lo, v2
	v_and_b32_e32 v20, v20, v2
	v_lshlrev_b32_e32 v2, 29, v3
	v_cmp_gt_i64_e32 vcc, 0, v[1:2]
	v_not_b32_e32 v2, v2
	v_and_b32_e32 v4, exec_hi, v4
	v_ashrrev_i32_e32 v2, 31, v2
	v_and_b32_e32 v4, v4, v50
	v_xor_b32_e32 v50, vcc_hi, v2
	v_xor_b32_e32 v2, vcc_lo, v2
	v_and_b32_e32 v20, v20, v2
	v_lshlrev_b32_e32 v2, 28, v3
	v_cmp_gt_i64_e32 vcc, 0, v[1:2]
	v_not_b32_e32 v2, v2
	v_ashrrev_i32_e32 v2, 31, v2
	v_and_b32_e32 v4, v4, v50
	v_xor_b32_e32 v50, vcc_hi, v2
	v_xor_b32_e32 v2, vcc_lo, v2
	v_and_b32_e32 v20, v20, v2
	v_lshlrev_b32_e32 v2, 27, v3
	v_cmp_gt_i64_e32 vcc, 0, v[1:2]
	v_not_b32_e32 v2, v2
	;; [unrolled: 8-line block ×5, first 2 shown]
	v_ashrrev_i32_e32 v1, 31, v1
	v_xor_b32_e32 v2, vcc_hi, v1
	v_xor_b32_e32 v1, vcc_lo, v1
	ds_read_b32 v56, v17 offset:16
	v_and_b32_e32 v4, v4, v50
	v_and_b32_e32 v1, v20, v1
	;; [unrolled: 1-line block ×3, first 2 shown]
	v_mbcnt_lo_u32_b32 v3, v1, 0
	v_mbcnt_hi_u32_b32 v57, v2, v3
	v_cmp_ne_u64_e32 vcc, 0, v[1:2]
	v_cmp_eq_u32_e64 s[0:1], 0, v57
	s_and_b64 s[2:3], vcc, s[0:1]
	; wave barrier
	s_and_saveexec_b64 s[0:1], s[2:3]
	s_cbranch_execz .LBB87_177
; %bb.176:
	v_bcnt_u32_b32 v1, v1, 0
	v_bcnt_u32_b32 v1, v2, v1
	s_waitcnt lgkmcnt(0)
	v_add_u32_e32 v1, v56, v1
	ds_write_b32 v17, v1 offset:16
.LBB87_177:
	s_or_b64 exec, exec, s[0:1]
	; wave barrier
	s_waitcnt lgkmcnt(0)
	s_barrier
	ds_read2_b32 v[3:4], v6 offset0:4 offset1:5
	ds_read2_b32 v[1:2], v6 offset0:6 offset1:7
	ds_read_b32 v20, v6 offset:32
	v_min_u32_e32 v9, 0xc0, v9
	v_or_b32_e32 v9, 63, v9
	s_waitcnt lgkmcnt(1)
	v_add3_u32 v50, v4, v3, v1
	s_waitcnt lgkmcnt(0)
	v_add3_u32 v20, v50, v2, v20
	v_and_b32_e32 v50, 15, v8
	v_cmp_ne_u32_e32 vcc, 0, v50
	v_mov_b32_dpp v58, v20 row_shr:1 row_mask:0xf bank_mask:0xf
	v_cndmask_b32_e32 v58, 0, v58, vcc
	v_add_u32_e32 v20, v58, v20
	v_cmp_lt_u32_e32 vcc, 1, v50
	s_nop 0
	v_mov_b32_dpp v58, v20 row_shr:2 row_mask:0xf bank_mask:0xf
	v_cndmask_b32_e32 v58, 0, v58, vcc
	v_add_u32_e32 v20, v20, v58
	v_cmp_lt_u32_e32 vcc, 3, v50
	s_nop 0
	;; [unrolled: 5-line block ×3, first 2 shown]
	v_mov_b32_dpp v58, v20 row_shr:8 row_mask:0xf bank_mask:0xf
	v_cndmask_b32_e32 v50, 0, v58, vcc
	v_add_u32_e32 v20, v20, v50
	v_bfe_i32 v58, v8, 4, 1
	v_cmp_lt_u32_e32 vcc, 31, v8
	v_mov_b32_dpp v50, v20 row_bcast:15 row_mask:0xf bank_mask:0xf
	v_and_b32_e32 v50, v58, v50
	v_add_u32_e32 v20, v20, v50
	v_lshrrev_b32_e32 v58, 6, v0
	s_nop 0
	v_mov_b32_dpp v50, v20 row_bcast:31 row_mask:0xf bank_mask:0xf
	v_cndmask_b32_e32 v50, 0, v50, vcc
	v_add_u32_e32 v20, v20, v50
	v_cmp_eq_u32_e32 vcc, v0, v9
	s_and_saveexec_b64 s[0:1], vcc
; %bb.178:
	v_lshlrev_b32_e32 v9, 2, v58
	ds_write_b32 v9, v20
; %bb.179:
	s_or_b64 exec, exec, s[0:1]
	v_cmp_gt_u32_e32 vcc, 4, v0
	v_lshlrev_b32_e32 v50, 2, v0
	s_waitcnt lgkmcnt(0)
	s_barrier
	s_and_saveexec_b64 s[0:1], vcc
	s_cbranch_execz .LBB87_181
; %bb.180:
	ds_read_b32 v9, v50
	v_and_b32_e32 v59, 3, v8
	v_cmp_ne_u32_e32 vcc, 0, v59
	s_waitcnt lgkmcnt(0)
	v_mov_b32_dpp v60, v9 row_shr:1 row_mask:0xf bank_mask:0xf
	v_cndmask_b32_e32 v60, 0, v60, vcc
	v_add_u32_e32 v9, v60, v9
	v_cmp_lt_u32_e32 vcc, 1, v59
	s_nop 0
	v_mov_b32_dpp v60, v9 row_shr:2 row_mask:0xf bank_mask:0xf
	v_cndmask_b32_e32 v59, 0, v60, vcc
	v_add_u32_e32 v9, v9, v59
	ds_write_b32 v50, v9
.LBB87_181:
	s_or_b64 exec, exec, s[0:1]
	v_cmp_lt_u32_e32 vcc, 63, v0
	v_mov_b32_e32 v9, 0
	s_waitcnt lgkmcnt(0)
	s_barrier
	s_and_saveexec_b64 s[0:1], vcc
; %bb.182:
	v_lshl_add_u32 v9, v58, 2, -4
	ds_read_b32 v9, v9
; %bb.183:
	s_or_b64 exec, exec, s[0:1]
	v_add_u32_e32 v58, -1, v8
	v_and_b32_e32 v59, 64, v8
	v_cmp_lt_i32_e32 vcc, v58, v59
	v_cndmask_b32_e32 v58, v58, v8, vcc
	s_waitcnt lgkmcnt(0)
	v_add_u32_e32 v20, v9, v20
	v_lshlrev_b32_e32 v58, 2, v58
	ds_bpermute_b32 v20, v58, v20
	v_cmp_eq_u32_e32 vcc, 0, v8
	s_movk_i32 s0, 0x100
	s_waitcnt lgkmcnt(0)
	v_cndmask_b32_e32 v9, v20, v9, vcc
	v_cmp_ne_u32_e32 vcc, 0, v0
	v_cndmask_b32_e32 v9, 0, v9, vcc
	v_add_u32_e32 v3, v9, v3
	v_add_u32_e32 v4, v3, v4
	;; [unrolled: 1-line block ×4, first 2 shown]
	ds_write2_b32 v6, v9, v3 offset0:4 offset1:5
	ds_write2_b32 v6, v4, v1 offset0:6 offset1:7
	ds_write_b32 v6, v2 offset:32
	s_waitcnt lgkmcnt(0)
	s_barrier
	ds_read_b32 v2, v43 offset:16
	ds_read_b32 v3, v46 offset:16
	;; [unrolled: 1-line block ×13, first 2 shown]
	v_add_u32_e32 v6, 1, v0
	v_cmp_ne_u32_e32 vcc, s0, v6
	v_mov_b32_e32 v1, 0xc00
	s_and_saveexec_b64 s[0:1], vcc
; %bb.184:
	v_mul_u32_u24_e32 v1, 20, v6
	ds_read_b32 v1, v1 offset:16
; %bb.185:
	s_or_b64 exec, exec, s[0:1]
	s_waitcnt lgkmcnt(7)
	v_add_u32_e32 v30, v10, v12
	s_waitcnt lgkmcnt(6)
	v_add3_u32 v25, v16, v13, v14
	s_waitcnt lgkmcnt(5)
	v_add3_u32 v23, v22, v18, v17
	v_add3_u32 v17, v44, v42, v2
	v_lshlrev_b32_e32 v2, 2, v30
	s_waitcnt lgkmcnt(0)
	s_barrier
	ds_write_b32 v2, v5 offset:2048
	v_lshlrev_b32_e32 v2, 2, v25
	v_add3_u32 v22, v27, v24, v19
	ds_write_b32 v2, v11 offset:2048
	v_lshlrev_b32_e32 v2, 2, v23
	v_add3_u32 v20, v32, v29, v20
	;; [unrolled: 3-line block ×4, first 2 shown]
	ds_write_b32 v2, v26 offset:2048
	v_lshlrev_b32_e32 v2, 2, v19
	ds_write_b32 v2, v31 offset:2048
	v_lshlrev_b32_e32 v2, 2, v18
	v_add3_u32 v16, v47, v45, v3
	ds_write_b32 v2, v36 offset:2048
	v_lshlrev_b32_e32 v2, 2, v17
	v_add3_u32 v14, v52, v48, v4
	;; [unrolled: 3-line block ×4, first 2 shown]
	ds_write_b32 v2, v28 offset:2048
	v_lshlrev_b32_e32 v2, 2, v13
	ds_write_b32 v2, v51 offset:2048
	v_lshlrev_b32_e32 v2, 2, v12
	ds_write_b32 v2, v54 offset:2048
	v_sub_u32_e32 v10, v1, v9
	v_lshl_or_b32 v1, s6, 8, v0
	v_mov_b32_e32 v2, 0
	v_lshlrev_b64 v[3:4], 2, v[1:2]
	v_mov_b32_e32 v11, s73
	v_add_co_u32_e32 v3, vcc, s72, v3
	v_addc_co_u32_e32 v4, vcc, v11, v4, vcc
	v_or_b32_e32 v1, 2.0, v10
	s_mov_b64 s[0:1], 0
	s_brev_b32 s10, -4
	v_mov_b32_e32 v15, 0
	s_waitcnt lgkmcnt(0)
	s_barrier
	global_store_dword v[3:4], v1, off
                                        ; implicit-def: $sgpr2_sgpr3
	s_branch .LBB87_188
.LBB87_186:                             ;   in Loop: Header=BB87_188 Depth=1
	s_or_b64 exec, exec, s[4:5]
.LBB87_187:                             ;   in Loop: Header=BB87_188 Depth=1
	s_or_b64 exec, exec, s[2:3]
	v_and_b32_e32 v5, 0x3fffffff, v1
	v_add_u32_e32 v15, v5, v15
	v_cmp_gt_i32_e64 s[2:3], -2.0, v1
	s_and_b64 s[4:5], exec, s[2:3]
	s_or_b64 s[0:1], s[4:5], s[0:1]
	s_andn2_b64 exec, exec, s[0:1]
	s_cbranch_execz .LBB87_193
.LBB87_188:                             ; =>This Loop Header: Depth=1
                                        ;     Child Loop BB87_191 Depth 2
	s_or_b64 s[2:3], s[2:3], exec
	s_cmp_eq_u32 s7, 0
	s_cbranch_scc1 .LBB87_192
; %bb.189:                              ;   in Loop: Header=BB87_188 Depth=1
	s_add_i32 s7, s7, -1
	v_lshl_or_b32 v1, s7, 8, v0
	v_lshlrev_b64 v[5:6], 2, v[1:2]
	v_add_co_u32_e32 v5, vcc, s72, v5
	v_addc_co_u32_e32 v6, vcc, v11, v6, vcc
	global_load_dword v1, v[5:6], off glc
	s_waitcnt vmcnt(0)
	v_cmp_gt_u32_e32 vcc, 2.0, v1
	s_and_saveexec_b64 s[2:3], vcc
	s_cbranch_execz .LBB87_187
; %bb.190:                              ;   in Loop: Header=BB87_188 Depth=1
	s_mov_b64 s[4:5], 0
.LBB87_191:                             ;   Parent Loop BB87_188 Depth=1
                                        ; =>  This Inner Loop Header: Depth=2
	global_load_dword v1, v[5:6], off glc
	s_waitcnt vmcnt(0)
	v_cmp_lt_u32_e32 vcc, s10, v1
	s_or_b64 s[4:5], vcc, s[4:5]
	s_andn2_b64 exec, exec, s[4:5]
	s_cbranch_execnz .LBB87_191
	s_branch .LBB87_186
.LBB87_192:                             ;   in Loop: Header=BB87_188 Depth=1
                                        ; implicit-def: $sgpr7
	s_and_b64 s[4:5], exec, s[2:3]
	s_or_b64 s[0:1], s[4:5], s[0:1]
	s_andn2_b64 exec, exec, s[0:1]
	s_cbranch_execnz .LBB87_188
.LBB87_193:
	s_or_b64 exec, exec, s[0:1]
	v_add_u32_e32 v2, v15, v10
	v_or_b32_e32 v2, 0x80000000, v2
	v_lshlrev_b32_e32 v1, 3, v0
	global_store_dword v[3:4], v2, off
	global_load_dwordx2 v[2:3], v1, s[64:65]
	v_sub_co_u32_e32 v4, vcc, v15, v9
	v_subb_co_u32_e64 v5, s[0:1], 0, 0, vcc
	v_sub_u32_e32 v24, v1, v50
	v_mov_b32_e32 v6, s59
	v_mov_b32_e32 v11, s59
	;; [unrolled: 1-line block ×4, first 2 shown]
	v_or_b32_e32 v57, 0x400, v0
	v_or_b32_e32 v66, 0x600, v0
	;; [unrolled: 1-line block ×3, first 2 shown]
	s_lshl_b64 s[0:1], s[54:55], 3
	s_add_u32 s0, s60, s0
	s_addc_u32 s1, s61, s1
	v_lshlrev_b32_e32 v7, 3, v7
	v_or_b32_e32 v68, 0x800, v0
	s_add_i32 s8, s8, -1
	s_cmp_lg_u32 s6, s8
	s_waitcnt vmcnt(0)
	v_add_co_u32_e32 v2, vcc, v4, v2
	v_addc_co_u32_e32 v3, vcc, v5, v3, vcc
	ds_write_b64 v1, v[2:3]
	s_waitcnt lgkmcnt(0)
	s_barrier
	ds_read2st64_b32 v[2:3], v24 offset0:8 offset1:12
	ds_read2st64_b32 v[4:5], v24 offset0:16 offset1:20
	;; [unrolled: 1-line block ×4, first 2 shown]
	s_waitcnt lgkmcnt(2)
	v_xor_b32_e32 v39, 0x7fffffff, v4
	v_lshrrev_b32_e32 v31, s68, v2
	v_xor_b32_e32 v37, 0x7fffffff, v2
	v_lshrrev_b32_e32 v2, s68, v3
	;; [unrolled: 2-line block ×3, first 2 shown]
	v_lshrrev_b32_e32 v4, s68, v5
	v_xor_b32_e32 v40, 0x7fffffff, v5
	s_waitcnt lgkmcnt(1)
	v_lshrrev_b32_e32 v5, s68, v26
	v_lshrrev_b32_e32 v32, s68, v27
	s_waitcnt lgkmcnt(0)
	v_lshrrev_b32_e32 v33, s68, v28
	v_lshrrev_b32_e32 v34, s68, v29
	v_and_b32_e32 v31, s9, v31
	v_and_b32_e32 v2, s9, v2
	;; [unrolled: 1-line block ×8, first 2 shown]
	v_lshlrev_b32_e32 v58, 3, v31
	v_lshlrev_b32_e32 v59, 3, v2
	;; [unrolled: 1-line block ×8, first 2 shown]
	ds_read_b64 v[2:3], v58
	ds_read_b64 v[4:5], v59
	;; [unrolled: 1-line block ×5, first 2 shown]
	s_waitcnt lgkmcnt(4)
	v_lshlrev_b64 v[2:3], 2, v[2:3]
	s_waitcnt lgkmcnt(3)
	v_lshlrev_b64 v[4:5], 2, v[4:5]
	v_add_co_u32_e32 v2, vcc, s58, v2
	v_addc_co_u32_e32 v3, vcc, v6, v3, vcc
	s_waitcnt lgkmcnt(2)
	v_lshlrev_b64 v[31:32], 2, v[31:32]
	v_add_co_u32_e32 v4, vcc, s58, v4
	v_addc_co_u32_e32 v5, vcc, v11, v5, vcc
	;; [unrolled: 4-line block ×3, first 2 shown]
	v_add_co_u32_e32 v15, vcc, s58, v33
	v_addc_co_u32_e32 v21, vcc, v21, v34, vcc
	v_add_co_u32_e32 v2, vcc, v2, v50
	v_addc_co_u32_e32 v3, vcc, 0, v3, vcc
	;; [unrolled: 2-line block ×5, first 2 shown]
	global_store_dword v[2:3], v37, off
	global_store_dword v[4:5], v38, off offset:1024
	global_store_dword v[31:32], v39, off offset:2048
	;; [unrolled: 1-line block ×3, first 2 shown]
	s_waitcnt lgkmcnt(0)
	v_lshlrev_b64 v[33:34], 2, v[35:36]
	ds_read_b64 v[2:3], v63
	ds_read_b64 v[4:5], v64
	;; [unrolled: 1-line block ×3, first 2 shown]
	v_mov_b32_e32 v6, s59
	v_add_co_u32_e32 v11, vcc, s58, v33
	v_addc_co_u32_e32 v6, vcc, v6, v34, vcc
	v_lshlrev_b32_e32 v15, 2, v57
	v_add_co_u32_e32 v33, vcc, v11, v15
	s_waitcnt lgkmcnt(2)
	v_lshlrev_b64 v[2:3], 2, v[2:3]
	v_addc_co_u32_e32 v34, vcc, 0, v6, vcc
	v_or_b32_e32 v21, 0x500, v0
	v_mov_b32_e32 v11, s59
	v_add_co_u32_e32 v2, vcc, s58, v2
	v_addc_co_u32_e32 v3, vcc, v11, v3, vcc
	v_lshlrev_b32_e32 v11, 2, v21
	v_add_co_u32_e32 v2, vcc, v2, v11
	v_xor_b32_e32 v26, 0x7fffffff, v26
	v_xor_b32_e32 v6, 0x7fffffff, v27
	v_addc_co_u32_e32 v3, vcc, 0, v3, vcc
	global_store_dword v[33:34], v26, off
	global_store_dword v[2:3], v6, off
	s_waitcnt lgkmcnt(1)
	v_lshlrev_b64 v[2:3], 2, v[4:5]
	v_mov_b32_e32 v4, s59
	v_add_co_u32_e32 v2, vcc, s58, v2
	v_addc_co_u32_e32 v3, vcc, v4, v3, vcc
	v_lshlrev_b32_e32 v4, 2, v66
	v_add_co_u32_e32 v2, vcc, v2, v4
	v_xor_b32_e32 v6, 0x7fffffff, v28
	v_addc_co_u32_e32 v3, vcc, 0, v3, vcc
	global_store_dword v[2:3], v6, off
	s_waitcnt lgkmcnt(0)
	v_lshlrev_b64 v[2:3], 2, v[31:32]
	v_mov_b32_e32 v4, s59
	v_add_co_u32_e32 v5, vcc, s58, v2
	v_addc_co_u32_e32 v11, vcc, v4, v3, vcc
	ds_read2st64_b32 v[2:3], v24 offset0:40 offset1:44
	v_lshlrev_b32_e32 v4, 2, v67
	v_add_co_u32_e32 v4, vcc, v5, v4
	v_xor_b32_e32 v6, 0x7fffffff, v29
	v_addc_co_u32_e32 v5, vcc, 0, v11, vcc
	global_store_dword v[4:5], v6, off
	s_waitcnt lgkmcnt(0)
	v_lshrrev_b32_e32 v4, s68, v2
	v_and_b32_e32 v6, s9, v4
	ds_read2st64_b32 v[4:5], v24 offset0:48 offset1:52
	v_lshlrev_b32_e32 v24, 3, v6
	v_lshrrev_b32_e32 v6, s68, v3
	v_and_b32_e32 v6, s9, v6
	v_lshlrev_b32_e32 v69, 3, v6
	s_waitcnt lgkmcnt(0)
	v_lshrrev_b32_e32 v6, s68, v4
	v_and_b32_e32 v6, s9, v6
	v_lshlrev_b32_e32 v70, 3, v6
	v_lshrrev_b32_e32 v6, s68, v5
	v_and_b32_e32 v11, s9, v6
	v_lshlrev_b32_e32 v6, 3, v8
	v_mov_b32_e32 v8, s1
	v_add_co_u32_e32 v6, vcc, s0, v6
	v_addc_co_u32_e32 v8, vcc, 0, v8, vcc
	v_add_co_u32_e32 v6, vcc, v6, v7
	v_addc_co_u32_e32 v7, vcc, 0, v8, vcc
	global_load_dwordx2 v[26:27], v[6:7], off
	s_movk_i32 s0, 0x1000
	global_load_dwordx2 v[28:29], v[6:7], off offset:512
	global_load_dwordx2 v[31:32], v[6:7], off offset:1024
	;; [unrolled: 1-line block ×7, first 2 shown]
	v_add_co_u32_e32 v6, vcc, s0, v6
	v_addc_co_u32_e32 v7, vcc, 0, v7, vcc
	global_load_dwordx2 v[43:44], v[6:7], off
	global_load_dwordx2 v[45:46], v[6:7], off offset:512
	v_lshlrev_b32_e32 v8, 3, v11
	ds_read_b64 v[47:48], v24
	ds_read_b64 v[49:50], v69
	;; [unrolled: 1-line block ×4, first 2 shown]
	global_load_dwordx2 v[55:56], v[6:7], off offset:1024
	s_waitcnt lgkmcnt(3)
	v_lshlrev_b64 v[47:48], 2, v[47:48]
	global_load_dwordx2 v[6:7], v[6:7], off offset:1536
	v_mov_b32_e32 v11, s59
	v_add_co_u32_e32 v15, vcc, s58, v47
	v_addc_co_u32_e32 v11, vcc, v11, v48, vcc
	v_lshlrev_b32_e32 v47, 2, v68
	v_add_co_u32_e32 v47, vcc, v15, v47
	v_xor_b32_e32 v2, 0x7fffffff, v2
	v_addc_co_u32_e32 v48, vcc, 0, v11, vcc
	global_store_dword v[47:48], v2, off
	v_xor_b32_e32 v11, 0x7fffffff, v3
	s_waitcnt lgkmcnt(2)
	v_lshlrev_b64 v[2:3], 2, v[49:50]
	v_or_b32_e32 v47, 0x900, v0
	v_mov_b32_e32 v15, s59
	v_add_co_u32_e32 v2, vcc, s58, v2
	v_addc_co_u32_e32 v3, vcc, v15, v3, vcc
	v_lshlrev_b32_e32 v15, 2, v47
	v_add_co_u32_e32 v2, vcc, v2, v15
	v_addc_co_u32_e32 v3, vcc, 0, v3, vcc
	global_store_dword v[2:3], v11, off
	s_waitcnt lgkmcnt(1)
	v_lshlrev_b64 v[2:3], 2, v[51:52]
	v_or_b32_e32 v48, 0xa00, v0
	v_mov_b32_e32 v11, s59
	v_add_co_u32_e32 v2, vcc, s58, v2
	v_addc_co_u32_e32 v3, vcc, v11, v3, vcc
	v_lshlrev_b32_e32 v11, 2, v48
	v_add_co_u32_e32 v2, vcc, v2, v11
	v_xor_b32_e32 v4, 0x7fffffff, v4
	v_addc_co_u32_e32 v3, vcc, 0, v3, vcc
	global_store_dword v[2:3], v4, off
	s_waitcnt lgkmcnt(0)
	v_lshlrev_b64 v[2:3], 2, v[53:54]
	v_or_b32_e32 v0, 0xb00, v0
	v_xor_b32_e32 v4, 0x7fffffff, v5
	v_mov_b32_e32 v5, s59
	v_add_co_u32_e32 v2, vcc, s58, v2
	v_addc_co_u32_e32 v3, vcc, v5, v3, vcc
	v_lshlrev_b32_e32 v5, 2, v0
	v_add_co_u32_e32 v2, vcc, v2, v5
	v_addc_co_u32_e32 v3, vcc, 0, v3, vcc
	global_store_dword v[2:3], v4, off
	v_lshlrev_b32_e32 v2, 3, v30
	s_waitcnt vmcnt(0)
	s_barrier
	v_lshlrev_b32_e32 v0, 3, v0
	ds_write_b64 v2, v[26:27] offset:2048
	v_lshlrev_b32_e32 v2, 3, v25
	ds_write_b64 v2, v[28:29] offset:2048
	;; [unrolled: 2-line block ×12, first 2 shown]
	s_waitcnt lgkmcnt(0)
	s_barrier
	ds_read_b64 v[6:7], v58
	ds_read2st64_b64 v[2:5], v1 offset0:4 offset1:8
	ds_read_b64 v[11:12], v59
	ds_read_b64 v[13:14], v60
	;; [unrolled: 1-line block ×3, first 2 shown]
	s_waitcnt lgkmcnt(4)
	v_lshlrev_b64 v[6:7], 3, v[6:7]
	v_mov_b32_e32 v17, s63
	v_add_co_u32_e32 v6, vcc, s62, v6
	v_addc_co_u32_e32 v7, vcc, v17, v7, vcc
	v_add_co_u32_e32 v6, vcc, v6, v1
	v_addc_co_u32_e32 v7, vcc, 0, v7, vcc
	s_waitcnt lgkmcnt(3)
	global_store_dwordx2 v[6:7], v[2:3], off
	s_waitcnt lgkmcnt(2)
	v_lshlrev_b64 v[2:3], 3, v[11:12]
	v_mov_b32_e32 v6, s63
	v_add_co_u32_e32 v2, vcc, s62, v2
	v_addc_co_u32_e32 v3, vcc, v6, v3, vcc
	v_add_co_u32_e32 v2, vcc, v2, v1
	v_addc_co_u32_e32 v3, vcc, 0, v3, vcc
	s_waitcnt lgkmcnt(1)
	v_lshlrev_b64 v[6:7], 3, v[13:14]
	global_store_dwordx2 v[2:3], v[4:5], off offset:2048
	ds_read2st64_b64 v[2:5], v1 offset0:12 offset1:16
	v_mov_b32_e32 v11, s63
	v_add_co_u32_e32 v6, vcc, s62, v6
	v_addc_co_u32_e32 v7, vcc, v11, v7, vcc
	v_or_b32_e32 v11, 0x1000, v1
	v_add_co_u32_e32 v6, vcc, v6, v11
	v_addc_co_u32_e32 v7, vcc, 0, v7, vcc
	s_waitcnt lgkmcnt(0)
	global_store_dwordx2 v[6:7], v[2:3], off
	v_lshlrev_b64 v[2:3], 3, v[15:16]
	v_mov_b32_e32 v6, s63
	v_add_co_u32_e32 v2, vcc, s62, v2
	v_addc_co_u32_e32 v3, vcc, v6, v3, vcc
	v_or_b32_e32 v6, 0x1800, v1
	v_add_co_u32_e32 v2, vcc, v2, v6
	v_addc_co_u32_e32 v3, vcc, 0, v3, vcc
	global_store_dwordx2 v[2:3], v[4:5], off
	ds_read_b64 v[6:7], v62
	ds_read2st64_b64 v[2:5], v1 offset0:20 offset1:24
	ds_read_b64 v[11:12], v63
	ds_read_b64 v[13:14], v64
	;; [unrolled: 1-line block ×3, first 2 shown]
	s_waitcnt lgkmcnt(4)
	v_lshlrev_b64 v[6:7], 3, v[6:7]
	v_add_co_u32_e32 v6, vcc, s62, v6
	v_addc_co_u32_e32 v7, vcc, v17, v7, vcc
	v_lshlrev_b32_e32 v17, 3, v57
	v_add_co_u32_e32 v6, vcc, v6, v17
	v_addc_co_u32_e32 v7, vcc, 0, v7, vcc
	s_waitcnt lgkmcnt(3)
	global_store_dwordx2 v[6:7], v[2:3], off
	s_waitcnt lgkmcnt(2)
	v_lshlrev_b64 v[2:3], 3, v[11:12]
	v_mov_b32_e32 v6, s63
	v_add_co_u32_e32 v2, vcc, s62, v2
	v_addc_co_u32_e32 v3, vcc, v6, v3, vcc
	v_lshlrev_b32_e32 v6, 3, v21
	v_add_co_u32_e32 v2, vcc, v2, v6
	v_addc_co_u32_e32 v3, vcc, 0, v3, vcc
	s_waitcnt lgkmcnt(1)
	v_lshlrev_b64 v[6:7], 3, v[13:14]
	global_store_dwordx2 v[2:3], v[4:5], off
	ds_read2st64_b64 v[2:5], v1 offset0:28 offset1:32
	v_mov_b32_e32 v11, s63
	v_add_co_u32_e32 v6, vcc, s62, v6
	v_addc_co_u32_e32 v7, vcc, v11, v7, vcc
	v_lshlrev_b32_e32 v11, 3, v66
	v_add_co_u32_e32 v6, vcc, v6, v11
	v_addc_co_u32_e32 v7, vcc, 0, v7, vcc
	s_waitcnt lgkmcnt(0)
	global_store_dwordx2 v[6:7], v[2:3], off
	v_lshlrev_b64 v[2:3], 3, v[15:16]
	v_mov_b32_e32 v6, s63
	v_add_co_u32_e32 v2, vcc, s62, v2
	v_addc_co_u32_e32 v3, vcc, v6, v3, vcc
	v_lshlrev_b32_e32 v6, 3, v67
	v_add_co_u32_e32 v2, vcc, v2, v6
	v_addc_co_u32_e32 v3, vcc, 0, v3, vcc
	global_store_dwordx2 v[2:3], v[4:5], off
	ds_read_b64 v[6:7], v24
	ds_read2st64_b64 v[2:5], v1 offset0:36 offset1:40
	ds_read_b64 v[11:12], v69
	ds_read_b64 v[13:14], v70
	;; [unrolled: 1-line block ×3, first 2 shown]
	s_waitcnt lgkmcnt(4)
	v_lshlrev_b64 v[6:7], 3, v[6:7]
	v_mov_b32_e32 v8, s63
	v_add_co_u32_e32 v6, vcc, s62, v6
	v_addc_co_u32_e32 v7, vcc, v8, v7, vcc
	v_lshlrev_b32_e32 v8, 3, v68
	v_add_co_u32_e32 v6, vcc, v6, v8
	v_addc_co_u32_e32 v7, vcc, 0, v7, vcc
	s_waitcnt lgkmcnt(3)
	global_store_dwordx2 v[6:7], v[2:3], off
	s_waitcnt lgkmcnt(2)
	v_lshlrev_b64 v[2:3], 3, v[11:12]
	v_mov_b32_e32 v6, s63
	v_add_co_u32_e32 v2, vcc, s62, v2
	v_addc_co_u32_e32 v3, vcc, v6, v3, vcc
	v_lshlrev_b32_e32 v6, 3, v47
	v_add_co_u32_e32 v2, vcc, v2, v6
	v_addc_co_u32_e32 v3, vcc, 0, v3, vcc
	s_waitcnt lgkmcnt(1)
	v_lshlrev_b64 v[6:7], 3, v[13:14]
	global_store_dwordx2 v[2:3], v[4:5], off
	ds_read2st64_b64 v[2:5], v1 offset0:44 offset1:48
	v_mov_b32_e32 v8, s63
	v_add_co_u32_e32 v6, vcc, s62, v6
	v_addc_co_u32_e32 v7, vcc, v8, v7, vcc
	v_lshlrev_b32_e32 v8, 3, v48
	v_add_co_u32_e32 v6, vcc, v6, v8
	v_addc_co_u32_e32 v7, vcc, 0, v7, vcc
	s_waitcnt lgkmcnt(0)
	global_store_dwordx2 v[6:7], v[2:3], off
	v_lshlrev_b64 v[2:3], 3, v[15:16]
	v_mov_b32_e32 v6, s63
	v_add_co_u32_e32 v2, vcc, s62, v2
	v_addc_co_u32_e32 v3, vcc, v6, v3, vcc
	v_add_co_u32_e32 v2, vcc, v2, v0
	v_addc_co_u32_e32 v3, vcc, 0, v3, vcc
	global_store_dwordx2 v[2:3], v[4:5], off
	s_cbranch_scc1 .LBB87_195
; %bb.194:
	ds_read_b64 v[2:3], v1
	v_add_co_u32_e32 v0, vcc, v10, v9
	v_addc_co_u32_e64 v4, s[0:1], 0, 0, vcc
	s_waitcnt lgkmcnt(0)
	v_add_co_u32_e32 v2, vcc, v0, v2
	v_addc_co_u32_e32 v3, vcc, v4, v3, vcc
	global_store_dwordx2 v1, v[2:3], s[66:67]
.LBB87_195:
	s_endpgm
.LBB87_196:
	s_or_b64 exec, exec, s[0:1]
	s_and_saveexec_b64 s[0:1], s[26:27]
	s_cbranch_execz .LBB87_139
.LBB87_197:
	v_lshlrev_b32_e32 v3, 3, v62
	ds_read_b64 v[3:4], v3
	ds_read_b64 v[5:6], v32 offset:4096
	v_mov_b32_e32 v7, s63
	s_waitcnt lgkmcnt(1)
	v_lshlrev_b64 v[3:4], 3, v[3:4]
	v_add_co_u32_e32 v3, vcc, s62, v3
	v_addc_co_u32_e32 v4, vcc, v7, v4, vcc
	v_add_co_u32_e32 v3, vcc, v3, v32
	v_addc_co_u32_e32 v4, vcc, 0, v4, vcc
	s_waitcnt lgkmcnt(0)
	global_store_dwordx2 v[3:4], v[5:6], off offset:2048
	s_or_b64 exec, exec, s[0:1]
	s_and_saveexec_b64 s[0:1], s[28:29]
	s_cbranch_execnz .LBB87_140
.LBB87_198:
	s_or_b64 exec, exec, s[0:1]
	s_and_saveexec_b64 s[0:1], s[30:31]
	s_cbranch_execz .LBB87_141
.LBB87_199:
	v_lshlrev_b32_e32 v3, 3, v60
	ds_read_b64 v[3:4], v3
	ds_read_b64 v[5:6], v32 offset:8192
	v_mov_b32_e32 v7, s63
	s_waitcnt lgkmcnt(1)
	v_lshlrev_b64 v[3:4], 3, v[3:4]
	v_add_co_u32_e32 v3, vcc, s62, v3
	v_addc_co_u32_e32 v4, vcc, v7, v4, vcc
	v_lshlrev_b32_e32 v7, 3, v46
	v_add_co_u32_e32 v3, vcc, v3, v7
	v_addc_co_u32_e32 v4, vcc, 0, v4, vcc
	s_waitcnt lgkmcnt(0)
	global_store_dwordx2 v[3:4], v[5:6], off
	s_or_b64 exec, exec, s[0:1]
	s_and_saveexec_b64 s[0:1], s[34:35]
	s_cbranch_execnz .LBB87_142
.LBB87_200:
	s_or_b64 exec, exec, s[0:1]
	s_and_saveexec_b64 s[0:1], s[36:37]
	s_cbranch_execz .LBB87_143
.LBB87_201:
	v_lshlrev_b32_e32 v3, 3, v58
	ds_read_b64 v[3:4], v3
	ds_read_b64 v[5:6], v32 offset:12288
	v_mov_b32_e32 v7, s63
	s_waitcnt lgkmcnt(1)
	v_lshlrev_b64 v[3:4], 3, v[3:4]
	v_add_co_u32_e32 v3, vcc, s62, v3
	v_addc_co_u32_e32 v4, vcc, v7, v4, vcc
	v_lshlrev_b32_e32 v7, 3, v48
	v_add_co_u32_e32 v3, vcc, v3, v7
	v_addc_co_u32_e32 v4, vcc, 0, v4, vcc
	s_waitcnt lgkmcnt(0)
	global_store_dwordx2 v[3:4], v[5:6], off
	s_or_b64 exec, exec, s[0:1]
	s_and_saveexec_b64 s[0:1], s[38:39]
	s_cbranch_execnz .LBB87_144
.LBB87_202:
	s_or_b64 exec, exec, s[0:1]
	s_and_saveexec_b64 s[0:1], s[40:41]
	s_cbranch_execz .LBB87_145
.LBB87_203:
	v_lshlrev_b32_e32 v3, 3, v56
	ds_read_b64 v[3:4], v3
	ds_read_b64 v[5:6], v32 offset:16384
	v_mov_b32_e32 v7, s63
	s_waitcnt lgkmcnt(1)
	v_lshlrev_b64 v[3:4], 3, v[3:4]
	v_add_co_u32_e32 v3, vcc, s62, v3
	v_addc_co_u32_e32 v4, vcc, v7, v4, vcc
	v_lshlrev_b32_e32 v7, 3, v50
	v_add_co_u32_e32 v3, vcc, v3, v7
	v_addc_co_u32_e32 v4, vcc, 0, v4, vcc
	s_waitcnt lgkmcnt(0)
	global_store_dwordx2 v[3:4], v[5:6], off
	s_or_b64 exec, exec, s[0:1]
	s_and_saveexec_b64 s[0:1], s[42:43]
	s_cbranch_execnz .LBB87_146
.LBB87_204:
	s_or_b64 exec, exec, s[0:1]
	s_and_saveexec_b64 s[0:1], s[44:45]
	s_cbranch_execz .LBB87_147
.LBB87_205:
	v_lshlrev_b32_e32 v3, 3, v28
	ds_read_b64 v[3:4], v3
	ds_read_b64 v[5:6], v32 offset:20480
	v_mov_b32_e32 v7, s63
	s_waitcnt lgkmcnt(1)
	v_lshlrev_b64 v[3:4], 3, v[3:4]
	v_add_co_u32_e32 v3, vcc, s62, v3
	v_addc_co_u32_e32 v4, vcc, v7, v4, vcc
	v_lshlrev_b32_e32 v7, 3, v52
	v_add_co_u32_e32 v3, vcc, v3, v7
	v_addc_co_u32_e32 v4, vcc, 0, v4, vcc
	s_waitcnt lgkmcnt(0)
	global_store_dwordx2 v[3:4], v[5:6], off
	s_or_b64 exec, exec, s[0:1]
	s_and_saveexec_b64 s[0:1], s[46:47]
	s_cbranch_execnz .LBB87_148
.LBB87_206:
	s_or_b64 exec, exec, s[0:1]
	s_and_saveexec_b64 s[0:1], s[48:49]
	s_cbranch_execz .LBB87_149
.LBB87_207:
	v_lshlrev_b32_e32 v3, 3, v27
	ds_read_b64 v[3:4], v3
	ds_read_b64 v[5:6], v32 offset:24576
	v_mov_b32_e32 v7, s63
	s_waitcnt lgkmcnt(1)
	v_lshlrev_b64 v[3:4], 3, v[3:4]
	v_add_co_u32_e32 v3, vcc, s62, v3
	v_addc_co_u32_e32 v4, vcc, v7, v4, vcc
	v_lshlrev_b32_e32 v7, 3, v54
	v_add_co_u32_e32 v3, vcc, v3, v7
	v_addc_co_u32_e32 v4, vcc, 0, v4, vcc
	s_waitcnt lgkmcnt(0)
	global_store_dwordx2 v[3:4], v[5:6], off
	s_or_b64 exec, exec, s[0:1]
	s_add_i32 s33, s33, -1
	s_cmp_eq_u32 s6, s33
	s_cbranch_scc1 .LBB87_150
	s_branch .LBB87_151
	.section	.rodata,"a",@progbits
	.p2align	6, 0x0
	.amdhsa_kernel _ZN7rocprim17ROCPRIM_304000_NS6detail25onesweep_iteration_kernelINS1_34wrapped_radix_sort_onesweep_configINS0_14default_configEiN2at4cuda3cub6detail10OpaqueTypeILi8EEEEELb1EPiSC_PSA_SD_mNS0_19identity_decomposerEEEvT1_T2_T3_T4_jPT5_SK_PNS1_23onesweep_lookback_stateET6_jjj
		.amdhsa_group_segment_fixed_size 26624
		.amdhsa_private_segment_fixed_size 0
		.amdhsa_kernarg_size 336
		.amdhsa_user_sgpr_count 6
		.amdhsa_user_sgpr_private_segment_buffer 1
		.amdhsa_user_sgpr_dispatch_ptr 0
		.amdhsa_user_sgpr_queue_ptr 0
		.amdhsa_user_sgpr_kernarg_segment_ptr 1
		.amdhsa_user_sgpr_dispatch_id 0
		.amdhsa_user_sgpr_flat_scratch_init 0
		.amdhsa_user_sgpr_private_segment_size 0
		.amdhsa_uses_dynamic_stack 0
		.amdhsa_system_sgpr_private_segment_wavefront_offset 0
		.amdhsa_system_sgpr_workgroup_id_x 1
		.amdhsa_system_sgpr_workgroup_id_y 0
		.amdhsa_system_sgpr_workgroup_id_z 0
		.amdhsa_system_sgpr_workgroup_info 0
		.amdhsa_system_vgpr_workitem_id 2
		.amdhsa_next_free_vgpr 85
		.amdhsa_next_free_sgpr 98
		.amdhsa_reserve_vcc 1
		.amdhsa_reserve_flat_scratch 0
		.amdhsa_float_round_mode_32 0
		.amdhsa_float_round_mode_16_64 0
		.amdhsa_float_denorm_mode_32 3
		.amdhsa_float_denorm_mode_16_64 3
		.amdhsa_dx10_clamp 1
		.amdhsa_ieee_mode 1
		.amdhsa_fp16_overflow 0
		.amdhsa_exception_fp_ieee_invalid_op 0
		.amdhsa_exception_fp_denorm_src 0
		.amdhsa_exception_fp_ieee_div_zero 0
		.amdhsa_exception_fp_ieee_overflow 0
		.amdhsa_exception_fp_ieee_underflow 0
		.amdhsa_exception_fp_ieee_inexact 0
		.amdhsa_exception_int_div_zero 0
	.end_amdhsa_kernel
	.section	.text._ZN7rocprim17ROCPRIM_304000_NS6detail25onesweep_iteration_kernelINS1_34wrapped_radix_sort_onesweep_configINS0_14default_configEiN2at4cuda3cub6detail10OpaqueTypeILi8EEEEELb1EPiSC_PSA_SD_mNS0_19identity_decomposerEEEvT1_T2_T3_T4_jPT5_SK_PNS1_23onesweep_lookback_stateET6_jjj,"axG",@progbits,_ZN7rocprim17ROCPRIM_304000_NS6detail25onesweep_iteration_kernelINS1_34wrapped_radix_sort_onesweep_configINS0_14default_configEiN2at4cuda3cub6detail10OpaqueTypeILi8EEEEELb1EPiSC_PSA_SD_mNS0_19identity_decomposerEEEvT1_T2_T3_T4_jPT5_SK_PNS1_23onesweep_lookback_stateET6_jjj,comdat
.Lfunc_end87:
	.size	_ZN7rocprim17ROCPRIM_304000_NS6detail25onesweep_iteration_kernelINS1_34wrapped_radix_sort_onesweep_configINS0_14default_configEiN2at4cuda3cub6detail10OpaqueTypeILi8EEEEELb1EPiSC_PSA_SD_mNS0_19identity_decomposerEEEvT1_T2_T3_T4_jPT5_SK_PNS1_23onesweep_lookback_stateET6_jjj, .Lfunc_end87-_ZN7rocprim17ROCPRIM_304000_NS6detail25onesweep_iteration_kernelINS1_34wrapped_radix_sort_onesweep_configINS0_14default_configEiN2at4cuda3cub6detail10OpaqueTypeILi8EEEEELb1EPiSC_PSA_SD_mNS0_19identity_decomposerEEEvT1_T2_T3_T4_jPT5_SK_PNS1_23onesweep_lookback_stateET6_jjj
                                        ; -- End function
	.set _ZN7rocprim17ROCPRIM_304000_NS6detail25onesweep_iteration_kernelINS1_34wrapped_radix_sort_onesweep_configINS0_14default_configEiN2at4cuda3cub6detail10OpaqueTypeILi8EEEEELb1EPiSC_PSA_SD_mNS0_19identity_decomposerEEEvT1_T2_T3_T4_jPT5_SK_PNS1_23onesweep_lookback_stateET6_jjj.num_vgpr, 71
	.set _ZN7rocprim17ROCPRIM_304000_NS6detail25onesweep_iteration_kernelINS1_34wrapped_radix_sort_onesweep_configINS0_14default_configEiN2at4cuda3cub6detail10OpaqueTypeILi8EEEEELb1EPiSC_PSA_SD_mNS0_19identity_decomposerEEEvT1_T2_T3_T4_jPT5_SK_PNS1_23onesweep_lookback_stateET6_jjj.num_agpr, 0
	.set _ZN7rocprim17ROCPRIM_304000_NS6detail25onesweep_iteration_kernelINS1_34wrapped_radix_sort_onesweep_configINS0_14default_configEiN2at4cuda3cub6detail10OpaqueTypeILi8EEEEELb1EPiSC_PSA_SD_mNS0_19identity_decomposerEEEvT1_T2_T3_T4_jPT5_SK_PNS1_23onesweep_lookback_stateET6_jjj.numbered_sgpr, 75
	.set _ZN7rocprim17ROCPRIM_304000_NS6detail25onesweep_iteration_kernelINS1_34wrapped_radix_sort_onesweep_configINS0_14default_configEiN2at4cuda3cub6detail10OpaqueTypeILi8EEEEELb1EPiSC_PSA_SD_mNS0_19identity_decomposerEEEvT1_T2_T3_T4_jPT5_SK_PNS1_23onesweep_lookback_stateET6_jjj.num_named_barrier, 0
	.set _ZN7rocprim17ROCPRIM_304000_NS6detail25onesweep_iteration_kernelINS1_34wrapped_radix_sort_onesweep_configINS0_14default_configEiN2at4cuda3cub6detail10OpaqueTypeILi8EEEEELb1EPiSC_PSA_SD_mNS0_19identity_decomposerEEEvT1_T2_T3_T4_jPT5_SK_PNS1_23onesweep_lookback_stateET6_jjj.private_seg_size, 0
	.set _ZN7rocprim17ROCPRIM_304000_NS6detail25onesweep_iteration_kernelINS1_34wrapped_radix_sort_onesweep_configINS0_14default_configEiN2at4cuda3cub6detail10OpaqueTypeILi8EEEEELb1EPiSC_PSA_SD_mNS0_19identity_decomposerEEEvT1_T2_T3_T4_jPT5_SK_PNS1_23onesweep_lookback_stateET6_jjj.uses_vcc, 1
	.set _ZN7rocprim17ROCPRIM_304000_NS6detail25onesweep_iteration_kernelINS1_34wrapped_radix_sort_onesweep_configINS0_14default_configEiN2at4cuda3cub6detail10OpaqueTypeILi8EEEEELb1EPiSC_PSA_SD_mNS0_19identity_decomposerEEEvT1_T2_T3_T4_jPT5_SK_PNS1_23onesweep_lookback_stateET6_jjj.uses_flat_scratch, 0
	.set _ZN7rocprim17ROCPRIM_304000_NS6detail25onesweep_iteration_kernelINS1_34wrapped_radix_sort_onesweep_configINS0_14default_configEiN2at4cuda3cub6detail10OpaqueTypeILi8EEEEELb1EPiSC_PSA_SD_mNS0_19identity_decomposerEEEvT1_T2_T3_T4_jPT5_SK_PNS1_23onesweep_lookback_stateET6_jjj.has_dyn_sized_stack, 0
	.set _ZN7rocprim17ROCPRIM_304000_NS6detail25onesweep_iteration_kernelINS1_34wrapped_radix_sort_onesweep_configINS0_14default_configEiN2at4cuda3cub6detail10OpaqueTypeILi8EEEEELb1EPiSC_PSA_SD_mNS0_19identity_decomposerEEEvT1_T2_T3_T4_jPT5_SK_PNS1_23onesweep_lookback_stateET6_jjj.has_recursion, 0
	.set _ZN7rocprim17ROCPRIM_304000_NS6detail25onesweep_iteration_kernelINS1_34wrapped_radix_sort_onesweep_configINS0_14default_configEiN2at4cuda3cub6detail10OpaqueTypeILi8EEEEELb1EPiSC_PSA_SD_mNS0_19identity_decomposerEEEvT1_T2_T3_T4_jPT5_SK_PNS1_23onesweep_lookback_stateET6_jjj.has_indirect_call, 0
	.section	.AMDGPU.csdata,"",@progbits
; Kernel info:
; codeLenInByte = 19016
; TotalNumSgprs: 79
; NumVgprs: 71
; ScratchSize: 0
; MemoryBound: 0
; FloatMode: 240
; IeeeMode: 1
; LDSByteSize: 26624 bytes/workgroup (compile time only)
; SGPRBlocks: 12
; VGPRBlocks: 21
; NumSGPRsForWavesPerEU: 102
; NumVGPRsForWavesPerEU: 85
; Occupancy: 2
; WaveLimiterHint : 1
; COMPUTE_PGM_RSRC2:SCRATCH_EN: 0
; COMPUTE_PGM_RSRC2:USER_SGPR: 6
; COMPUTE_PGM_RSRC2:TRAP_HANDLER: 0
; COMPUTE_PGM_RSRC2:TGID_X_EN: 1
; COMPUTE_PGM_RSRC2:TGID_Y_EN: 0
; COMPUTE_PGM_RSRC2:TGID_Z_EN: 0
; COMPUTE_PGM_RSRC2:TIDIG_COMP_CNT: 2
	.section	.text._ZN7rocprim17ROCPRIM_304000_NS6detail28radix_sort_block_sort_kernelINS1_36wrapped_radix_sort_block_sort_configINS0_13kernel_configILj256ELj4ELj4294967295EEEiN2at4cuda3cub6detail10OpaqueTypeILi8EEEEELb0EPKiPiPKSB_PSB_NS0_19identity_decomposerEEEvT1_T2_T3_T4_jT5_jj,"axG",@progbits,_ZN7rocprim17ROCPRIM_304000_NS6detail28radix_sort_block_sort_kernelINS1_36wrapped_radix_sort_block_sort_configINS0_13kernel_configILj256ELj4ELj4294967295EEEiN2at4cuda3cub6detail10OpaqueTypeILi8EEEEELb0EPKiPiPKSB_PSB_NS0_19identity_decomposerEEEvT1_T2_T3_T4_jT5_jj,comdat
	.protected	_ZN7rocprim17ROCPRIM_304000_NS6detail28radix_sort_block_sort_kernelINS1_36wrapped_radix_sort_block_sort_configINS0_13kernel_configILj256ELj4ELj4294967295EEEiN2at4cuda3cub6detail10OpaqueTypeILi8EEEEELb0EPKiPiPKSB_PSB_NS0_19identity_decomposerEEEvT1_T2_T3_T4_jT5_jj ; -- Begin function _ZN7rocprim17ROCPRIM_304000_NS6detail28radix_sort_block_sort_kernelINS1_36wrapped_radix_sort_block_sort_configINS0_13kernel_configILj256ELj4ELj4294967295EEEiN2at4cuda3cub6detail10OpaqueTypeILi8EEEEELb0EPKiPiPKSB_PSB_NS0_19identity_decomposerEEEvT1_T2_T3_T4_jT5_jj
	.globl	_ZN7rocprim17ROCPRIM_304000_NS6detail28radix_sort_block_sort_kernelINS1_36wrapped_radix_sort_block_sort_configINS0_13kernel_configILj256ELj4ELj4294967295EEEiN2at4cuda3cub6detail10OpaqueTypeILi8EEEEELb0EPKiPiPKSB_PSB_NS0_19identity_decomposerEEEvT1_T2_T3_T4_jT5_jj
	.p2align	8
	.type	_ZN7rocprim17ROCPRIM_304000_NS6detail28radix_sort_block_sort_kernelINS1_36wrapped_radix_sort_block_sort_configINS0_13kernel_configILj256ELj4ELj4294967295EEEiN2at4cuda3cub6detail10OpaqueTypeILi8EEEEELb0EPKiPiPKSB_PSB_NS0_19identity_decomposerEEEvT1_T2_T3_T4_jT5_jj,@function
_ZN7rocprim17ROCPRIM_304000_NS6detail28radix_sort_block_sort_kernelINS1_36wrapped_radix_sort_block_sort_configINS0_13kernel_configILj256ELj4ELj4294967295EEEiN2at4cuda3cub6detail10OpaqueTypeILi8EEEEELb0EPKiPiPKSB_PSB_NS0_19identity_decomposerEEEvT1_T2_T3_T4_jT5_jj: ; @_ZN7rocprim17ROCPRIM_304000_NS6detail28radix_sort_block_sort_kernelINS1_36wrapped_radix_sort_block_sort_configINS0_13kernel_configILj256ELj4ELj4294967295EEEiN2at4cuda3cub6detail10OpaqueTypeILi8EEEEELb0EPKiPiPKSB_PSB_NS0_19identity_decomposerEEEvT1_T2_T3_T4_jT5_jj
; %bb.0:
	s_load_dword s2, s[4:5], 0x20
	s_load_dwordx8 s[36:43], s[4:5], 0x0
	s_lshl_b32 s28, s6, 10
	s_mov_b32 s29, 0
	v_mbcnt_lo_u32_b32 v3, -1, 0
	s_waitcnt lgkmcnt(0)
	s_lshr_b32 s0, s2, 10
	s_cmp_lg_u32 s6, s0
	s_cselect_b64 s[30:31], -1, 0
	s_lshl_b64 s[34:35], s[28:29], 2
	s_add_u32 s1, s36, s34
	v_mbcnt_hi_u32_b32 v9, -1, v3
	s_addc_u32 s3, s37, s35
	v_lshlrev_b32_e32 v27, 2, v0
	v_lshlrev_b32_e32 v3, 2, v9
	v_and_b32_e32 v10, 0x300, v27
	v_mov_b32_e32 v4, s3
	v_add_co_u32_e32 v3, vcc, s1, v3
	v_addc_co_u32_e32 v4, vcc, 0, v4, vcc
	v_lshlrev_b32_e32 v5, 2, v10
	v_add_co_u32_e32 v7, vcc, v3, v5
	s_cmp_eq_u32 s6, s0
	v_addc_co_u32_e32 v8, vcc, 0, v4, vcc
	v_lshlrev_b32_e32 v15, 3, v9
	v_lshlrev_b32_e32 v14, 3, v10
	v_add_u32_e32 v11, v9, v10
	s_cbranch_scc1 .LBB88_2
; %bb.1:
	s_lshl_b64 s[0:1], s[28:29], 3
	s_add_u32 s0, s40, s0
	s_addc_u32 s1, s41, s1
	v_mov_b32_e32 v12, s1
	v_add_co_u32_e32 v13, vcc, s0, v15
	v_addc_co_u32_e32 v16, vcc, 0, v12, vcc
	v_add_co_u32_e32 v12, vcc, v13, v14
	v_addc_co_u32_e32 v13, vcc, 0, v16, vcc
	global_load_dword v3, v[7:8], off
	global_load_dword v4, v[7:8], off offset:256
	global_load_dword v5, v[7:8], off offset:512
	;; [unrolled: 1-line block ×3, first 2 shown]
	global_load_dwordx2 v[19:20], v[12:13], off
	global_load_dwordx2 v[21:22], v[12:13], off offset:512
	global_load_dwordx2 v[23:24], v[12:13], off offset:1024
	;; [unrolled: 1-line block ×3, first 2 shown]
	v_add_u32_e32 v16, v9, v10
	v_add_u32_e32 v10, 64, v16
	;; [unrolled: 1-line block ×4, first 2 shown]
	s_sub_i32 s33, s2, s28
	s_cbranch_execz .LBB88_3
	s_branch .LBB88_17
.LBB88_2:
                                        ; implicit-def: $vgpr3_vgpr4_vgpr5_vgpr6
                                        ; implicit-def: $vgpr19_vgpr20
                                        ; implicit-def: $vgpr21_vgpr22
                                        ; implicit-def: $vgpr23_vgpr24
                                        ; implicit-def: $vgpr25_vgpr26
                                        ; implicit-def: $vgpr16
                                        ; implicit-def: $vgpr10
                                        ; implicit-def: $vgpr12
                                        ; implicit-def: $vgpr13
	s_sub_i32 s33, s2, s28
.LBB88_3:
	s_waitcnt vmcnt(7)
	v_bfrev_b32_e32 v3, -2
	v_cmp_gt_u32_e32 vcc, s33, v11
	s_waitcnt vmcnt(6)
	v_mov_b32_e32 v4, v3
	s_waitcnt vmcnt(5)
	v_mov_b32_e32 v5, v3
	;; [unrolled: 2-line block ×3, first 2 shown]
	s_and_saveexec_b64 s[0:1], vcc
	s_cbranch_execz .LBB88_5
; %bb.4:
	global_load_dword v16, v[7:8], off
	v_mov_b32_e32 v17, v3
	v_mov_b32_e32 v18, v3
	s_waitcnt vmcnt(4)
	v_mov_b32_e32 v19, v3
	s_waitcnt vmcnt(0)
	v_mov_b32_e32 v3, v16
	v_mov_b32_e32 v4, v17
	;; [unrolled: 1-line block ×4, first 2 shown]
.LBB88_5:
	s_or_b64 exec, exec, s[0:1]
	v_add_u32_e32 v10, 64, v11
	v_cmp_gt_u32_e64 s[0:1], s33, v10
	s_and_saveexec_b64 s[2:3], s[0:1]
	s_cbranch_execz .LBB88_7
; %bb.6:
	global_load_dword v4, v[7:8], off offset:256
.LBB88_7:
	s_or_b64 exec, exec, s[2:3]
	v_add_u32_e32 v12, 0x80, v11
	v_cmp_gt_u32_e64 s[2:3], s33, v12
	s_and_saveexec_b64 s[6:7], s[2:3]
	s_cbranch_execz .LBB88_9
; %bb.8:
	global_load_dword v5, v[7:8], off offset:512
.LBB88_9:
	;; [unrolled: 8-line block ×3, first 2 shown]
	s_or_b64 exec, exec, s[8:9]
	s_lshl_b64 s[8:9], s[28:29], 3
	s_add_u32 s8, s40, s8
	s_addc_u32 s9, s41, s9
	v_mov_b32_e32 v7, s9
	v_add_co_u32_e64 v8, s[8:9], s8, v15
	v_addc_co_u32_e64 v15, s[8:9], 0, v7, s[8:9]
	v_add_co_u32_e64 v7, s[8:9], v8, v14
	v_addc_co_u32_e64 v8, s[8:9], 0, v15, s[8:9]
                                        ; implicit-def: $vgpr19_vgpr20
	s_and_saveexec_b64 s[8:9], vcc
	s_cbranch_execnz .LBB88_54
; %bb.12:
	s_or_b64 exec, exec, s[8:9]
                                        ; implicit-def: $vgpr21_vgpr22
	s_and_saveexec_b64 s[8:9], s[0:1]
	s_cbranch_execnz .LBB88_55
.LBB88_13:
	s_or_b64 exec, exec, s[8:9]
                                        ; implicit-def: $vgpr23_vgpr24
	s_and_saveexec_b64 s[0:1], s[2:3]
	s_cbranch_execnz .LBB88_56
.LBB88_14:
	s_or_b64 exec, exec, s[0:1]
                                        ; implicit-def: $vgpr25_vgpr26
	s_and_saveexec_b64 s[0:1], s[6:7]
	s_cbranch_execz .LBB88_16
.LBB88_15:
	global_load_dwordx2 v[25:26], v[7:8], off offset:1536
.LBB88_16:
	s_or_b64 exec, exec, s[0:1]
	v_mov_b32_e32 v16, v11
.LBB88_17:
	s_load_dwordx2 s[36:37], s[4:5], 0x28
	s_load_dword s0, s[4:5], 0x3c
	s_mov_b32 s26, 0
	s_mov_b32 s44, s26
	v_lshlrev_b32_e32 v34, 2, v16
	v_lshlrev_b32_e32 v35, 2, v10
	s_waitcnt lgkmcnt(0)
	s_lshr_b32 s1, s0, 16
	s_and_b32 s0, s0, 0xffff
	v_mad_u32_u24 v1, v2, s1, v1
	v_mad_u64_u32 v[7:8], s[0:1], v1, s0, v[0:1]
	s_waitcnt vmcnt(0)
	v_xor_b32_e32 v1, 0x80000000, v5
	v_xor_b32_e32 v2, 0x80000000, v6
	v_lshrrev_b32_e32 v5, 4, v7
	v_and_b32_e32 v29, 0xffffffc, v5
	v_and_b32_e32 v5, 15, v9
	v_cmp_eq_u32_e64 s[0:1], 0, v5
	v_cmp_lt_u32_e64 s[2:3], 1, v5
	v_cmp_lt_u32_e64 s[4:5], 3, v5
	;; [unrolled: 1-line block ×3, first 2 shown]
	v_and_b32_e32 v5, 16, v9
	v_cmp_eq_u32_e64 s[8:9], 0, v5
	v_or_b32_e32 v5, 63, v0
	v_cmp_eq_u32_e64 s[12:13], v0, v5
	v_subrev_co_u32_e64 v5, s[18:19], 1, v9
	v_and_b32_e32 v6, 64, v9
	v_cmp_lt_i32_e32 vcc, v5, v6
	v_cndmask_b32_e32 v5, v5, v9, vcc
	v_lshlrev_b32_e32 v31, 2, v5
	v_lshrrev_b32_e32 v5, 4, v0
	v_and_b32_e32 v32, 12, v5
	v_and_b32_e32 v5, 3, v9
	v_cmp_eq_u32_e64 s[22:23], 0, v5
	v_cmp_lt_u32_e64 s[24:25], 1, v5
	v_lshlrev_b32_e32 v36, 2, v12
	v_lshlrev_b32_e32 v37, 2, v13
	s_mov_b32 s27, s26
	s_mov_b32 s45, s26
	v_mov_b32_e32 v5, s26
	v_mov_b32_e32 v7, s44
	v_xor_b32_e32 v3, 0x80000000, v3
	v_xor_b32_e32 v4, 0x80000000, v4
	s_add_i32 s40, s37, s36
	v_lshlrev_b32_e32 v28, 2, v27
	v_cmp_lt_u32_e64 s[10:11], 31, v9
	v_cmp_gt_u32_e64 s[14:15], 4, v0
	v_cmp_lt_u32_e64 s[16:17], 63, v0
	v_cmp_eq_u32_e64 s[20:21], 0, v0
	v_mul_i32_i24_e32 v30, -12, v0
	v_add_u32_e32 v33, -4, v32
	v_mov_b32_e32 v6, s27
	v_mov_b32_e32 v8, s45
	;; [unrolled: 1-line block ×3, first 2 shown]
	v_add_u32_e32 v38, v34, v34
	v_add_u32_e32 v39, v35, v35
	;; [unrolled: 1-line block ×4, first 2 shown]
	s_branch .LBB88_19
.LBB88_18:                              ;   in Loop: Header=BB88_19 Depth=1
	s_andn2_b64 vcc, exec, s[26:27]
	s_mov_b32 s37, s41
	s_cbranch_vccz .LBB88_35
.LBB88_19:                              ; =>This Inner Loop Header: Depth=1
	s_min_u32 s26, s37, 8
	v_mov_b32_e32 v45, v3
	s_lshl_b32 s26, -1, s26
	v_mov_b32_e32 v43, v1
	s_not_b32 s41, s26
	v_lshrrev_b32_e32 v1, s36, v45
	v_and_b32_e32 v1, s41, v1
	v_mov_b32_e32 v42, v2
	v_and_b32_e32 v2, 1, v1
	v_mov_b32_e32 v44, v4
	v_add_co_u32_e32 v4, vcc, -1, v2
	v_addc_co_u32_e64 v10, s[26:27], 0, -1, vcc
	v_cmp_ne_u32_e32 vcc, 0, v2
	v_xor_b32_e32 v2, vcc_hi, v10
	v_lshlrev_b32_e32 v10, 30, v1
	v_xor_b32_e32 v4, vcc_lo, v4
	v_cmp_gt_i64_e32 vcc, 0, v[9:10]
	v_not_b32_e32 v10, v10
	v_mov_b32_e32 v17, v19
	v_ashrrev_i32_e32 v10, 31, v10
	v_mov_b32_e32 v18, v20
	v_and_b32_e32 v4, exec_lo, v4
	v_xor_b32_e32 v19, vcc_hi, v10
	v_xor_b32_e32 v10, vcc_lo, v10
	v_and_b32_e32 v4, v4, v10
	v_lshlrev_b32_e32 v10, 29, v1
	v_cmp_gt_i64_e32 vcc, 0, v[9:10]
	v_not_b32_e32 v10, v10
	v_and_b32_e32 v2, exec_hi, v2
	v_ashrrev_i32_e32 v10, 31, v10
	v_and_b32_e32 v2, v2, v19
	v_xor_b32_e32 v19, vcc_hi, v10
	v_xor_b32_e32 v10, vcc_lo, v10
	v_and_b32_e32 v4, v4, v10
	v_lshlrev_b32_e32 v10, 28, v1
	v_cmp_gt_i64_e32 vcc, 0, v[9:10]
	v_not_b32_e32 v10, v10
	v_ashrrev_i32_e32 v10, 31, v10
	v_and_b32_e32 v2, v2, v19
	v_xor_b32_e32 v19, vcc_hi, v10
	v_xor_b32_e32 v10, vcc_lo, v10
	v_and_b32_e32 v4, v4, v10
	v_lshlrev_b32_e32 v10, 27, v1
	v_cmp_gt_i64_e32 vcc, 0, v[9:10]
	v_not_b32_e32 v10, v10
	v_ashrrev_i32_e32 v10, 31, v10
	v_and_b32_e32 v2, v2, v19
	v_xor_b32_e32 v19, vcc_hi, v10
	v_xor_b32_e32 v10, vcc_lo, v10
	v_and_b32_e32 v4, v4, v10
	v_lshlrev_b32_e32 v10, 26, v1
	v_cmp_gt_i64_e32 vcc, 0, v[9:10]
	v_not_b32_e32 v10, v10
	v_ashrrev_i32_e32 v10, 31, v10
	v_and_b32_e32 v2, v2, v19
	v_xor_b32_e32 v19, vcc_hi, v10
	v_xor_b32_e32 v10, vcc_lo, v10
	v_and_b32_e32 v4, v4, v10
	v_lshlrev_b32_e32 v10, 25, v1
	v_cmp_gt_i64_e32 vcc, 0, v[9:10]
	v_not_b32_e32 v10, v10
	v_ashrrev_i32_e32 v10, 31, v10
	v_and_b32_e32 v2, v2, v19
	v_xor_b32_e32 v19, vcc_hi, v10
	v_xor_b32_e32 v10, vcc_lo, v10
	v_and_b32_e32 v4, v4, v10
	v_lshlrev_b32_e32 v10, 24, v1
	v_lshlrev_b32_e32 v3, 4, v1
	v_cmp_gt_i64_e32 vcc, 0, v[9:10]
	v_not_b32_e32 v1, v10
	v_ashrrev_i32_e32 v1, 31, v1
	v_xor_b32_e32 v10, vcc_hi, v1
	v_xor_b32_e32 v1, vcc_lo, v1
	v_and_b32_e32 v2, v2, v19
	v_and_b32_e32 v1, v4, v1
	v_and_b32_e32 v2, v2, v10
	v_mbcnt_lo_u32_b32 v4, v1, 0
	v_mbcnt_hi_u32_b32 v19, v2, v4
	v_cmp_ne_u64_e32 vcc, 0, v[1:2]
	v_mov_b32_e32 v15, v21
	v_mov_b32_e32 v13, v23
	;; [unrolled: 1-line block ×3, first 2 shown]
	v_cmp_eq_u32_e64 s[26:27], 0, v19
	v_mov_b32_e32 v16, v22
	v_mov_b32_e32 v14, v24
	v_mov_b32_e32 v12, v26
	s_and_b64 s[44:45], vcc, s[26:27]
	v_add_u32_e32 v20, v29, v3
	ds_write2_b64 v28, v[5:6], v[7:8] offset0:2 offset1:3
	s_waitcnt lgkmcnt(0)
	s_barrier
	; wave barrier
	s_and_saveexec_b64 s[26:27], s[44:45]
; %bb.20:                               ;   in Loop: Header=BB88_19 Depth=1
	v_bcnt_u32_b32 v1, v1, 0
	v_bcnt_u32_b32 v1, v2, v1
	ds_write_b32 v20, v1 offset:16
; %bb.21:                               ;   in Loop: Header=BB88_19 Depth=1
	s_or_b64 exec, exec, s[26:27]
	v_lshrrev_b32_e32 v1, s36, v44
	v_and_b32_e32 v1, s41, v1
	v_lshlrev_b32_e32 v2, 4, v1
	v_add_u32_e32 v22, v29, v2
	v_and_b32_e32 v2, 1, v1
	v_add_co_u32_e32 v3, vcc, -1, v2
	v_addc_co_u32_e64 v4, s[26:27], 0, -1, vcc
	v_cmp_ne_u32_e32 vcc, 0, v2
	v_lshlrev_b32_e32 v10, 30, v1
	v_xor_b32_e32 v2, vcc_hi, v4
	v_xor_b32_e32 v3, vcc_lo, v3
	v_cmp_gt_i64_e32 vcc, 0, v[9:10]
	v_not_b32_e32 v4, v10
	v_ashrrev_i32_e32 v4, 31, v4
	v_and_b32_e32 v2, exec_hi, v2
	v_xor_b32_e32 v10, vcc_hi, v4
	v_and_b32_e32 v3, exec_lo, v3
	v_xor_b32_e32 v4, vcc_lo, v4
	v_and_b32_e32 v2, v2, v10
	v_lshlrev_b32_e32 v10, 29, v1
	v_and_b32_e32 v3, v3, v4
	v_cmp_gt_i64_e32 vcc, 0, v[9:10]
	v_not_b32_e32 v4, v10
	v_ashrrev_i32_e32 v4, 31, v4
	v_xor_b32_e32 v10, vcc_hi, v4
	v_xor_b32_e32 v4, vcc_lo, v4
	v_and_b32_e32 v2, v2, v10
	v_lshlrev_b32_e32 v10, 28, v1
	v_and_b32_e32 v3, v3, v4
	v_cmp_gt_i64_e32 vcc, 0, v[9:10]
	v_not_b32_e32 v4, v10
	v_ashrrev_i32_e32 v4, 31, v4
	v_xor_b32_e32 v10, vcc_hi, v4
	;; [unrolled: 8-line block ×5, first 2 shown]
	v_and_b32_e32 v2, v2, v10
	v_lshlrev_b32_e32 v10, 24, v1
	v_xor_b32_e32 v4, vcc_lo, v4
	v_cmp_gt_i64_e32 vcc, 0, v[9:10]
	v_not_b32_e32 v1, v10
	v_ashrrev_i32_e32 v1, 31, v1
	v_and_b32_e32 v3, v3, v4
	v_xor_b32_e32 v4, vcc_hi, v1
	v_xor_b32_e32 v1, vcc_lo, v1
	; wave barrier
	ds_read_b32 v21, v22 offset:16
	v_and_b32_e32 v1, v3, v1
	v_and_b32_e32 v2, v2, v4
	v_mbcnt_lo_u32_b32 v3, v1, 0
	v_mbcnt_hi_u32_b32 v23, v2, v3
	v_cmp_ne_u64_e32 vcc, 0, v[1:2]
	v_cmp_eq_u32_e64 s[26:27], 0, v23
	s_and_b64 s[44:45], vcc, s[26:27]
	; wave barrier
	s_and_saveexec_b64 s[26:27], s[44:45]
	s_cbranch_execz .LBB88_23
; %bb.22:                               ;   in Loop: Header=BB88_19 Depth=1
	v_bcnt_u32_b32 v1, v1, 0
	v_bcnt_u32_b32 v1, v2, v1
	s_waitcnt lgkmcnt(0)
	v_add_u32_e32 v1, v21, v1
	ds_write_b32 v22, v1 offset:16
.LBB88_23:                              ;   in Loop: Header=BB88_19 Depth=1
	s_or_b64 exec, exec, s[26:27]
	v_lshrrev_b32_e32 v1, s36, v43
	v_and_b32_e32 v1, s41, v1
	v_lshlrev_b32_e32 v2, 4, v1
	v_add_u32_e32 v25, v29, v2
	v_and_b32_e32 v2, 1, v1
	v_add_co_u32_e32 v3, vcc, -1, v2
	v_addc_co_u32_e64 v4, s[26:27], 0, -1, vcc
	v_cmp_ne_u32_e32 vcc, 0, v2
	v_lshlrev_b32_e32 v10, 30, v1
	v_xor_b32_e32 v2, vcc_hi, v4
	v_xor_b32_e32 v3, vcc_lo, v3
	v_cmp_gt_i64_e32 vcc, 0, v[9:10]
	v_not_b32_e32 v4, v10
	v_ashrrev_i32_e32 v4, 31, v4
	v_and_b32_e32 v2, exec_hi, v2
	v_xor_b32_e32 v10, vcc_hi, v4
	v_and_b32_e32 v3, exec_lo, v3
	v_xor_b32_e32 v4, vcc_lo, v4
	v_and_b32_e32 v2, v2, v10
	v_lshlrev_b32_e32 v10, 29, v1
	v_and_b32_e32 v3, v3, v4
	v_cmp_gt_i64_e32 vcc, 0, v[9:10]
	v_not_b32_e32 v4, v10
	v_ashrrev_i32_e32 v4, 31, v4
	v_xor_b32_e32 v10, vcc_hi, v4
	v_xor_b32_e32 v4, vcc_lo, v4
	v_and_b32_e32 v2, v2, v10
	v_lshlrev_b32_e32 v10, 28, v1
	v_and_b32_e32 v3, v3, v4
	v_cmp_gt_i64_e32 vcc, 0, v[9:10]
	v_not_b32_e32 v4, v10
	v_ashrrev_i32_e32 v4, 31, v4
	v_xor_b32_e32 v10, vcc_hi, v4
	;; [unrolled: 8-line block ×5, first 2 shown]
	v_and_b32_e32 v2, v2, v10
	v_lshlrev_b32_e32 v10, 24, v1
	v_xor_b32_e32 v4, vcc_lo, v4
	v_cmp_gt_i64_e32 vcc, 0, v[9:10]
	v_not_b32_e32 v1, v10
	v_ashrrev_i32_e32 v1, 31, v1
	v_and_b32_e32 v3, v3, v4
	v_xor_b32_e32 v4, vcc_hi, v1
	v_xor_b32_e32 v1, vcc_lo, v1
	; wave barrier
	ds_read_b32 v24, v25 offset:16
	v_and_b32_e32 v1, v3, v1
	v_and_b32_e32 v2, v2, v4
	v_mbcnt_lo_u32_b32 v3, v1, 0
	v_mbcnt_hi_u32_b32 v26, v2, v3
	v_cmp_ne_u64_e32 vcc, 0, v[1:2]
	v_cmp_eq_u32_e64 s[26:27], 0, v26
	s_and_b64 s[44:45], vcc, s[26:27]
	; wave barrier
	s_and_saveexec_b64 s[26:27], s[44:45]
	s_cbranch_execz .LBB88_25
; %bb.24:                               ;   in Loop: Header=BB88_19 Depth=1
	v_bcnt_u32_b32 v1, v1, 0
	v_bcnt_u32_b32 v1, v2, v1
	s_waitcnt lgkmcnt(0)
	v_add_u32_e32 v1, v24, v1
	ds_write_b32 v25, v1 offset:16
.LBB88_25:                              ;   in Loop: Header=BB88_19 Depth=1
	s_or_b64 exec, exec, s[26:27]
	v_lshrrev_b32_e32 v1, s36, v42
	v_and_b32_e32 v1, s41, v1
	v_lshlrev_b32_e32 v2, 4, v1
	v_add_u32_e32 v47, v29, v2
	v_and_b32_e32 v2, 1, v1
	v_add_co_u32_e32 v3, vcc, -1, v2
	v_addc_co_u32_e64 v4, s[26:27], 0, -1, vcc
	v_cmp_ne_u32_e32 vcc, 0, v2
	v_lshlrev_b32_e32 v10, 30, v1
	v_xor_b32_e32 v2, vcc_hi, v4
	v_xor_b32_e32 v3, vcc_lo, v3
	v_cmp_gt_i64_e32 vcc, 0, v[9:10]
	v_not_b32_e32 v4, v10
	v_ashrrev_i32_e32 v4, 31, v4
	v_and_b32_e32 v2, exec_hi, v2
	v_xor_b32_e32 v10, vcc_hi, v4
	v_and_b32_e32 v3, exec_lo, v3
	v_xor_b32_e32 v4, vcc_lo, v4
	v_and_b32_e32 v2, v2, v10
	v_lshlrev_b32_e32 v10, 29, v1
	v_and_b32_e32 v3, v3, v4
	v_cmp_gt_i64_e32 vcc, 0, v[9:10]
	v_not_b32_e32 v4, v10
	v_ashrrev_i32_e32 v4, 31, v4
	v_xor_b32_e32 v10, vcc_hi, v4
	v_xor_b32_e32 v4, vcc_lo, v4
	v_and_b32_e32 v2, v2, v10
	v_lshlrev_b32_e32 v10, 28, v1
	v_and_b32_e32 v3, v3, v4
	v_cmp_gt_i64_e32 vcc, 0, v[9:10]
	v_not_b32_e32 v4, v10
	v_ashrrev_i32_e32 v4, 31, v4
	v_xor_b32_e32 v10, vcc_hi, v4
	;; [unrolled: 8-line block ×5, first 2 shown]
	v_and_b32_e32 v2, v2, v10
	v_lshlrev_b32_e32 v10, 24, v1
	v_xor_b32_e32 v4, vcc_lo, v4
	v_cmp_gt_i64_e32 vcc, 0, v[9:10]
	v_not_b32_e32 v1, v10
	v_ashrrev_i32_e32 v1, 31, v1
	v_and_b32_e32 v3, v3, v4
	v_xor_b32_e32 v4, vcc_hi, v1
	v_xor_b32_e32 v1, vcc_lo, v1
	; wave barrier
	ds_read_b32 v46, v47 offset:16
	v_and_b32_e32 v1, v3, v1
	v_and_b32_e32 v2, v2, v4
	v_mbcnt_lo_u32_b32 v3, v1, 0
	v_mbcnt_hi_u32_b32 v10, v2, v3
	v_cmp_ne_u64_e32 vcc, 0, v[1:2]
	v_cmp_eq_u32_e64 s[26:27], 0, v10
	s_and_b64 s[44:45], vcc, s[26:27]
	; wave barrier
	s_and_saveexec_b64 s[26:27], s[44:45]
	s_cbranch_execz .LBB88_27
; %bb.26:                               ;   in Loop: Header=BB88_19 Depth=1
	v_bcnt_u32_b32 v1, v1, 0
	v_bcnt_u32_b32 v1, v2, v1
	s_waitcnt lgkmcnt(0)
	v_add_u32_e32 v1, v46, v1
	ds_write_b32 v47, v1 offset:16
.LBB88_27:                              ;   in Loop: Header=BB88_19 Depth=1
	s_or_b64 exec, exec, s[26:27]
	; wave barrier
	s_waitcnt lgkmcnt(0)
	s_barrier
	ds_read2_b64 v[1:4], v28 offset0:2 offset1:3
	s_waitcnt lgkmcnt(0)
	v_add_u32_e32 v48, v2, v1
	v_add3_u32 v4, v48, v3, v4
	s_nop 1
	v_mov_b32_dpp v48, v4 row_shr:1 row_mask:0xf bank_mask:0xf
	v_cndmask_b32_e64 v48, v48, 0, s[0:1]
	v_add_u32_e32 v4, v48, v4
	s_nop 1
	v_mov_b32_dpp v48, v4 row_shr:2 row_mask:0xf bank_mask:0xf
	v_cndmask_b32_e64 v48, 0, v48, s[2:3]
	v_add_u32_e32 v4, v4, v48
	;; [unrolled: 4-line block ×4, first 2 shown]
	s_nop 1
	v_mov_b32_dpp v48, v4 row_bcast:15 row_mask:0xf bank_mask:0xf
	v_cndmask_b32_e64 v48, v48, 0, s[8:9]
	v_add_u32_e32 v4, v4, v48
	s_nop 1
	v_mov_b32_dpp v48, v4 row_bcast:31 row_mask:0xf bank_mask:0xf
	v_cndmask_b32_e64 v48, 0, v48, s[10:11]
	v_add_u32_e32 v4, v4, v48
	s_and_saveexec_b64 s[26:27], s[12:13]
; %bb.28:                               ;   in Loop: Header=BB88_19 Depth=1
	ds_write_b32 v32, v4
; %bb.29:                               ;   in Loop: Header=BB88_19 Depth=1
	s_or_b64 exec, exec, s[26:27]
	s_waitcnt lgkmcnt(0)
	s_barrier
	s_and_saveexec_b64 s[26:27], s[14:15]
	s_cbranch_execz .LBB88_31
; %bb.30:                               ;   in Loop: Header=BB88_19 Depth=1
	v_add_u32_e32 v48, v28, v30
	ds_read_b32 v49, v48
	s_waitcnt lgkmcnt(0)
	s_nop 0
	v_mov_b32_dpp v50, v49 row_shr:1 row_mask:0xf bank_mask:0xf
	v_cndmask_b32_e64 v50, v50, 0, s[22:23]
	v_add_u32_e32 v49, v50, v49
	s_nop 1
	v_mov_b32_dpp v50, v49 row_shr:2 row_mask:0xf bank_mask:0xf
	v_cndmask_b32_e64 v50, 0, v50, s[24:25]
	v_add_u32_e32 v49, v49, v50
	ds_write_b32 v48, v49
.LBB88_31:                              ;   in Loop: Header=BB88_19 Depth=1
	s_or_b64 exec, exec, s[26:27]
	v_mov_b32_e32 v48, 0
	s_waitcnt lgkmcnt(0)
	s_barrier
	s_and_saveexec_b64 s[26:27], s[16:17]
; %bb.32:                               ;   in Loop: Header=BB88_19 Depth=1
	ds_read_b32 v48, v33
; %bb.33:                               ;   in Loop: Header=BB88_19 Depth=1
	s_or_b64 exec, exec, s[26:27]
	s_waitcnt lgkmcnt(0)
	v_add_u32_e32 v4, v48, v4
	ds_bpermute_b32 v4, v31, v4
	s_add_i32 s36, s36, 8
	s_cmp_ge_u32 s36, s40
	s_mov_b64 s[26:27], -1
	v_readfirstlane_b32 s41, v0
	s_waitcnt lgkmcnt(0)
	v_cndmask_b32_e64 v4, v4, v48, s[18:19]
	v_cndmask_b32_e64 v48, v4, 0, s[20:21]
	v_add_u32_e32 v49, v48, v1
	v_add_u32_e32 v1, v49, v2
	;; [unrolled: 1-line block ×3, first 2 shown]
	ds_write2_b64 v28, v[48:49], v[1:2] offset0:2 offset1:3
	s_waitcnt lgkmcnt(0)
	s_barrier
	ds_read_b32 v1, v20 offset:16
	ds_read_b32 v2, v22 offset:16
	;; [unrolled: 1-line block ×4, first 2 shown]
	s_waitcnt lgkmcnt(0)
	v_add_u32_e32 v49, v1, v19
	v_add3_u32 v48, v23, v21, v2
	v_add3_u32 v47, v26, v24, v3
	;; [unrolled: 1-line block ×3, first 2 shown]
	v_lshlrev_b32_e32 v52, 2, v49
	v_lshlrev_b32_e32 v51, 2, v48
	;; [unrolled: 1-line block ×4, first 2 shown]
                                        ; implicit-def: $vgpr2
                                        ; implicit-def: $vgpr1
                                        ; implicit-def: $vgpr4
                                        ; implicit-def: $vgpr3
                                        ; implicit-def: $vgpr19_vgpr20
                                        ; implicit-def: $vgpr21_vgpr22
                                        ; implicit-def: $vgpr23_vgpr24
                                        ; implicit-def: $vgpr25_vgpr26
	s_cbranch_scc1 .LBB88_18
; %bb.34:                               ;   in Loop: Header=BB88_19 Depth=1
	v_lshl_add_u32 v19, v49, 2, v52
	s_barrier
	ds_write_b32 v52, v45
	ds_write_b32 v51, v44
	ds_write_b32 v50, v43
	ds_write_b32 v46, v42
	s_waitcnt lgkmcnt(0)
	s_barrier
	ds_read_b32 v3, v34
	ds_read_b32 v4, v35
	;; [unrolled: 1-line block ×4, first 2 shown]
	s_waitcnt lgkmcnt(0)
	s_barrier
	ds_write_b64 v19, v[17:18]
	v_lshl_add_u32 v19, v48, 2, v51
	ds_write_b64 v19, v[15:16]
	v_lshl_add_u32 v19, v47, 2, v50
	ds_write_b64 v19, v[13:14]
	v_lshl_add_u32 v19, v10, 2, v46
	ds_write_b64 v19, v[11:12]
	s_waitcnt lgkmcnt(0)
	s_barrier
	ds_read_b64 v[19:20], v38
	ds_read_b64 v[21:22], v39
	;; [unrolled: 1-line block ×4, first 2 shown]
	s_add_i32 s41, s37, -8
	s_mov_b64 s[26:27], 0
	s_waitcnt lgkmcnt(0)
	s_barrier
	s_branch .LBB88_18
.LBB88_35:
	v_add_u32_e32 v1, v28, v30
	s_barrier
	ds_write_b32 v52, v45
	ds_write_b32 v51, v44
	ds_write_b32 v50, v43
	ds_write_b32 v46, v42
	s_waitcnt lgkmcnt(0)
	s_barrier
	ds_read2st64_b32 v[19:20], v1 offset1:4
	ds_read2st64_b32 v[21:22], v1 offset0:8 offset1:12
	v_lshl_add_u32 v1, v49, 2, v52
	s_waitcnt lgkmcnt(0)
	s_barrier
	ds_write_b64 v1, v[17:18]
	v_lshl_add_u32 v1, v48, 2, v51
	ds_write_b64 v1, v[15:16]
	v_lshl_add_u32 v1, v47, 2, v50
	ds_write_b64 v1, v[13:14]
	v_lshl_add_u32 v1, v10, 2, v46
	ds_write_b64 v1, v[11:12]
	v_lshlrev_b32_e32 v11, 3, v0
	s_waitcnt lgkmcnt(0)
	s_barrier
	ds_read2st64_b64 v[5:8], v11 offset1:4
	ds_read2st64_b64 v[1:4], v11 offset0:8 offset1:12
	s_add_u32 s0, s38, s34
	s_addc_u32 s1, s39, s35
	v_mov_b32_e32 v10, s1
	v_add_co_u32_e64 v9, s[0:1], s0, v27
	v_xor_b32_e32 v15, 0x80000000, v19
	v_xor_b32_e32 v14, 0x80000000, v20
	;; [unrolled: 1-line block ×4, first 2 shown]
	s_andn2_b64 vcc, exec, s[30:31]
	v_addc_co_u32_e64 v10, s[0:1], 0, v10, s[0:1]
	s_cbranch_vccnz .LBB88_37
; %bb.36:
	s_lshl_b64 s[0:1], s[28:29], 3
	s_add_u32 s0, s42, s0
	s_addc_u32 s1, s43, s1
	v_mov_b32_e32 v16, s1
	v_add_co_u32_e32 v17, vcc, s0, v11
	v_addc_co_u32_e32 v18, vcc, 0, v16, vcc
	v_add_co_u32_e32 v16, vcc, 0x1000, v17
	global_store_dword v[9:10], v15, off
	global_store_dword v[9:10], v14, off offset:1024
	global_store_dword v[9:10], v13, off offset:2048
	;; [unrolled: 1-line block ×3, first 2 shown]
	s_waitcnt lgkmcnt(1)
	global_store_dwordx2 v11, v[5:6], s[0:1]
	global_store_dwordx2 v11, v[7:8], s[0:1] offset:2048
	v_addc_co_u32_e32 v17, vcc, 0, v18, vcc
	s_mov_b64 s[6:7], -1
	s_waitcnt lgkmcnt(0)
	global_store_dwordx2 v[16:17], v[1:2], off
	s_cbranch_execz .LBB88_38
	s_branch .LBB88_51
.LBB88_37:
	s_mov_b64 s[6:7], 0
.LBB88_38:
	v_cmp_gt_u32_e32 vcc, s33, v0
	s_and_saveexec_b64 s[0:1], vcc
	s_cbranch_execz .LBB88_40
; %bb.39:
	global_store_dword v[9:10], v15, off
.LBB88_40:
	s_or_b64 exec, exec, s[0:1]
	v_or_b32_e32 v15, 0x100, v0
	v_cmp_gt_u32_e64 s[0:1], s33, v15
	s_and_saveexec_b64 s[2:3], s[0:1]
	s_cbranch_execz .LBB88_42
; %bb.41:
	global_store_dword v[9:10], v14, off offset:1024
.LBB88_42:
	s_or_b64 exec, exec, s[2:3]
	v_or_b32_e32 v14, 0x200, v0
	v_cmp_gt_u32_e64 s[2:3], s33, v14
	s_and_saveexec_b64 s[4:5], s[2:3]
	s_cbranch_execz .LBB88_44
; %bb.43:
	global_store_dword v[9:10], v13, off offset:2048
.LBB88_44:
	;; [unrolled: 8-line block ×3, first 2 shown]
	s_or_b64 exec, exec, s[4:5]
	s_lshl_b64 s[4:5], s[28:29], 3
	s_add_u32 s4, s42, s4
	s_addc_u32 s5, s43, s5
	v_mov_b32_e32 v0, s5
	v_add_co_u32_e64 v9, s[4:5], s4, v11
	v_addc_co_u32_e64 v10, s[4:5], 0, v0, s[4:5]
	s_and_saveexec_b64 s[4:5], vcc
	s_cbranch_execnz .LBB88_57
; %bb.47:
	s_or_b64 exec, exec, s[4:5]
	s_and_saveexec_b64 s[4:5], s[0:1]
	s_cbranch_execnz .LBB88_58
.LBB88_48:
	s_or_b64 exec, exec, s[4:5]
	s_and_saveexec_b64 s[0:1], s[2:3]
	s_cbranch_execz .LBB88_50
.LBB88_49:
	s_waitcnt lgkmcnt(1)
	v_add_co_u32_e32 v5, vcc, 0x1000, v9
	v_addc_co_u32_e32 v6, vcc, 0, v10, vcc
	s_waitcnt lgkmcnt(0)
	global_store_dwordx2 v[5:6], v[1:2], off
.LBB88_50:
	s_or_b64 exec, exec, s[0:1]
.LBB88_51:
	s_and_saveexec_b64 s[0:1], s[6:7]
	s_cbranch_execnz .LBB88_53
; %bb.52:
	s_endpgm
.LBB88_53:
	s_lshl_b64 s[0:1], s[28:29], 3
	s_add_u32 s0, s42, s0
	s_addc_u32 s1, s43, s1
	v_mov_b32_e32 v0, s1
	s_waitcnt lgkmcnt(0)
	v_add_co_u32_e32 v1, vcc, s0, v11
	v_addc_co_u32_e32 v2, vcc, 0, v0, vcc
	v_add_co_u32_e32 v0, vcc, 0x1000, v1
	v_addc_co_u32_e32 v1, vcc, 0, v2, vcc
	global_store_dwordx2 v[0:1], v[3:4], off offset:2048
	s_endpgm
.LBB88_54:
	global_load_dwordx2 v[19:20], v[7:8], off
	s_or_b64 exec, exec, s[8:9]
                                        ; implicit-def: $vgpr21_vgpr22
	s_and_saveexec_b64 s[8:9], s[0:1]
	s_cbranch_execz .LBB88_13
.LBB88_55:
	global_load_dwordx2 v[21:22], v[7:8], off offset:512
	s_or_b64 exec, exec, s[8:9]
                                        ; implicit-def: $vgpr23_vgpr24
	s_and_saveexec_b64 s[0:1], s[2:3]
	s_cbranch_execz .LBB88_14
.LBB88_56:
	global_load_dwordx2 v[23:24], v[7:8], off offset:1024
	s_or_b64 exec, exec, s[0:1]
                                        ; implicit-def: $vgpr25_vgpr26
	s_and_saveexec_b64 s[0:1], s[6:7]
	s_cbranch_execnz .LBB88_15
	s_branch .LBB88_16
.LBB88_57:
	s_waitcnt lgkmcnt(1)
	global_store_dwordx2 v[9:10], v[5:6], off
	s_or_b64 exec, exec, s[4:5]
	s_and_saveexec_b64 s[4:5], s[0:1]
	s_cbranch_execz .LBB88_48
.LBB88_58:
	s_waitcnt lgkmcnt(1)
	global_store_dwordx2 v[9:10], v[7:8], off offset:2048
	s_or_b64 exec, exec, s[4:5]
	s_and_saveexec_b64 s[0:1], s[2:3]
	s_cbranch_execnz .LBB88_49
	s_branch .LBB88_50
	.section	.rodata,"a",@progbits
	.p2align	6, 0x0
	.amdhsa_kernel _ZN7rocprim17ROCPRIM_304000_NS6detail28radix_sort_block_sort_kernelINS1_36wrapped_radix_sort_block_sort_configINS0_13kernel_configILj256ELj4ELj4294967295EEEiN2at4cuda3cub6detail10OpaqueTypeILi8EEEEELb0EPKiPiPKSB_PSB_NS0_19identity_decomposerEEEvT1_T2_T3_T4_jT5_jj
		.amdhsa_group_segment_fixed_size 8192
		.amdhsa_private_segment_fixed_size 0
		.amdhsa_kernarg_size 304
		.amdhsa_user_sgpr_count 6
		.amdhsa_user_sgpr_private_segment_buffer 1
		.amdhsa_user_sgpr_dispatch_ptr 0
		.amdhsa_user_sgpr_queue_ptr 0
		.amdhsa_user_sgpr_kernarg_segment_ptr 1
		.amdhsa_user_sgpr_dispatch_id 0
		.amdhsa_user_sgpr_flat_scratch_init 0
		.amdhsa_user_sgpr_private_segment_size 0
		.amdhsa_uses_dynamic_stack 0
		.amdhsa_system_sgpr_private_segment_wavefront_offset 0
		.amdhsa_system_sgpr_workgroup_id_x 1
		.amdhsa_system_sgpr_workgroup_id_y 0
		.amdhsa_system_sgpr_workgroup_id_z 0
		.amdhsa_system_sgpr_workgroup_info 0
		.amdhsa_system_vgpr_workitem_id 2
		.amdhsa_next_free_vgpr 53
		.amdhsa_next_free_sgpr 61
		.amdhsa_reserve_vcc 1
		.amdhsa_reserve_flat_scratch 0
		.amdhsa_float_round_mode_32 0
		.amdhsa_float_round_mode_16_64 0
		.amdhsa_float_denorm_mode_32 3
		.amdhsa_float_denorm_mode_16_64 3
		.amdhsa_dx10_clamp 1
		.amdhsa_ieee_mode 1
		.amdhsa_fp16_overflow 0
		.amdhsa_exception_fp_ieee_invalid_op 0
		.amdhsa_exception_fp_denorm_src 0
		.amdhsa_exception_fp_ieee_div_zero 0
		.amdhsa_exception_fp_ieee_overflow 0
		.amdhsa_exception_fp_ieee_underflow 0
		.amdhsa_exception_fp_ieee_inexact 0
		.amdhsa_exception_int_div_zero 0
	.end_amdhsa_kernel
	.section	.text._ZN7rocprim17ROCPRIM_304000_NS6detail28radix_sort_block_sort_kernelINS1_36wrapped_radix_sort_block_sort_configINS0_13kernel_configILj256ELj4ELj4294967295EEEiN2at4cuda3cub6detail10OpaqueTypeILi8EEEEELb0EPKiPiPKSB_PSB_NS0_19identity_decomposerEEEvT1_T2_T3_T4_jT5_jj,"axG",@progbits,_ZN7rocprim17ROCPRIM_304000_NS6detail28radix_sort_block_sort_kernelINS1_36wrapped_radix_sort_block_sort_configINS0_13kernel_configILj256ELj4ELj4294967295EEEiN2at4cuda3cub6detail10OpaqueTypeILi8EEEEELb0EPKiPiPKSB_PSB_NS0_19identity_decomposerEEEvT1_T2_T3_T4_jT5_jj,comdat
.Lfunc_end88:
	.size	_ZN7rocprim17ROCPRIM_304000_NS6detail28radix_sort_block_sort_kernelINS1_36wrapped_radix_sort_block_sort_configINS0_13kernel_configILj256ELj4ELj4294967295EEEiN2at4cuda3cub6detail10OpaqueTypeILi8EEEEELb0EPKiPiPKSB_PSB_NS0_19identity_decomposerEEEvT1_T2_T3_T4_jT5_jj, .Lfunc_end88-_ZN7rocprim17ROCPRIM_304000_NS6detail28radix_sort_block_sort_kernelINS1_36wrapped_radix_sort_block_sort_configINS0_13kernel_configILj256ELj4ELj4294967295EEEiN2at4cuda3cub6detail10OpaqueTypeILi8EEEEELb0EPKiPiPKSB_PSB_NS0_19identity_decomposerEEEvT1_T2_T3_T4_jT5_jj
                                        ; -- End function
	.set _ZN7rocprim17ROCPRIM_304000_NS6detail28radix_sort_block_sort_kernelINS1_36wrapped_radix_sort_block_sort_configINS0_13kernel_configILj256ELj4ELj4294967295EEEiN2at4cuda3cub6detail10OpaqueTypeILi8EEEEELb0EPKiPiPKSB_PSB_NS0_19identity_decomposerEEEvT1_T2_T3_T4_jT5_jj.num_vgpr, 53
	.set _ZN7rocprim17ROCPRIM_304000_NS6detail28radix_sort_block_sort_kernelINS1_36wrapped_radix_sort_block_sort_configINS0_13kernel_configILj256ELj4ELj4294967295EEEiN2at4cuda3cub6detail10OpaqueTypeILi8EEEEELb0EPKiPiPKSB_PSB_NS0_19identity_decomposerEEEvT1_T2_T3_T4_jT5_jj.num_agpr, 0
	.set _ZN7rocprim17ROCPRIM_304000_NS6detail28radix_sort_block_sort_kernelINS1_36wrapped_radix_sort_block_sort_configINS0_13kernel_configILj256ELj4ELj4294967295EEEiN2at4cuda3cub6detail10OpaqueTypeILi8EEEEELb0EPKiPiPKSB_PSB_NS0_19identity_decomposerEEEvT1_T2_T3_T4_jT5_jj.numbered_sgpr, 46
	.set _ZN7rocprim17ROCPRIM_304000_NS6detail28radix_sort_block_sort_kernelINS1_36wrapped_radix_sort_block_sort_configINS0_13kernel_configILj256ELj4ELj4294967295EEEiN2at4cuda3cub6detail10OpaqueTypeILi8EEEEELb0EPKiPiPKSB_PSB_NS0_19identity_decomposerEEEvT1_T2_T3_T4_jT5_jj.num_named_barrier, 0
	.set _ZN7rocprim17ROCPRIM_304000_NS6detail28radix_sort_block_sort_kernelINS1_36wrapped_radix_sort_block_sort_configINS0_13kernel_configILj256ELj4ELj4294967295EEEiN2at4cuda3cub6detail10OpaqueTypeILi8EEEEELb0EPKiPiPKSB_PSB_NS0_19identity_decomposerEEEvT1_T2_T3_T4_jT5_jj.private_seg_size, 0
	.set _ZN7rocprim17ROCPRIM_304000_NS6detail28radix_sort_block_sort_kernelINS1_36wrapped_radix_sort_block_sort_configINS0_13kernel_configILj256ELj4ELj4294967295EEEiN2at4cuda3cub6detail10OpaqueTypeILi8EEEEELb0EPKiPiPKSB_PSB_NS0_19identity_decomposerEEEvT1_T2_T3_T4_jT5_jj.uses_vcc, 1
	.set _ZN7rocprim17ROCPRIM_304000_NS6detail28radix_sort_block_sort_kernelINS1_36wrapped_radix_sort_block_sort_configINS0_13kernel_configILj256ELj4ELj4294967295EEEiN2at4cuda3cub6detail10OpaqueTypeILi8EEEEELb0EPKiPiPKSB_PSB_NS0_19identity_decomposerEEEvT1_T2_T3_T4_jT5_jj.uses_flat_scratch, 0
	.set _ZN7rocprim17ROCPRIM_304000_NS6detail28radix_sort_block_sort_kernelINS1_36wrapped_radix_sort_block_sort_configINS0_13kernel_configILj256ELj4ELj4294967295EEEiN2at4cuda3cub6detail10OpaqueTypeILi8EEEEELb0EPKiPiPKSB_PSB_NS0_19identity_decomposerEEEvT1_T2_T3_T4_jT5_jj.has_dyn_sized_stack, 0
	.set _ZN7rocprim17ROCPRIM_304000_NS6detail28radix_sort_block_sort_kernelINS1_36wrapped_radix_sort_block_sort_configINS0_13kernel_configILj256ELj4ELj4294967295EEEiN2at4cuda3cub6detail10OpaqueTypeILi8EEEEELb0EPKiPiPKSB_PSB_NS0_19identity_decomposerEEEvT1_T2_T3_T4_jT5_jj.has_recursion, 0
	.set _ZN7rocprim17ROCPRIM_304000_NS6detail28radix_sort_block_sort_kernelINS1_36wrapped_radix_sort_block_sort_configINS0_13kernel_configILj256ELj4ELj4294967295EEEiN2at4cuda3cub6detail10OpaqueTypeILi8EEEEELb0EPKiPiPKSB_PSB_NS0_19identity_decomposerEEEvT1_T2_T3_T4_jT5_jj.has_indirect_call, 0
	.section	.AMDGPU.csdata,"",@progbits
; Kernel info:
; codeLenInByte = 3844
; TotalNumSgprs: 50
; NumVgprs: 53
; ScratchSize: 0
; MemoryBound: 0
; FloatMode: 240
; IeeeMode: 1
; LDSByteSize: 8192 bytes/workgroup (compile time only)
; SGPRBlocks: 8
; VGPRBlocks: 13
; NumSGPRsForWavesPerEU: 65
; NumVGPRsForWavesPerEU: 53
; Occupancy: 4
; WaveLimiterHint : 1
; COMPUTE_PGM_RSRC2:SCRATCH_EN: 0
; COMPUTE_PGM_RSRC2:USER_SGPR: 6
; COMPUTE_PGM_RSRC2:TRAP_HANDLER: 0
; COMPUTE_PGM_RSRC2:TGID_X_EN: 1
; COMPUTE_PGM_RSRC2:TGID_Y_EN: 0
; COMPUTE_PGM_RSRC2:TGID_Z_EN: 0
; COMPUTE_PGM_RSRC2:TIDIG_COMP_CNT: 2
	.section	.text._ZN7rocprim17ROCPRIM_304000_NS6detail45device_block_merge_mergepath_partition_kernelINS1_37wrapped_merge_sort_block_merge_configINS0_14default_configEiN2at4cuda3cub6detail10OpaqueTypeILi8EEEEEPijNS1_19radix_merge_compareILb0ELb0EiNS0_19identity_decomposerEEEEEvT0_T1_jPSH_T2_SH_,"axG",@progbits,_ZN7rocprim17ROCPRIM_304000_NS6detail45device_block_merge_mergepath_partition_kernelINS1_37wrapped_merge_sort_block_merge_configINS0_14default_configEiN2at4cuda3cub6detail10OpaqueTypeILi8EEEEEPijNS1_19radix_merge_compareILb0ELb0EiNS0_19identity_decomposerEEEEEvT0_T1_jPSH_T2_SH_,comdat
	.protected	_ZN7rocprim17ROCPRIM_304000_NS6detail45device_block_merge_mergepath_partition_kernelINS1_37wrapped_merge_sort_block_merge_configINS0_14default_configEiN2at4cuda3cub6detail10OpaqueTypeILi8EEEEEPijNS1_19radix_merge_compareILb0ELb0EiNS0_19identity_decomposerEEEEEvT0_T1_jPSH_T2_SH_ ; -- Begin function _ZN7rocprim17ROCPRIM_304000_NS6detail45device_block_merge_mergepath_partition_kernelINS1_37wrapped_merge_sort_block_merge_configINS0_14default_configEiN2at4cuda3cub6detail10OpaqueTypeILi8EEEEEPijNS1_19radix_merge_compareILb0ELb0EiNS0_19identity_decomposerEEEEEvT0_T1_jPSH_T2_SH_
	.globl	_ZN7rocprim17ROCPRIM_304000_NS6detail45device_block_merge_mergepath_partition_kernelINS1_37wrapped_merge_sort_block_merge_configINS0_14default_configEiN2at4cuda3cub6detail10OpaqueTypeILi8EEEEEPijNS1_19radix_merge_compareILb0ELb0EiNS0_19identity_decomposerEEEEEvT0_T1_jPSH_T2_SH_
	.p2align	8
	.type	_ZN7rocprim17ROCPRIM_304000_NS6detail45device_block_merge_mergepath_partition_kernelINS1_37wrapped_merge_sort_block_merge_configINS0_14default_configEiN2at4cuda3cub6detail10OpaqueTypeILi8EEEEEPijNS1_19radix_merge_compareILb0ELb0EiNS0_19identity_decomposerEEEEEvT0_T1_jPSH_T2_SH_,@function
_ZN7rocprim17ROCPRIM_304000_NS6detail45device_block_merge_mergepath_partition_kernelINS1_37wrapped_merge_sort_block_merge_configINS0_14default_configEiN2at4cuda3cub6detail10OpaqueTypeILi8EEEEEPijNS1_19radix_merge_compareILb0ELb0EiNS0_19identity_decomposerEEEEEvT0_T1_jPSH_T2_SH_: ; @_ZN7rocprim17ROCPRIM_304000_NS6detail45device_block_merge_mergepath_partition_kernelINS1_37wrapped_merge_sort_block_merge_configINS0_14default_configEiN2at4cuda3cub6detail10OpaqueTypeILi8EEEEEPijNS1_19radix_merge_compareILb0ELb0EiNS0_19identity_decomposerEEEEEvT0_T1_jPSH_T2_SH_
; %bb.0:
	s_load_dwordx2 s[0:1], s[4:5], 0x8
	v_lshl_or_b32 v0, s6, 7, v0
	s_waitcnt lgkmcnt(0)
	v_cmp_gt_u32_e32 vcc, s1, v0
	s_and_saveexec_b64 s[2:3], vcc
	s_cbranch_execz .LBB89_6
; %bb.1:
	s_load_dword s1, s[4:5], 0x1c
	s_waitcnt lgkmcnt(0)
	s_lshr_b32 s2, s1, 8
	s_and_b32 s2, s2, 0xfffffe
	s_add_i32 s3, s2, -1
	s_sub_i32 s2, 0, s2
	v_and_b32_e32 v1, s2, v0
	v_lshlrev_b32_e32 v3, 9, v1
	v_min_u32_e32 v1, s0, v3
	v_add_u32_e32 v3, s1, v3
	v_min_u32_e32 v3, s0, v3
	v_add_u32_e32 v4, s1, v3
	v_and_b32_e32 v2, s3, v0
	v_min_u32_e32 v4, s0, v4
	v_lshlrev_b32_e32 v2, 9, v2
	v_sub_u32_e32 v5, v4, v1
	v_min_u32_e32 v6, v5, v2
	v_sub_u32_e32 v2, v3, v1
	v_sub_u32_e32 v4, v4, v3
	v_sub_u32_e64 v5, v6, v4 clamp
	v_min_u32_e32 v7, v6, v2
	v_cmp_lt_u32_e32 vcc, v5, v7
	s_and_saveexec_b64 s[0:1], vcc
	s_cbranch_execz .LBB89_5
; %bb.2:
	s_load_dwordx2 s[2:3], s[4:5], 0x0
	v_mov_b32_e32 v4, 0
	v_mov_b32_e32 v2, v4
	v_lshlrev_b64 v[8:9], 2, v[1:2]
	s_waitcnt lgkmcnt(0)
	v_mov_b32_e32 v11, s3
	v_add_co_u32_e32 v2, vcc, s2, v8
	v_addc_co_u32_e32 v8, vcc, v11, v9, vcc
	v_lshlrev_b64 v[9:10], 2, v[3:4]
	v_add_co_u32_e32 v9, vcc, s2, v9
	v_addc_co_u32_e32 v10, vcc, v11, v10, vcc
	s_mov_b64 s[2:3], 0
.LBB89_3:                               ; =>This Inner Loop Header: Depth=1
	v_add_u32_e32 v3, v7, v5
	v_lshrrev_b32_e32 v3, 1, v3
	v_lshlrev_b64 v[13:14], 2, v[3:4]
	v_mov_b32_e32 v12, v4
	v_xad_u32 v11, v3, -1, v6
	v_lshlrev_b64 v[11:12], 2, v[11:12]
	v_add_co_u32_e32 v13, vcc, v2, v13
	v_addc_co_u32_e32 v14, vcc, v8, v14, vcc
	v_add_co_u32_e32 v11, vcc, v9, v11
	v_addc_co_u32_e32 v12, vcc, v10, v12, vcc
	global_load_dword v15, v[13:14], off
	global_load_dword v16, v[11:12], off
	v_add_u32_e32 v11, 1, v3
	s_waitcnt vmcnt(0)
	v_cmp_gt_i32_e32 vcc, v15, v16
	v_cndmask_b32_e32 v7, v7, v3, vcc
	v_cndmask_b32_e32 v5, v11, v5, vcc
	v_cmp_ge_u32_e32 vcc, v5, v7
	s_or_b64 s[2:3], vcc, s[2:3]
	s_andn2_b64 exec, exec, s[2:3]
	s_cbranch_execnz .LBB89_3
; %bb.4:
	s_or_b64 exec, exec, s[2:3]
.LBB89_5:
	s_or_b64 exec, exec, s[0:1]
	s_load_dwordx2 s[0:1], s[4:5], 0x10
	v_add_u32_e32 v2, v5, v1
	v_mov_b32_e32 v1, 0
	v_lshlrev_b64 v[0:1], 2, v[0:1]
	s_waitcnt lgkmcnt(0)
	v_mov_b32_e32 v3, s1
	v_add_co_u32_e32 v0, vcc, s0, v0
	v_addc_co_u32_e32 v1, vcc, v3, v1, vcc
	global_store_dword v[0:1], v2, off
.LBB89_6:
	s_endpgm
	.section	.rodata,"a",@progbits
	.p2align	6, 0x0
	.amdhsa_kernel _ZN7rocprim17ROCPRIM_304000_NS6detail45device_block_merge_mergepath_partition_kernelINS1_37wrapped_merge_sort_block_merge_configINS0_14default_configEiN2at4cuda3cub6detail10OpaqueTypeILi8EEEEEPijNS1_19radix_merge_compareILb0ELb0EiNS0_19identity_decomposerEEEEEvT0_T1_jPSH_T2_SH_
		.amdhsa_group_segment_fixed_size 0
		.amdhsa_private_segment_fixed_size 0
		.amdhsa_kernarg_size 32
		.amdhsa_user_sgpr_count 6
		.amdhsa_user_sgpr_private_segment_buffer 1
		.amdhsa_user_sgpr_dispatch_ptr 0
		.amdhsa_user_sgpr_queue_ptr 0
		.amdhsa_user_sgpr_kernarg_segment_ptr 1
		.amdhsa_user_sgpr_dispatch_id 0
		.amdhsa_user_sgpr_flat_scratch_init 0
		.amdhsa_user_sgpr_private_segment_size 0
		.amdhsa_uses_dynamic_stack 0
		.amdhsa_system_sgpr_private_segment_wavefront_offset 0
		.amdhsa_system_sgpr_workgroup_id_x 1
		.amdhsa_system_sgpr_workgroup_id_y 0
		.amdhsa_system_sgpr_workgroup_id_z 0
		.amdhsa_system_sgpr_workgroup_info 0
		.amdhsa_system_vgpr_workitem_id 0
		.amdhsa_next_free_vgpr 17
		.amdhsa_next_free_sgpr 7
		.amdhsa_reserve_vcc 1
		.amdhsa_reserve_flat_scratch 0
		.amdhsa_float_round_mode_32 0
		.amdhsa_float_round_mode_16_64 0
		.amdhsa_float_denorm_mode_32 3
		.amdhsa_float_denorm_mode_16_64 3
		.amdhsa_dx10_clamp 1
		.amdhsa_ieee_mode 1
		.amdhsa_fp16_overflow 0
		.amdhsa_exception_fp_ieee_invalid_op 0
		.amdhsa_exception_fp_denorm_src 0
		.amdhsa_exception_fp_ieee_div_zero 0
		.amdhsa_exception_fp_ieee_overflow 0
		.amdhsa_exception_fp_ieee_underflow 0
		.amdhsa_exception_fp_ieee_inexact 0
		.amdhsa_exception_int_div_zero 0
	.end_amdhsa_kernel
	.section	.text._ZN7rocprim17ROCPRIM_304000_NS6detail45device_block_merge_mergepath_partition_kernelINS1_37wrapped_merge_sort_block_merge_configINS0_14default_configEiN2at4cuda3cub6detail10OpaqueTypeILi8EEEEEPijNS1_19radix_merge_compareILb0ELb0EiNS0_19identity_decomposerEEEEEvT0_T1_jPSH_T2_SH_,"axG",@progbits,_ZN7rocprim17ROCPRIM_304000_NS6detail45device_block_merge_mergepath_partition_kernelINS1_37wrapped_merge_sort_block_merge_configINS0_14default_configEiN2at4cuda3cub6detail10OpaqueTypeILi8EEEEEPijNS1_19radix_merge_compareILb0ELb0EiNS0_19identity_decomposerEEEEEvT0_T1_jPSH_T2_SH_,comdat
.Lfunc_end89:
	.size	_ZN7rocprim17ROCPRIM_304000_NS6detail45device_block_merge_mergepath_partition_kernelINS1_37wrapped_merge_sort_block_merge_configINS0_14default_configEiN2at4cuda3cub6detail10OpaqueTypeILi8EEEEEPijNS1_19radix_merge_compareILb0ELb0EiNS0_19identity_decomposerEEEEEvT0_T1_jPSH_T2_SH_, .Lfunc_end89-_ZN7rocprim17ROCPRIM_304000_NS6detail45device_block_merge_mergepath_partition_kernelINS1_37wrapped_merge_sort_block_merge_configINS0_14default_configEiN2at4cuda3cub6detail10OpaqueTypeILi8EEEEEPijNS1_19radix_merge_compareILb0ELb0EiNS0_19identity_decomposerEEEEEvT0_T1_jPSH_T2_SH_
                                        ; -- End function
	.set _ZN7rocprim17ROCPRIM_304000_NS6detail45device_block_merge_mergepath_partition_kernelINS1_37wrapped_merge_sort_block_merge_configINS0_14default_configEiN2at4cuda3cub6detail10OpaqueTypeILi8EEEEEPijNS1_19radix_merge_compareILb0ELb0EiNS0_19identity_decomposerEEEEEvT0_T1_jPSH_T2_SH_.num_vgpr, 17
	.set _ZN7rocprim17ROCPRIM_304000_NS6detail45device_block_merge_mergepath_partition_kernelINS1_37wrapped_merge_sort_block_merge_configINS0_14default_configEiN2at4cuda3cub6detail10OpaqueTypeILi8EEEEEPijNS1_19radix_merge_compareILb0ELb0EiNS0_19identity_decomposerEEEEEvT0_T1_jPSH_T2_SH_.num_agpr, 0
	.set _ZN7rocprim17ROCPRIM_304000_NS6detail45device_block_merge_mergepath_partition_kernelINS1_37wrapped_merge_sort_block_merge_configINS0_14default_configEiN2at4cuda3cub6detail10OpaqueTypeILi8EEEEEPijNS1_19radix_merge_compareILb0ELb0EiNS0_19identity_decomposerEEEEEvT0_T1_jPSH_T2_SH_.numbered_sgpr, 7
	.set _ZN7rocprim17ROCPRIM_304000_NS6detail45device_block_merge_mergepath_partition_kernelINS1_37wrapped_merge_sort_block_merge_configINS0_14default_configEiN2at4cuda3cub6detail10OpaqueTypeILi8EEEEEPijNS1_19radix_merge_compareILb0ELb0EiNS0_19identity_decomposerEEEEEvT0_T1_jPSH_T2_SH_.num_named_barrier, 0
	.set _ZN7rocprim17ROCPRIM_304000_NS6detail45device_block_merge_mergepath_partition_kernelINS1_37wrapped_merge_sort_block_merge_configINS0_14default_configEiN2at4cuda3cub6detail10OpaqueTypeILi8EEEEEPijNS1_19radix_merge_compareILb0ELb0EiNS0_19identity_decomposerEEEEEvT0_T1_jPSH_T2_SH_.private_seg_size, 0
	.set _ZN7rocprim17ROCPRIM_304000_NS6detail45device_block_merge_mergepath_partition_kernelINS1_37wrapped_merge_sort_block_merge_configINS0_14default_configEiN2at4cuda3cub6detail10OpaqueTypeILi8EEEEEPijNS1_19radix_merge_compareILb0ELb0EiNS0_19identity_decomposerEEEEEvT0_T1_jPSH_T2_SH_.uses_vcc, 1
	.set _ZN7rocprim17ROCPRIM_304000_NS6detail45device_block_merge_mergepath_partition_kernelINS1_37wrapped_merge_sort_block_merge_configINS0_14default_configEiN2at4cuda3cub6detail10OpaqueTypeILi8EEEEEPijNS1_19radix_merge_compareILb0ELb0EiNS0_19identity_decomposerEEEEEvT0_T1_jPSH_T2_SH_.uses_flat_scratch, 0
	.set _ZN7rocprim17ROCPRIM_304000_NS6detail45device_block_merge_mergepath_partition_kernelINS1_37wrapped_merge_sort_block_merge_configINS0_14default_configEiN2at4cuda3cub6detail10OpaqueTypeILi8EEEEEPijNS1_19radix_merge_compareILb0ELb0EiNS0_19identity_decomposerEEEEEvT0_T1_jPSH_T2_SH_.has_dyn_sized_stack, 0
	.set _ZN7rocprim17ROCPRIM_304000_NS6detail45device_block_merge_mergepath_partition_kernelINS1_37wrapped_merge_sort_block_merge_configINS0_14default_configEiN2at4cuda3cub6detail10OpaqueTypeILi8EEEEEPijNS1_19radix_merge_compareILb0ELb0EiNS0_19identity_decomposerEEEEEvT0_T1_jPSH_T2_SH_.has_recursion, 0
	.set _ZN7rocprim17ROCPRIM_304000_NS6detail45device_block_merge_mergepath_partition_kernelINS1_37wrapped_merge_sort_block_merge_configINS0_14default_configEiN2at4cuda3cub6detail10OpaqueTypeILi8EEEEEPijNS1_19radix_merge_compareILb0ELb0EiNS0_19identity_decomposerEEEEEvT0_T1_jPSH_T2_SH_.has_indirect_call, 0
	.section	.AMDGPU.csdata,"",@progbits
; Kernel info:
; codeLenInByte = 364
; TotalNumSgprs: 11
; NumVgprs: 17
; ScratchSize: 0
; MemoryBound: 0
; FloatMode: 240
; IeeeMode: 1
; LDSByteSize: 0 bytes/workgroup (compile time only)
; SGPRBlocks: 1
; VGPRBlocks: 4
; NumSGPRsForWavesPerEU: 11
; NumVGPRsForWavesPerEU: 17
; Occupancy: 10
; WaveLimiterHint : 0
; COMPUTE_PGM_RSRC2:SCRATCH_EN: 0
; COMPUTE_PGM_RSRC2:USER_SGPR: 6
; COMPUTE_PGM_RSRC2:TRAP_HANDLER: 0
; COMPUTE_PGM_RSRC2:TGID_X_EN: 1
; COMPUTE_PGM_RSRC2:TGID_Y_EN: 0
; COMPUTE_PGM_RSRC2:TGID_Z_EN: 0
; COMPUTE_PGM_RSRC2:TIDIG_COMP_CNT: 0
	.section	.text._ZN7rocprim17ROCPRIM_304000_NS6detail35device_block_merge_mergepath_kernelINS1_37wrapped_merge_sort_block_merge_configINS0_14default_configEiN2at4cuda3cub6detail10OpaqueTypeILi8EEEEEPiSC_PSA_SD_jNS1_19radix_merge_compareILb0ELb0EiNS0_19identity_decomposerEEEEEvT0_T1_T2_T3_T4_SL_jT5_PKSL_NS1_7vsmem_tE,"axG",@progbits,_ZN7rocprim17ROCPRIM_304000_NS6detail35device_block_merge_mergepath_kernelINS1_37wrapped_merge_sort_block_merge_configINS0_14default_configEiN2at4cuda3cub6detail10OpaqueTypeILi8EEEEEPiSC_PSA_SD_jNS1_19radix_merge_compareILb0ELb0EiNS0_19identity_decomposerEEEEEvT0_T1_T2_T3_T4_SL_jT5_PKSL_NS1_7vsmem_tE,comdat
	.protected	_ZN7rocprim17ROCPRIM_304000_NS6detail35device_block_merge_mergepath_kernelINS1_37wrapped_merge_sort_block_merge_configINS0_14default_configEiN2at4cuda3cub6detail10OpaqueTypeILi8EEEEEPiSC_PSA_SD_jNS1_19radix_merge_compareILb0ELb0EiNS0_19identity_decomposerEEEEEvT0_T1_T2_T3_T4_SL_jT5_PKSL_NS1_7vsmem_tE ; -- Begin function _ZN7rocprim17ROCPRIM_304000_NS6detail35device_block_merge_mergepath_kernelINS1_37wrapped_merge_sort_block_merge_configINS0_14default_configEiN2at4cuda3cub6detail10OpaqueTypeILi8EEEEEPiSC_PSA_SD_jNS1_19radix_merge_compareILb0ELb0EiNS0_19identity_decomposerEEEEEvT0_T1_T2_T3_T4_SL_jT5_PKSL_NS1_7vsmem_tE
	.globl	_ZN7rocprim17ROCPRIM_304000_NS6detail35device_block_merge_mergepath_kernelINS1_37wrapped_merge_sort_block_merge_configINS0_14default_configEiN2at4cuda3cub6detail10OpaqueTypeILi8EEEEEPiSC_PSA_SD_jNS1_19radix_merge_compareILb0ELb0EiNS0_19identity_decomposerEEEEEvT0_T1_T2_T3_T4_SL_jT5_PKSL_NS1_7vsmem_tE
	.p2align	8
	.type	_ZN7rocprim17ROCPRIM_304000_NS6detail35device_block_merge_mergepath_kernelINS1_37wrapped_merge_sort_block_merge_configINS0_14default_configEiN2at4cuda3cub6detail10OpaqueTypeILi8EEEEEPiSC_PSA_SD_jNS1_19radix_merge_compareILb0ELb0EiNS0_19identity_decomposerEEEEEvT0_T1_T2_T3_T4_SL_jT5_PKSL_NS1_7vsmem_tE,@function
_ZN7rocprim17ROCPRIM_304000_NS6detail35device_block_merge_mergepath_kernelINS1_37wrapped_merge_sort_block_merge_configINS0_14default_configEiN2at4cuda3cub6detail10OpaqueTypeILi8EEEEEPiSC_PSA_SD_jNS1_19radix_merge_compareILb0ELb0EiNS0_19identity_decomposerEEEEEvT0_T1_T2_T3_T4_SL_jT5_PKSL_NS1_7vsmem_tE: ; @_ZN7rocprim17ROCPRIM_304000_NS6detail35device_block_merge_mergepath_kernelINS1_37wrapped_merge_sort_block_merge_configINS0_14default_configEiN2at4cuda3cub6detail10OpaqueTypeILi8EEEEEPiSC_PSA_SD_jNS1_19radix_merge_compareILb0ELb0EiNS0_19identity_decomposerEEEEEvT0_T1_T2_T3_T4_SL_jT5_PKSL_NS1_7vsmem_tE
; %bb.0:
	s_load_dwordx2 s[26:27], s[4:5], 0x40
	s_load_dwordx4 s[16:19], s[4:5], 0x20
	s_add_u32 s2, s4, 64
	s_addc_u32 s3, s5, 0
	s_waitcnt lgkmcnt(0)
	s_mul_i32 s0, s27, s8
	s_add_i32 s0, s0, s7
	s_mul_i32 s0, s0, s26
	s_add_i32 s0, s0, s6
	s_cmp_ge_u32 s0, s18
	s_cbranch_scc1 .LBB90_69
; %bb.1:
	s_load_dwordx8 s[8:15], s[4:5], 0x0
	s_load_dwordx2 s[18:19], s[4:5], 0x30
	s_lshr_b32 s27, s16, 9
	s_cmp_lg_u32 s0, s27
	s_mov_b32 s1, 0
	s_cselect_b64 s[20:21], -1, 0
	s_lshl_b64 s[4:5], s[0:1], 2
	s_waitcnt lgkmcnt(0)
	s_add_u32 s4, s18, s4
	s_addc_u32 s5, s19, s5
	s_load_dwordx2 s[22:23], s[4:5], 0x0
	s_lshr_b32 s4, s17, 8
	s_and_b32 s4, s4, 0xfffffe
	s_sub_i32 s4, 0, s4
	s_and_b32 s5, s0, s4
	s_lshl_b32 s7, s5, 9
	s_lshl_b32 s18, s0, 9
	;; [unrolled: 1-line block ×3, first 2 shown]
	s_sub_i32 s19, s18, s7
	s_add_i32 s5, s5, s17
	s_add_i32 s19, s5, s19
	s_waitcnt lgkmcnt(0)
	s_sub_i32 s24, s19, s22
	s_sub_i32 s19, s19, s23
	;; [unrolled: 1-line block ×3, first 2 shown]
	s_min_u32 s24, s16, s24
	s_addk_i32 s19, 0x200
	s_or_b32 s4, s0, s4
	s_min_u32 s7, s16, s5
	s_add_i32 s5, s5, s17
	s_cmp_eq_u32 s4, -1
	s_cselect_b32 s4, s5, s19
	s_cselect_b32 s5, s7, s23
	s_min_u32 s4, s4, s16
	s_mov_b32 s23, s1
	s_sub_i32 s19, s5, s22
	s_sub_i32 s28, s4, s24
	s_lshl_b64 s[30:31], s[22:23], 2
	s_add_u32 s5, s8, s30
	s_mov_b32 s25, s1
	s_addc_u32 s7, s9, s31
	s_lshl_b64 s[30:31], s[24:25], 2
	s_add_u32 s4, s8, s30
	v_mov_b32_e32 v6, 0
	global_load_dword v1, v6, s[2:3] offset:14
	s_addc_u32 s8, s9, s31
	s_cmp_lt_u32 s6, s26
	s_cselect_b32 s1, 12, 18
	s_add_u32 s2, s2, s1
	s_addc_u32 s3, s3, 0
	global_load_ushort v2, v6, s[2:3]
	s_cmp_eq_u32 s0, s27
	v_cmp_gt_u32_e32 vcc, s19, v0
	v_lshlrev_b32_e32 v9, 2, v0
	s_waitcnt vmcnt(1)
	v_lshrrev_b32_e32 v3, 16, v1
	v_and_b32_e32 v1, 0xffff, v1
	v_mul_lo_u32 v1, v1, v3
	s_waitcnt vmcnt(0)
	v_mul_lo_u32 v7, v1, v2
	v_add_u32_e32 v5, v7, v0
	s_cbranch_scc1 .LBB90_3
; %bb.2:
	v_mov_b32_e32 v1, s7
	v_add_co_u32_e64 v3, s[0:1], s5, v9
	v_subrev_u32_e32 v2, s19, v0
	v_addc_co_u32_e64 v1, s[0:1], 0, v1, s[0:1]
	v_lshlrev_b32_e32 v2, 2, v2
	v_mov_b32_e32 v4, s8
	v_add_co_u32_e64 v8, s[0:1], s4, v2
	v_addc_co_u32_e64 v2, s[0:1], 0, v4, s[0:1]
	v_cndmask_b32_e32 v2, v2, v1, vcc
	v_cndmask_b32_e32 v1, v8, v3, vcc
	global_load_dword v1, v[1:2], off
	v_lshlrev_b64 v[2:3], 2, v[5:6]
	v_mov_b32_e32 v4, s7
	v_add_co_u32_e32 v8, vcc, s5, v2
	v_addc_co_u32_e32 v4, vcc, v4, v3, vcc
	v_subrev_co_u32_e32 v2, vcc, s19, v5
	v_mov_b32_e32 v3, v6
	v_lshlrev_b64 v[2:3], 2, v[2:3]
	v_mov_b32_e32 v10, s8
	v_add_co_u32_e64 v2, s[0:1], s4, v2
	v_addc_co_u32_e64 v3, s[0:1], v10, v3, s[0:1]
	v_cndmask_b32_e32 v3, v3, v4, vcc
	v_cndmask_b32_e32 v2, v2, v8, vcc
	v_add_u32_e32 v10, v5, v7
	v_mov_b32_e32 v11, v6
	global_load_dword v2, v[2:3], off
	v_lshlrev_b64 v[3:4], 2, v[10:11]
	v_mov_b32_e32 v8, s7
	v_add_co_u32_e32 v11, vcc, s5, v3
	v_addc_co_u32_e32 v8, vcc, v8, v4, vcc
	v_subrev_co_u32_e32 v3, vcc, s19, v10
	v_mov_b32_e32 v4, v6
	v_lshlrev_b64 v[3:4], 2, v[3:4]
	v_mov_b32_e32 v12, s8
	v_add_co_u32_e64 v3, s[0:1], s4, v3
	v_cndmask_b32_e32 v3, v3, v11, vcc
	v_add_u32_e32 v10, v10, v7
	v_mov_b32_e32 v11, v6
	v_addc_co_u32_e64 v4, s[0:1], v12, v4, s[0:1]
	v_lshlrev_b64 v[11:12], 2, v[10:11]
	v_cndmask_b32_e32 v4, v4, v8, vcc
	global_load_dword v3, v[3:4], off
	v_mov_b32_e32 v4, s7
	v_add_co_u32_e32 v8, vcc, s5, v11
	v_addc_co_u32_e32 v4, vcc, v4, v12, vcc
	v_subrev_co_u32_e32 v10, vcc, s19, v10
	v_mov_b32_e32 v11, v6
	v_lshlrev_b64 v[10:11], 2, v[10:11]
	v_mov_b32_e32 v6, s8
	v_add_co_u32_e64 v10, s[0:1], s4, v10
	v_addc_co_u32_e64 v6, s[0:1], v6, v11, s[0:1]
	v_cndmask_b32_e32 v11, v6, v4, vcc
	v_cndmask_b32_e32 v10, v10, v8, vcc
	global_load_dword v4, v[10:11], off
	s_add_i32 s17, s28, s19
	s_cbranch_execz .LBB90_4
	s_branch .LBB90_13
.LBB90_3:
                                        ; implicit-def: $vgpr1_vgpr2_vgpr3_vgpr4
                                        ; implicit-def: $sgpr17
.LBB90_4:
	s_add_i32 s17, s28, s19
	s_waitcnt vmcnt(3)
	v_mov_b32_e32 v1, 0
	v_cmp_gt_u32_e32 vcc, s17, v0
	s_waitcnt vmcnt(2)
	v_mov_b32_e32 v2, v1
	s_waitcnt vmcnt(1)
	v_mov_b32_e32 v3, v1
	;; [unrolled: 2-line block ×3, first 2 shown]
	s_and_saveexec_b64 s[0:1], vcc
	s_cbranch_execz .LBB90_6
; %bb.5:
	v_mov_b32_e32 v2, s7
	v_add_co_u32_e32 v4, vcc, s5, v9
	v_subrev_u32_e32 v3, s19, v0
	v_addc_co_u32_e32 v2, vcc, 0, v2, vcc
	v_lshlrev_b32_e32 v3, 2, v3
	v_mov_b32_e32 v6, s8
	v_add_co_u32_e32 v8, vcc, s4, v3
	v_addc_co_u32_e32 v3, vcc, 0, v6, vcc
	v_cmp_gt_u32_e32 vcc, s19, v0
	v_cndmask_b32_e32 v3, v3, v2, vcc
	v_cndmask_b32_e32 v2, v8, v4, vcc
	global_load_dword v10, v[2:3], off
	v_mov_b32_e32 v11, v1
	v_mov_b32_e32 v12, v1
	;; [unrolled: 1-line block ×3, first 2 shown]
	s_waitcnt vmcnt(0)
	v_mov_b32_e32 v1, v10
	v_mov_b32_e32 v2, v11
	;; [unrolled: 1-line block ×4, first 2 shown]
.LBB90_6:
	s_or_b64 exec, exec, s[0:1]
	v_cmp_gt_u32_e32 vcc, s17, v5
	s_and_saveexec_b64 s[2:3], vcc
	s_cbranch_execz .LBB90_8
; %bb.7:
	v_mov_b32_e32 v6, 0
	v_lshlrev_b64 v[10:11], 2, v[5:6]
	v_mov_b32_e32 v2, s7
	v_add_co_u32_e32 v8, vcc, s5, v10
	v_addc_co_u32_e32 v2, vcc, v2, v11, vcc
	v_subrev_co_u32_e32 v10, vcc, s19, v5
	v_mov_b32_e32 v11, v6
	v_lshlrev_b64 v[10:11], 2, v[10:11]
	v_mov_b32_e32 v6, s8
	v_add_co_u32_e64 v10, s[0:1], s4, v10
	v_addc_co_u32_e64 v6, s[0:1], v6, v11, s[0:1]
	v_cndmask_b32_e32 v11, v6, v2, vcc
	v_cndmask_b32_e32 v10, v10, v8, vcc
	global_load_dword v2, v[10:11], off
.LBB90_8:
	s_or_b64 exec, exec, s[2:3]
	v_add_u32_e32 v5, v5, v7
	v_cmp_gt_u32_e32 vcc, s17, v5
	s_and_saveexec_b64 s[2:3], vcc
	s_cbranch_execz .LBB90_10
; %bb.9:
	v_mov_b32_e32 v6, 0
	v_lshlrev_b64 v[10:11], 2, v[5:6]
	v_mov_b32_e32 v3, s7
	v_add_co_u32_e32 v8, vcc, s5, v10
	v_addc_co_u32_e32 v3, vcc, v3, v11, vcc
	v_subrev_co_u32_e32 v10, vcc, s19, v5
	v_mov_b32_e32 v11, v6
	v_lshlrev_b64 v[10:11], 2, v[10:11]
	v_mov_b32_e32 v6, s8
	v_add_co_u32_e64 v10, s[0:1], s4, v10
	v_addc_co_u32_e64 v6, s[0:1], v6, v11, s[0:1]
	v_cndmask_b32_e32 v11, v6, v3, vcc
	v_cndmask_b32_e32 v10, v10, v8, vcc
	global_load_dword v3, v[10:11], off
.LBB90_10:
	s_or_b64 exec, exec, s[2:3]
	v_add_u32_e32 v5, v5, v7
	v_cmp_gt_u32_e32 vcc, s17, v5
	s_and_saveexec_b64 s[2:3], vcc
	s_cbranch_execz .LBB90_12
; %bb.11:
	v_mov_b32_e32 v6, 0
	v_lshlrev_b64 v[7:8], 2, v[5:6]
	v_mov_b32_e32 v4, s7
	v_add_co_u32_e32 v7, vcc, s5, v7
	v_addc_co_u32_e32 v8, vcc, v4, v8, vcc
	v_subrev_co_u32_e32 v5, vcc, s19, v5
	v_lshlrev_b64 v[4:5], 2, v[5:6]
	v_mov_b32_e32 v6, s8
	v_add_co_u32_e64 v4, s[0:1], s4, v4
	v_addc_co_u32_e64 v5, s[0:1], v6, v5, s[0:1]
	v_cndmask_b32_e32 v5, v5, v8, vcc
	v_cndmask_b32_e32 v4, v4, v7, vcc
	global_load_dword v4, v[4:5], off
.LBB90_12:
	s_or_b64 exec, exec, s[2:3]
.LBB90_13:
	v_min_u32_e32 v6, s17, v9
	v_sub_u32_e64 v5, v6, s28 clamp
	v_min_u32_e32 v7, s19, v6
	v_cmp_lt_u32_e32 vcc, v5, v7
	s_waitcnt vmcnt(0)
	ds_write2st64_b32 v9, v1, v2 offset1:2
	ds_write2st64_b32 v9, v3, v4 offset0:4 offset1:6
	s_waitcnt lgkmcnt(0)
	s_barrier
	s_and_saveexec_b64 s[0:1], vcc
	s_cbranch_execz .LBB90_17
; %bb.14:
	v_lshlrev_b32_e32 v8, 2, v6
	v_lshl_add_u32 v8, s19, 2, v8
	s_mov_b64 s[2:3], 0
.LBB90_15:                              ; =>This Inner Loop Header: Depth=1
	v_add_u32_e32 v10, v7, v5
	v_lshrrev_b32_e32 v10, 1, v10
	v_not_b32_e32 v11, v10
	v_lshlrev_b32_e32 v12, 2, v10
	v_lshl_add_u32 v11, v11, 2, v8
	ds_read_b32 v12, v12
	ds_read_b32 v11, v11
	v_add_u32_e32 v13, 1, v10
	s_waitcnt lgkmcnt(0)
	v_cmp_gt_i32_e32 vcc, v12, v11
	v_cndmask_b32_e32 v7, v7, v10, vcc
	v_cndmask_b32_e32 v5, v13, v5, vcc
	v_cmp_ge_u32_e32 vcc, v5, v7
	s_or_b64 s[2:3], vcc, s[2:3]
	s_andn2_b64 exec, exec, s[2:3]
	s_cbranch_execnz .LBB90_15
; %bb.16:
	s_or_b64 exec, exec, s[2:3]
.LBB90_17:
	s_or_b64 exec, exec, s[0:1]
	v_sub_u32_e32 v6, v6, v5
	v_add_u32_e32 v6, s19, v6
	v_cmp_ge_u32_e32 vcc, s19, v5
	v_cmp_ge_u32_e64 s[0:1], s17, v6
	s_or_b64 s[0:1], vcc, s[0:1]
	v_mov_b32_e32 v10, 0
	v_mov_b32_e32 v11, 0
	;; [unrolled: 1-line block ×4, first 2 shown]
	s_and_saveexec_b64 s[8:9], s[0:1]
	s_cbranch_execz .LBB90_23
; %bb.18:
	v_cmp_gt_u32_e32 vcc, s19, v5
                                        ; implicit-def: $vgpr1
	s_and_saveexec_b64 s[0:1], vcc
; %bb.19:
	v_lshlrev_b32_e32 v1, 2, v5
	ds_read_b32 v1, v1
; %bb.20:
	s_or_b64 exec, exec, s[0:1]
	v_cmp_le_u32_e64 s[0:1], s17, v6
	v_cmp_gt_u32_e64 s[2:3], s17, v6
                                        ; implicit-def: $vgpr2
	s_and_saveexec_b64 s[4:5], s[2:3]
; %bb.21:
	v_lshlrev_b32_e32 v2, 2, v6
	ds_read_b32 v2, v2
; %bb.22:
	s_or_b64 exec, exec, s[4:5]
	s_waitcnt lgkmcnt(0)
	v_cmp_le_i32_e64 s[2:3], v1, v2
	s_and_b64 s[2:3], vcc, s[2:3]
	s_or_b64 vcc, s[0:1], s[2:3]
	v_mov_b32_e32 v3, s17
	v_mov_b32_e32 v4, s19
	v_cndmask_b32_e32 v13, v6, v5, vcc
	v_cndmask_b32_e32 v7, v3, v4, vcc
	v_add_u32_e32 v8, 1, v13
	v_add_u32_e32 v7, -1, v7
	v_min_u32_e32 v7, v8, v7
	v_lshlrev_b32_e32 v7, 2, v7
	ds_read_b32 v7, v7
	v_cndmask_b32_e32 v5, v5, v8, vcc
	v_cndmask_b32_e32 v6, v8, v6, vcc
	v_cmp_gt_u32_e64 s[2:3], s19, v5
	v_cmp_le_u32_e64 s[0:1], s17, v6
	s_waitcnt lgkmcnt(0)
	v_cndmask_b32_e32 v10, v7, v2, vcc
	v_cndmask_b32_e32 v7, v1, v7, vcc
	v_cmp_le_i32_e64 s[4:5], v7, v10
	s_and_b64 s[2:3], s[2:3], s[4:5]
	s_or_b64 s[0:1], s[0:1], s[2:3]
	v_cndmask_b32_e64 v12, v6, v5, s[0:1]
	v_cndmask_b32_e64 v8, v3, v4, s[0:1]
	v_add_u32_e32 v11, 1, v12
	v_add_u32_e32 v8, -1, v8
	v_min_u32_e32 v8, v11, v8
	v_lshlrev_b32_e32 v8, 2, v8
	ds_read_b32 v8, v8
	v_cndmask_b32_e64 v5, v5, v11, s[0:1]
	v_cndmask_b32_e64 v6, v11, v6, s[0:1]
	v_cmp_gt_u32_e64 s[4:5], s19, v5
	v_cmp_le_u32_e64 s[2:3], s17, v6
	s_waitcnt lgkmcnt(0)
	v_cndmask_b32_e64 v14, v8, v10, s[0:1]
	v_cndmask_b32_e64 v8, v7, v8, s[0:1]
	v_cmp_le_i32_e64 s[6:7], v8, v14
	s_and_b64 s[4:5], s[4:5], s[6:7]
	s_or_b64 s[2:3], s[2:3], s[4:5]
	v_cndmask_b32_e64 v11, v6, v5, s[2:3]
	v_cndmask_b32_e64 v3, v3, v4, s[2:3]
	v_add_u32_e32 v4, 1, v11
	v_add_u32_e32 v3, -1, v3
	v_min_u32_e32 v3, v4, v3
	v_lshlrev_b32_e32 v3, 2, v3
	ds_read_b32 v15, v3
	v_cndmask_b32_e32 v1, v2, v1, vcc
	v_cndmask_b32_e64 v2, v10, v7, s[0:1]
	v_cndmask_b32_e64 v3, v14, v8, s[2:3]
	v_cndmask_b32_e64 v6, v4, v6, s[2:3]
	s_waitcnt lgkmcnt(0)
	v_cndmask_b32_e64 v7, v15, v14, s[2:3]
	v_cndmask_b32_e64 v8, v8, v15, s[2:3]
	;; [unrolled: 1-line block ×3, first 2 shown]
	v_cmp_gt_u32_e64 s[0:1], s19, v4
	v_cmp_le_i32_e64 s[2:3], v8, v7
	v_cmp_le_u32_e32 vcc, s17, v6
	s_and_b64 s[0:1], s[0:1], s[2:3]
	s_or_b64 vcc, vcc, s[0:1]
	v_cndmask_b32_e32 v10, v6, v4, vcc
	v_cndmask_b32_e32 v4, v7, v8, vcc
.LBB90_23:
	s_or_b64 exec, exec, s[8:9]
	s_lshl_b64 s[0:1], s[22:23], 3
	s_add_u32 s8, s12, s0
	s_addc_u32 s9, s13, s1
	s_lshl_b64 s[0:1], s[24:25], 3
	s_add_u32 s6, s12, s0
	v_cndmask_b32_e64 v5, 0, 1, s[20:21]
	s_addc_u32 s7, s13, s1
	v_cmp_gt_u32_e64 s[4:5], s19, v0
	v_cmp_ne_u32_e64 s[0:1], 1, v5
	s_andn2_b64 vcc, exec, s[20:21]
	v_cmp_le_u32_e64 s[2:3], s19, v0
	s_barrier
	s_cbranch_vccnz .LBB90_25
; %bb.24:
	v_lshlrev_b32_e32 v8, 3, v0
	v_mov_b32_e32 v5, s9
	v_add_co_u32_e32 v7, vcc, s8, v8
	v_subrev_u32_e32 v6, s19, v0
	v_addc_co_u32_e32 v5, vcc, 0, v5, vcc
	v_lshlrev_b32_e32 v6, 3, v6
	v_mov_b32_e32 v14, s7
	v_add_co_u32_e32 v15, vcc, s6, v6
	v_addc_co_u32_e32 v6, vcc, 0, v14, vcc
	v_cndmask_b32_e64 v6, v6, v5, s[4:5]
	v_cndmask_b32_e64 v5, v15, v7, s[4:5]
	global_load_dwordx2 v[15:16], v[5:6], off
	v_or_b32_e32 v5, 0x80, v0
	v_subrev_u32_e32 v6, s19, v5
	v_min_u32_e32 v6, v5, v6
	v_cmp_gt_u32_e32 vcc, s19, v5
	v_mov_b32_e32 v22, s6
	v_mov_b32_e32 v23, s8
	;; [unrolled: 1-line block ×4, first 2 shown]
	v_cndmask_b32_e32 v5, v22, v23, vcc
	v_lshlrev_b32_e32 v6, 3, v6
	v_cndmask_b32_e32 v14, v7, v21, vcc
	v_add_co_u32_e32 v5, vcc, v5, v6
	v_addc_co_u32_e32 v6, vcc, 0, v14, vcc
	global_load_dwordx2 v[17:18], v[5:6], off
	v_or_b32_e32 v5, 0x100, v0
	v_subrev_u32_e32 v6, s19, v5
	v_min_u32_e32 v6, v5, v6
	v_cmp_gt_u32_e32 vcc, s19, v5
	v_cndmask_b32_e32 v5, v22, v23, vcc
	v_lshlrev_b32_e32 v6, 3, v6
	v_cndmask_b32_e32 v14, v7, v21, vcc
	v_add_co_u32_e32 v5, vcc, v5, v6
	v_addc_co_u32_e32 v6, vcc, 0, v14, vcc
	global_load_dwordx2 v[19:20], v[5:6], off
	v_or_b32_e32 v14, 0x180, v0
	v_subrev_u32_e32 v5, s19, v14
	v_cmp_gt_u32_e32 vcc, s19, v14
	v_cndmask_b32_e32 v6, v7, v21, vcc
	v_min_u32_e32 v7, v14, v5
	v_cndmask_b32_e32 v5, v22, v23, vcc
	s_mov_b64 s[4:5], -1
	s_waitcnt vmcnt(1)
	ds_write2st64_b64 v8, v[15:16], v[17:18] offset1:2
	s_waitcnt vmcnt(0)
	ds_write_b64 v8, v[19:20] offset:2048
	s_cbranch_execz .LBB90_26
	s_branch .LBB90_43
.LBB90_25:
	s_mov_b64 s[4:5], 0
                                        ; implicit-def: $vgpr14
                                        ; implicit-def: $vgpr5_vgpr6
                                        ; implicit-def: $vgpr7
.LBB90_26:
	s_and_saveexec_b64 s[4:5], s[2:3]
	s_xor_b64 s[2:3], exec, s[4:5]
	s_cbranch_execz .LBB90_30
; %bb.27:
	v_subrev_u32_e32 v5, s19, v0
	v_cmp_gt_u32_e32 vcc, s28, v5
	s_and_saveexec_b64 s[4:5], vcc
	s_cbranch_execz .LBB90_29
; %bb.28:
	v_lshlrev_b32_e32 v5, 3, v5
	global_load_dwordx2 v[5:6], v5, s[6:7]
	v_add_u32_e32 v7, v9, v9
	s_waitcnt vmcnt(0)
	ds_write_b64 v7, v[5:6]
.LBB90_29:
	s_or_b64 exec, exec, s[4:5]
.LBB90_30:
	s_or_saveexec_b64 s[2:3], s[2:3]
	v_add_u32_e32 v7, v9, v9
	s_xor_b64 exec, exec, s[2:3]
	s_cbranch_execz .LBB90_32
; %bb.31:
	v_lshlrev_b32_e32 v5, 3, v0
	global_load_dwordx2 v[5:6], v5, s[8:9]
	s_waitcnt vmcnt(0)
	ds_write_b64 v7, v[5:6]
.LBB90_32:
	s_or_b64 exec, exec, s[2:3]
	v_or_b32_e32 v8, 0x80, v0
	v_mov_b32_e32 v5, s22
	v_cmp_le_u32_e32 vcc, s19, v8
	s_mov_b64 s[2:3], -1
	v_mov_b32_e32 v6, s23
	s_and_saveexec_b64 s[4:5], vcc
; %bb.33:
	v_subrev_u32_e32 v8, s19, v8
	v_cmp_gt_u32_e32 vcc, s28, v8
	v_mov_b32_e32 v5, s24
	v_mov_b32_e32 v6, s25
	s_orn2_b64 s[2:3], vcc, exec
; %bb.34:
	s_or_b64 exec, exec, s[4:5]
	s_and_saveexec_b64 s[4:5], s[2:3]
	s_cbranch_execz .LBB90_36
; %bb.35:
	v_lshlrev_b64 v[5:6], 3, v[5:6]
	v_mov_b32_e32 v14, s13
	v_add_co_u32_e32 v5, vcc, s12, v5
	v_addc_co_u32_e32 v6, vcc, v14, v6, vcc
	v_lshlrev_b32_e32 v8, 3, v8
	v_add_co_u32_e32 v5, vcc, v5, v8
	v_addc_co_u32_e32 v6, vcc, 0, v6, vcc
	global_load_dwordx2 v[5:6], v[5:6], off
	s_waitcnt vmcnt(0)
	ds_write_b64 v7, v[5:6] offset:1024
.LBB90_36:
	s_or_b64 exec, exec, s[4:5]
	v_or_b32_e32 v8, 0x100, v0
	v_mov_b32_e32 v5, s22
	v_cmp_le_u32_e32 vcc, s19, v8
	s_mov_b64 s[2:3], -1
	v_mov_b32_e32 v6, s23
	s_and_saveexec_b64 s[4:5], vcc
; %bb.37:
	v_subrev_u32_e32 v8, s19, v8
	v_cmp_gt_u32_e32 vcc, s28, v8
	v_mov_b32_e32 v5, s24
	v_mov_b32_e32 v6, s25
	s_orn2_b64 s[2:3], vcc, exec
; %bb.38:
	s_or_b64 exec, exec, s[4:5]
	s_and_saveexec_b64 s[4:5], s[2:3]
	s_cbranch_execz .LBB90_40
; %bb.39:
	v_lshlrev_b64 v[5:6], 3, v[5:6]
	v_mov_b32_e32 v14, s13
	v_add_co_u32_e32 v5, vcc, s12, v5
	v_addc_co_u32_e32 v6, vcc, v14, v6, vcc
	v_lshlrev_b32_e32 v8, 3, v8
	v_add_co_u32_e32 v5, vcc, v5, v8
	v_addc_co_u32_e32 v6, vcc, 0, v6, vcc
	global_load_dwordx2 v[5:6], v[5:6], off
	s_waitcnt vmcnt(0)
	ds_write_b64 v7, v[5:6] offset:2048
.LBB90_40:
	s_or_b64 exec, exec, s[4:5]
	v_or_b32_e32 v14, 0x180, v0
	v_mov_b32_e32 v5, s8
	v_cmp_le_u32_e32 vcc, s19, v14
	s_mov_b64 s[4:5], -1
	v_mov_b32_e32 v6, s9
	v_mov_b32_e32 v7, v14
	s_and_saveexec_b64 s[2:3], vcc
; %bb.41:
	v_subrev_u32_e32 v7, s19, v14
	v_cmp_gt_u32_e32 vcc, s28, v7
	v_mov_b32_e32 v5, s6
	v_mov_b32_e32 v6, s7
	s_orn2_b64 s[4:5], vcc, exec
; %bb.42:
	s_or_b64 exec, exec, s[2:3]
.LBB90_43:
	s_and_saveexec_b64 s[2:3], s[4:5]
	s_cbranch_execz .LBB90_45
; %bb.44:
	v_mov_b32_e32 v8, 0
	v_lshlrev_b64 v[7:8], 3, v[7:8]
	v_add_co_u32_e32 v5, vcc, v5, v7
	v_addc_co_u32_e32 v6, vcc, v6, v8, vcc
	global_load_dwordx2 v[5:6], v[5:6], off
	v_lshlrev_b32_e32 v7, 3, v14
	s_waitcnt vmcnt(0)
	ds_write_b64 v7, v[5:6]
.LBB90_45:
	s_or_b64 exec, exec, s[2:3]
	s_and_b64 vcc, exec, s[0:1]
	v_add_u32_e32 v5, s18, v9
	s_waitcnt lgkmcnt(0)
	s_barrier
	s_cbranch_vccnz .LBB90_47
; %bb.46:
	v_lshlrev_b32_e32 v14, 3, v13
	v_lshlrev_b32_e32 v16, 3, v12
	;; [unrolled: 1-line block ×3, first 2 shown]
	v_mov_b32_e32 v6, 0
	ds_read_b64 v[14:15], v14
	ds_read_b64 v[16:17], v16
	;; [unrolled: 1-line block ×3, first 2 shown]
	v_lshlrev_b64 v[7:8], 3, v[5:6]
	v_mov_b32_e32 v20, s15
	v_add_co_u32_e32 v7, vcc, s14, v7
	v_addc_co_u32_e32 v8, vcc, v20, v8, vcc
	s_mov_b64 s[0:1], -1
	s_waitcnt lgkmcnt(1)
	global_store_dwordx4 v[7:8], v[14:17], off
	s_waitcnt lgkmcnt(0)
	global_store_dwordx2 v[7:8], v[18:19], off offset:16
	s_cbranch_execz .LBB90_48
	s_branch .LBB90_57
.LBB90_47:
	s_mov_b64 s[0:1], 0
.LBB90_48:
	v_cmp_gt_u32_e32 vcc, s17, v9
	s_and_saveexec_b64 s[2:3], vcc
	s_cbranch_execz .LBB90_50
; %bb.49:
	v_lshlrev_b32_e32 v8, 3, v13
	v_mov_b32_e32 v6, 0
	ds_read_b64 v[13:14], v8
	v_lshlrev_b64 v[6:7], 3, v[5:6]
	v_mov_b32_e32 v15, s15
	v_add_co_u32_e32 v6, vcc, s14, v6
	v_addc_co_u32_e32 v7, vcc, v15, v7, vcc
	s_waitcnt lgkmcnt(0)
	global_store_dwordx2 v[6:7], v[13:14], off
.LBB90_50:
	s_or_b64 exec, exec, s[2:3]
	v_or_b32_e32 v6, 1, v9
	v_cmp_gt_u32_e32 vcc, s17, v6
	s_and_saveexec_b64 s[2:3], vcc
	s_cbranch_execz .LBB90_52
; %bb.51:
	v_lshlrev_b32_e32 v8, 3, v12
	v_mov_b32_e32 v6, 0
	ds_read_b64 v[12:13], v8
	v_lshlrev_b64 v[6:7], 3, v[5:6]
	v_mov_b32_e32 v14, s15
	v_add_co_u32_e32 v6, vcc, s14, v6
	v_addc_co_u32_e32 v7, vcc, v14, v7, vcc
	s_waitcnt lgkmcnt(0)
	global_store_dwordx2 v[6:7], v[12:13], off offset:8
.LBB90_52:
	s_or_b64 exec, exec, s[2:3]
	v_or_b32_e32 v6, 2, v9
	v_cmp_gt_u32_e32 vcc, s17, v6
	s_and_saveexec_b64 s[2:3], vcc
	s_cbranch_execz .LBB90_54
; %bb.53:
	v_lshlrev_b32_e32 v8, 3, v11
	v_mov_b32_e32 v6, 0
	ds_read_b64 v[11:12], v8
	v_lshlrev_b64 v[6:7], 3, v[5:6]
	v_mov_b32_e32 v13, s15
	v_add_co_u32_e32 v6, vcc, s14, v6
	v_addc_co_u32_e32 v7, vcc, v13, v7, vcc
	s_waitcnt lgkmcnt(0)
	global_store_dwordx2 v[6:7], v[11:12], off offset:16
.LBB90_54:
	s_or_b64 exec, exec, s[2:3]
	v_or_b32_e32 v6, 3, v9
	v_cmp_gt_u32_e32 vcc, s17, v6
	s_and_saveexec_b64 s[2:3], vcc
; %bb.55:
	v_mov_b32_e32 v6, 0
	s_or_b64 s[0:1], s[0:1], exec
; %bb.56:
	s_or_b64 exec, exec, s[2:3]
.LBB90_57:
	s_and_saveexec_b64 s[2:3], s[0:1]
	s_cbranch_execz .LBB90_59
; %bb.58:
	v_lshlrev_b32_e32 v7, 3, v10
	ds_read_b64 v[7:8], v7
	v_lshlrev_b64 v[5:6], 3, v[5:6]
	v_mov_b32_e32 v10, s15
	v_add_co_u32_e32 v5, vcc, s14, v5
	v_addc_co_u32_e32 v6, vcc, v10, v6, vcc
	s_waitcnt lgkmcnt(0)
	global_store_dwordx2 v[5:6], v[7:8], off offset:24
.LBB90_59:
	s_or_b64 exec, exec, s[2:3]
	v_lshrrev_b32_e32 v5, 3, v0
	v_lshlrev_b32_e32 v6, 2, v9
	v_lshl_add_u32 v6, v5, 2, v6
	s_waitcnt vmcnt(0)
	s_barrier
	s_barrier
	ds_write2_b32 v6, v1, v2 offset1:1
	ds_write2_b32 v6, v3, v4 offset0:2 offset1:3
	v_and_b32_e32 v1, 12, v5
	v_or_b32_e32 v5, 0x80, v0
	v_add_u32_e32 v7, v1, v9
	v_lshrrev_b32_e32 v1, 3, v5
	v_and_b32_e32 v1, 28, v1
	v_or_b32_e32 v4, 0x100, v0
	s_mov_b32 s19, 0
	v_add_u32_e32 v8, v1, v9
	v_lshrrev_b32_e32 v1, 3, v4
	s_lshl_b64 s[0:1], s[18:19], 2
	v_and_b32_e32 v1, 44, v1
	v_or_b32_e32 v3, 0x180, v0
	s_add_u32 s0, s10, s0
	v_add_u32_e32 v10, v1, v9
	v_lshrrev_b32_e32 v1, 3, v3
	s_addc_u32 s1, s11, s1
	v_and_b32_e32 v1, 60, v1
	v_add_u32_e32 v11, v1, v9
	v_mov_b32_e32 v2, s1
	v_add_co_u32_e32 v1, vcc, s0, v9
	v_addc_co_u32_e32 v2, vcc, 0, v2, vcc
	s_and_b64 vcc, exec, s[20:21]
	s_waitcnt lgkmcnt(0)
	s_cbranch_vccz .LBB90_61
; %bb.60:
	s_barrier
	ds_read_b32 v9, v7
	ds_read_b32 v12, v8 offset:512
	ds_read_b32 v13, v10 offset:1024
	;; [unrolled: 1-line block ×3, first 2 shown]
	s_waitcnt lgkmcnt(3)
	global_store_dword v[1:2], v9, off
	s_waitcnt lgkmcnt(2)
	global_store_dword v[1:2], v12, off offset:512
	s_waitcnt lgkmcnt(1)
	global_store_dword v[1:2], v13, off offset:1024
	s_mov_b64 s[0:1], -1
	s_cbranch_execz .LBB90_62
	s_branch .LBB90_67
.LBB90_61:
	s_mov_b64 s[0:1], 0
                                        ; implicit-def: $vgpr6
.LBB90_62:
	s_waitcnt vmcnt(0) lgkmcnt(0)
	s_barrier
	ds_read_b32 v9, v8 offset:512
	ds_read_b32 v8, v10 offset:1024
	;; [unrolled: 1-line block ×3, first 2 shown]
	s_sub_i32 s2, s16, s18
	v_cmp_gt_u32_e32 vcc, s2, v0
	s_and_saveexec_b64 s[0:1], vcc
	s_cbranch_execnz .LBB90_70
; %bb.63:
	s_or_b64 exec, exec, s[0:1]
	v_cmp_gt_u32_e32 vcc, s2, v5
	s_and_saveexec_b64 s[0:1], vcc
	s_cbranch_execnz .LBB90_71
.LBB90_64:
	s_or_b64 exec, exec, s[0:1]
	v_cmp_gt_u32_e32 vcc, s2, v4
	s_and_saveexec_b64 s[0:1], vcc
	s_cbranch_execz .LBB90_66
.LBB90_65:
	s_waitcnt lgkmcnt(1)
	global_store_dword v[1:2], v8, off offset:1024
.LBB90_66:
	s_or_b64 exec, exec, s[0:1]
	v_cmp_gt_u32_e64 s[0:1], s2, v3
.LBB90_67:
	s_and_saveexec_b64 s[2:3], s[0:1]
	s_cbranch_execz .LBB90_69
; %bb.68:
	s_waitcnt lgkmcnt(0)
	global_store_dword v[1:2], v6, off offset:1536
.LBB90_69:
	s_endpgm
.LBB90_70:
	ds_read_b32 v0, v7
	s_waitcnt lgkmcnt(0)
	global_store_dword v[1:2], v0, off
	s_or_b64 exec, exec, s[0:1]
	v_cmp_gt_u32_e32 vcc, s2, v5
	s_and_saveexec_b64 s[0:1], vcc
	s_cbranch_execz .LBB90_64
.LBB90_71:
	s_waitcnt lgkmcnt(2)
	global_store_dword v[1:2], v9, off offset:512
	s_or_b64 exec, exec, s[0:1]
	v_cmp_gt_u32_e32 vcc, s2, v4
	s_and_saveexec_b64 s[0:1], vcc
	s_cbranch_execnz .LBB90_65
	s_branch .LBB90_66
	.section	.rodata,"a",@progbits
	.p2align	6, 0x0
	.amdhsa_kernel _ZN7rocprim17ROCPRIM_304000_NS6detail35device_block_merge_mergepath_kernelINS1_37wrapped_merge_sort_block_merge_configINS0_14default_configEiN2at4cuda3cub6detail10OpaqueTypeILi8EEEEEPiSC_PSA_SD_jNS1_19radix_merge_compareILb0ELb0EiNS0_19identity_decomposerEEEEEvT0_T1_T2_T3_T4_SL_jT5_PKSL_NS1_7vsmem_tE
		.amdhsa_group_segment_fixed_size 4112
		.amdhsa_private_segment_fixed_size 0
		.amdhsa_kernarg_size 320
		.amdhsa_user_sgpr_count 6
		.amdhsa_user_sgpr_private_segment_buffer 1
		.amdhsa_user_sgpr_dispatch_ptr 0
		.amdhsa_user_sgpr_queue_ptr 0
		.amdhsa_user_sgpr_kernarg_segment_ptr 1
		.amdhsa_user_sgpr_dispatch_id 0
		.amdhsa_user_sgpr_flat_scratch_init 0
		.amdhsa_user_sgpr_private_segment_size 0
		.amdhsa_uses_dynamic_stack 0
		.amdhsa_system_sgpr_private_segment_wavefront_offset 0
		.amdhsa_system_sgpr_workgroup_id_x 1
		.amdhsa_system_sgpr_workgroup_id_y 1
		.amdhsa_system_sgpr_workgroup_id_z 1
		.amdhsa_system_sgpr_workgroup_info 0
		.amdhsa_system_vgpr_workitem_id 0
		.amdhsa_next_free_vgpr 29
		.amdhsa_next_free_sgpr 61
		.amdhsa_reserve_vcc 1
		.amdhsa_reserve_flat_scratch 0
		.amdhsa_float_round_mode_32 0
		.amdhsa_float_round_mode_16_64 0
		.amdhsa_float_denorm_mode_32 3
		.amdhsa_float_denorm_mode_16_64 3
		.amdhsa_dx10_clamp 1
		.amdhsa_ieee_mode 1
		.amdhsa_fp16_overflow 0
		.amdhsa_exception_fp_ieee_invalid_op 0
		.amdhsa_exception_fp_denorm_src 0
		.amdhsa_exception_fp_ieee_div_zero 0
		.amdhsa_exception_fp_ieee_overflow 0
		.amdhsa_exception_fp_ieee_underflow 0
		.amdhsa_exception_fp_ieee_inexact 0
		.amdhsa_exception_int_div_zero 0
	.end_amdhsa_kernel
	.section	.text._ZN7rocprim17ROCPRIM_304000_NS6detail35device_block_merge_mergepath_kernelINS1_37wrapped_merge_sort_block_merge_configINS0_14default_configEiN2at4cuda3cub6detail10OpaqueTypeILi8EEEEEPiSC_PSA_SD_jNS1_19radix_merge_compareILb0ELb0EiNS0_19identity_decomposerEEEEEvT0_T1_T2_T3_T4_SL_jT5_PKSL_NS1_7vsmem_tE,"axG",@progbits,_ZN7rocprim17ROCPRIM_304000_NS6detail35device_block_merge_mergepath_kernelINS1_37wrapped_merge_sort_block_merge_configINS0_14default_configEiN2at4cuda3cub6detail10OpaqueTypeILi8EEEEEPiSC_PSA_SD_jNS1_19radix_merge_compareILb0ELb0EiNS0_19identity_decomposerEEEEEvT0_T1_T2_T3_T4_SL_jT5_PKSL_NS1_7vsmem_tE,comdat
.Lfunc_end90:
	.size	_ZN7rocprim17ROCPRIM_304000_NS6detail35device_block_merge_mergepath_kernelINS1_37wrapped_merge_sort_block_merge_configINS0_14default_configEiN2at4cuda3cub6detail10OpaqueTypeILi8EEEEEPiSC_PSA_SD_jNS1_19radix_merge_compareILb0ELb0EiNS0_19identity_decomposerEEEEEvT0_T1_T2_T3_T4_SL_jT5_PKSL_NS1_7vsmem_tE, .Lfunc_end90-_ZN7rocprim17ROCPRIM_304000_NS6detail35device_block_merge_mergepath_kernelINS1_37wrapped_merge_sort_block_merge_configINS0_14default_configEiN2at4cuda3cub6detail10OpaqueTypeILi8EEEEEPiSC_PSA_SD_jNS1_19radix_merge_compareILb0ELb0EiNS0_19identity_decomposerEEEEEvT0_T1_T2_T3_T4_SL_jT5_PKSL_NS1_7vsmem_tE
                                        ; -- End function
	.set _ZN7rocprim17ROCPRIM_304000_NS6detail35device_block_merge_mergepath_kernelINS1_37wrapped_merge_sort_block_merge_configINS0_14default_configEiN2at4cuda3cub6detail10OpaqueTypeILi8EEEEEPiSC_PSA_SD_jNS1_19radix_merge_compareILb0ELb0EiNS0_19identity_decomposerEEEEEvT0_T1_T2_T3_T4_SL_jT5_PKSL_NS1_7vsmem_tE.num_vgpr, 24
	.set _ZN7rocprim17ROCPRIM_304000_NS6detail35device_block_merge_mergepath_kernelINS1_37wrapped_merge_sort_block_merge_configINS0_14default_configEiN2at4cuda3cub6detail10OpaqueTypeILi8EEEEEPiSC_PSA_SD_jNS1_19radix_merge_compareILb0ELb0EiNS0_19identity_decomposerEEEEEvT0_T1_T2_T3_T4_SL_jT5_PKSL_NS1_7vsmem_tE.num_agpr, 0
	.set _ZN7rocprim17ROCPRIM_304000_NS6detail35device_block_merge_mergepath_kernelINS1_37wrapped_merge_sort_block_merge_configINS0_14default_configEiN2at4cuda3cub6detail10OpaqueTypeILi8EEEEEPiSC_PSA_SD_jNS1_19radix_merge_compareILb0ELb0EiNS0_19identity_decomposerEEEEEvT0_T1_T2_T3_T4_SL_jT5_PKSL_NS1_7vsmem_tE.numbered_sgpr, 32
	.set _ZN7rocprim17ROCPRIM_304000_NS6detail35device_block_merge_mergepath_kernelINS1_37wrapped_merge_sort_block_merge_configINS0_14default_configEiN2at4cuda3cub6detail10OpaqueTypeILi8EEEEEPiSC_PSA_SD_jNS1_19radix_merge_compareILb0ELb0EiNS0_19identity_decomposerEEEEEvT0_T1_T2_T3_T4_SL_jT5_PKSL_NS1_7vsmem_tE.num_named_barrier, 0
	.set _ZN7rocprim17ROCPRIM_304000_NS6detail35device_block_merge_mergepath_kernelINS1_37wrapped_merge_sort_block_merge_configINS0_14default_configEiN2at4cuda3cub6detail10OpaqueTypeILi8EEEEEPiSC_PSA_SD_jNS1_19radix_merge_compareILb0ELb0EiNS0_19identity_decomposerEEEEEvT0_T1_T2_T3_T4_SL_jT5_PKSL_NS1_7vsmem_tE.private_seg_size, 0
	.set _ZN7rocprim17ROCPRIM_304000_NS6detail35device_block_merge_mergepath_kernelINS1_37wrapped_merge_sort_block_merge_configINS0_14default_configEiN2at4cuda3cub6detail10OpaqueTypeILi8EEEEEPiSC_PSA_SD_jNS1_19radix_merge_compareILb0ELb0EiNS0_19identity_decomposerEEEEEvT0_T1_T2_T3_T4_SL_jT5_PKSL_NS1_7vsmem_tE.uses_vcc, 1
	.set _ZN7rocprim17ROCPRIM_304000_NS6detail35device_block_merge_mergepath_kernelINS1_37wrapped_merge_sort_block_merge_configINS0_14default_configEiN2at4cuda3cub6detail10OpaqueTypeILi8EEEEEPiSC_PSA_SD_jNS1_19radix_merge_compareILb0ELb0EiNS0_19identity_decomposerEEEEEvT0_T1_T2_T3_T4_SL_jT5_PKSL_NS1_7vsmem_tE.uses_flat_scratch, 0
	.set _ZN7rocprim17ROCPRIM_304000_NS6detail35device_block_merge_mergepath_kernelINS1_37wrapped_merge_sort_block_merge_configINS0_14default_configEiN2at4cuda3cub6detail10OpaqueTypeILi8EEEEEPiSC_PSA_SD_jNS1_19radix_merge_compareILb0ELb0EiNS0_19identity_decomposerEEEEEvT0_T1_T2_T3_T4_SL_jT5_PKSL_NS1_7vsmem_tE.has_dyn_sized_stack, 0
	.set _ZN7rocprim17ROCPRIM_304000_NS6detail35device_block_merge_mergepath_kernelINS1_37wrapped_merge_sort_block_merge_configINS0_14default_configEiN2at4cuda3cub6detail10OpaqueTypeILi8EEEEEPiSC_PSA_SD_jNS1_19radix_merge_compareILb0ELb0EiNS0_19identity_decomposerEEEEEvT0_T1_T2_T3_T4_SL_jT5_PKSL_NS1_7vsmem_tE.has_recursion, 0
	.set _ZN7rocprim17ROCPRIM_304000_NS6detail35device_block_merge_mergepath_kernelINS1_37wrapped_merge_sort_block_merge_configINS0_14default_configEiN2at4cuda3cub6detail10OpaqueTypeILi8EEEEEPiSC_PSA_SD_jNS1_19radix_merge_compareILb0ELb0EiNS0_19identity_decomposerEEEEEvT0_T1_T2_T3_T4_SL_jT5_PKSL_NS1_7vsmem_tE.has_indirect_call, 0
	.section	.AMDGPU.csdata,"",@progbits
; Kernel info:
; codeLenInByte = 3272
; TotalNumSgprs: 36
; NumVgprs: 24
; ScratchSize: 0
; MemoryBound: 0
; FloatMode: 240
; IeeeMode: 1
; LDSByteSize: 4112 bytes/workgroup (compile time only)
; SGPRBlocks: 8
; VGPRBlocks: 7
; NumSGPRsForWavesPerEU: 65
; NumVGPRsForWavesPerEU: 29
; Occupancy: 8
; WaveLimiterHint : 1
; COMPUTE_PGM_RSRC2:SCRATCH_EN: 0
; COMPUTE_PGM_RSRC2:USER_SGPR: 6
; COMPUTE_PGM_RSRC2:TRAP_HANDLER: 0
; COMPUTE_PGM_RSRC2:TGID_X_EN: 1
; COMPUTE_PGM_RSRC2:TGID_Y_EN: 1
; COMPUTE_PGM_RSRC2:TGID_Z_EN: 1
; COMPUTE_PGM_RSRC2:TIDIG_COMP_CNT: 0
	.section	.text._ZN7rocprim17ROCPRIM_304000_NS6detail33device_block_merge_oddeven_kernelINS1_37wrapped_merge_sort_block_merge_configINS0_14default_configEiN2at4cuda3cub6detail10OpaqueTypeILi8EEEEEPiSC_PSA_SD_jNS1_19radix_merge_compareILb0ELb0EiNS0_19identity_decomposerEEEEEvT0_T1_T2_T3_T4_SL_T5_,"axG",@progbits,_ZN7rocprim17ROCPRIM_304000_NS6detail33device_block_merge_oddeven_kernelINS1_37wrapped_merge_sort_block_merge_configINS0_14default_configEiN2at4cuda3cub6detail10OpaqueTypeILi8EEEEEPiSC_PSA_SD_jNS1_19radix_merge_compareILb0ELb0EiNS0_19identity_decomposerEEEEEvT0_T1_T2_T3_T4_SL_T5_,comdat
	.protected	_ZN7rocprim17ROCPRIM_304000_NS6detail33device_block_merge_oddeven_kernelINS1_37wrapped_merge_sort_block_merge_configINS0_14default_configEiN2at4cuda3cub6detail10OpaqueTypeILi8EEEEEPiSC_PSA_SD_jNS1_19radix_merge_compareILb0ELb0EiNS0_19identity_decomposerEEEEEvT0_T1_T2_T3_T4_SL_T5_ ; -- Begin function _ZN7rocprim17ROCPRIM_304000_NS6detail33device_block_merge_oddeven_kernelINS1_37wrapped_merge_sort_block_merge_configINS0_14default_configEiN2at4cuda3cub6detail10OpaqueTypeILi8EEEEEPiSC_PSA_SD_jNS1_19radix_merge_compareILb0ELb0EiNS0_19identity_decomposerEEEEEvT0_T1_T2_T3_T4_SL_T5_
	.globl	_ZN7rocprim17ROCPRIM_304000_NS6detail33device_block_merge_oddeven_kernelINS1_37wrapped_merge_sort_block_merge_configINS0_14default_configEiN2at4cuda3cub6detail10OpaqueTypeILi8EEEEEPiSC_PSA_SD_jNS1_19radix_merge_compareILb0ELb0EiNS0_19identity_decomposerEEEEEvT0_T1_T2_T3_T4_SL_T5_
	.p2align	8
	.type	_ZN7rocprim17ROCPRIM_304000_NS6detail33device_block_merge_oddeven_kernelINS1_37wrapped_merge_sort_block_merge_configINS0_14default_configEiN2at4cuda3cub6detail10OpaqueTypeILi8EEEEEPiSC_PSA_SD_jNS1_19radix_merge_compareILb0ELb0EiNS0_19identity_decomposerEEEEEvT0_T1_T2_T3_T4_SL_T5_,@function
_ZN7rocprim17ROCPRIM_304000_NS6detail33device_block_merge_oddeven_kernelINS1_37wrapped_merge_sort_block_merge_configINS0_14default_configEiN2at4cuda3cub6detail10OpaqueTypeILi8EEEEEPiSC_PSA_SD_jNS1_19radix_merge_compareILb0ELb0EiNS0_19identity_decomposerEEEEEvT0_T1_T2_T3_T4_SL_T5_: ; @_ZN7rocprim17ROCPRIM_304000_NS6detail33device_block_merge_oddeven_kernelINS1_37wrapped_merge_sort_block_merge_configINS0_14default_configEiN2at4cuda3cub6detail10OpaqueTypeILi8EEEEEPiSC_PSA_SD_jNS1_19radix_merge_compareILb0ELb0EiNS0_19identity_decomposerEEEEEvT0_T1_T2_T3_T4_SL_T5_
; %bb.0:
	s_load_dwordx2 s[18:19], s[4:5], 0x20
	s_waitcnt lgkmcnt(0)
	s_lshr_b32 s0, s18, 7
	s_cmp_eq_u32 s6, s0
	s_cselect_b64 s[16:17], -1, 0
	s_cmp_lg_u32 s6, s0
	s_cselect_b64 s[0:1], -1, 0
	s_lshl_b32 s20, s6, 7
	s_sub_i32 s2, s18, s20
	v_cmp_gt_u32_e64 s[2:3], s2, v0
	s_or_b64 s[0:1], s[0:1], s[2:3]
	s_and_saveexec_b64 s[8:9], s[0:1]
	s_cbranch_execz .LBB91_24
; %bb.1:
	s_load_dwordx8 s[8:15], s[4:5], 0x0
	s_mov_b32 s21, 0
	s_lshl_b64 s[0:1], s[20:21], 2
	v_lshlrev_b32_e32 v4, 3, v0
	v_lshlrev_b32_e32 v3, 2, v0
	s_waitcnt lgkmcnt(0)
	s_add_u32 s0, s8, s0
	s_addc_u32 s1, s9, s1
	s_lshl_b64 s[4:5], s[20:21], 3
	s_add_u32 s4, s12, s4
	s_addc_u32 s5, s13, s5
	global_load_dwordx2 v[1:2], v4, s[4:5]
	global_load_dword v5, v3, s[0:1]
	s_lshr_b32 s0, s19, 7
	s_sub_i32 s1, 0, s0
	s_and_b32 s1, s6, s1
	s_and_b32 s0, s1, s0
	s_lshl_b32 s13, s1, 7
	s_sub_i32 s6, 0, s19
	s_cmp_eq_u32 s0, 0
	s_cselect_b64 s[0:1], -1, 0
	s_and_b64 s[4:5], s[0:1], exec
	s_cselect_b32 s6, s19, s6
	s_add_i32 s6, s6, s13
	s_mov_b64 s[4:5], -1
	s_cmp_gt_u32 s18, s6
	v_add_u32_e32 v3, s20, v0
	s_cbranch_scc1 .LBB91_9
; %bb.2:
	s_and_b64 vcc, exec, s[16:17]
	s_cbranch_vccz .LBB91_6
; %bb.3:
	v_cmp_gt_u32_e32 vcc, s18, v3
	s_and_saveexec_b64 s[4:5], vcc
	s_cbranch_execz .LBB91_5
; %bb.4:
	v_mov_b32_e32 v4, 0
	v_lshlrev_b64 v[6:7], 3, v[3:4]
	v_mov_b32_e32 v0, s15
	v_add_co_u32_e32 v6, vcc, s14, v6
	v_lshlrev_b64 v[8:9], 2, v[3:4]
	v_addc_co_u32_e32 v7, vcc, v0, v7, vcc
	v_mov_b32_e32 v0, s11
	v_add_co_u32_e32 v8, vcc, s10, v8
	v_addc_co_u32_e32 v9, vcc, v0, v9, vcc
	s_waitcnt vmcnt(0)
	global_store_dword v[8:9], v5, off
	global_store_dwordx2 v[6:7], v[1:2], off
.LBB91_5:
	s_or_b64 exec, exec, s[4:5]
	s_mov_b64 s[4:5], 0
.LBB91_6:
	s_andn2_b64 vcc, exec, s[4:5]
	s_cbranch_vccnz .LBB91_8
; %bb.7:
	v_mov_b32_e32 v4, 0
	v_lshlrev_b64 v[6:7], 2, v[3:4]
	v_mov_b32_e32 v0, s11
	v_add_co_u32_e32 v6, vcc, s10, v6
	v_lshlrev_b64 v[8:9], 3, v[3:4]
	v_addc_co_u32_e32 v7, vcc, v0, v7, vcc
	v_mov_b32_e32 v0, s15
	v_add_co_u32_e32 v8, vcc, s14, v8
	v_addc_co_u32_e32 v9, vcc, v0, v9, vcc
	s_waitcnt vmcnt(0)
	global_store_dword v[6:7], v5, off
	global_store_dwordx2 v[8:9], v[1:2], off
.LBB91_8:
	s_mov_b64 s[4:5], 0
.LBB91_9:
	s_andn2_b64 vcc, exec, s[4:5]
	s_cbranch_vccnz .LBB91_24
; %bb.10:
	s_min_u32 s7, s6, s18
	s_add_i32 s4, s7, s19
	s_min_u32 s12, s4, s18
	s_min_u32 s4, s13, s7
	s_add_i32 s13, s13, s7
	v_subrev_u32_e32 v0, s13, v3
	v_add_u32_e32 v0, s4, v0
	s_andn2_b64 vcc, exec, s[16:17]
	s_mov_b64 s[4:5], -1
	s_cbranch_vccnz .LBB91_18
; %bb.11:
	s_and_saveexec_b64 s[4:5], s[2:3]
	s_cbranch_execz .LBB91_17
; %bb.12:
	s_cmp_ge_u32 s6, s12
	v_mov_b32_e32 v6, s7
	s_cbranch_scc1 .LBB91_16
; %bb.13:
	s_mov_b64 s[2:3], 0
	v_mov_b32_e32 v7, s12
	v_mov_b32_e32 v6, s7
	;; [unrolled: 1-line block ×4, first 2 shown]
.LBB91_14:                              ; =>This Inner Loop Header: Depth=1
	v_add_u32_e32 v3, v6, v7
	v_lshrrev_b32_e32 v3, 1, v3
	v_lshlrev_b64 v[9:10], 2, v[3:4]
	v_add_co_u32_e32 v9, vcc, s8, v9
	v_addc_co_u32_e32 v10, vcc, v8, v10, vcc
	global_load_dword v9, v[9:10], off
	v_add_u32_e32 v10, 1, v3
	s_waitcnt vmcnt(0)
	v_cmp_gt_i32_e32 vcc, v5, v9
	v_cndmask_b32_e64 v11, 0, 1, vcc
	v_cmp_le_i32_e32 vcc, v9, v5
	v_cndmask_b32_e64 v9, 0, 1, vcc
	v_cndmask_b32_e64 v9, v9, v11, s[0:1]
	v_and_b32_e32 v9, 1, v9
	v_cmp_eq_u32_e32 vcc, 1, v9
	v_cndmask_b32_e32 v7, v3, v7, vcc
	v_cndmask_b32_e32 v6, v6, v10, vcc
	v_cmp_ge_u32_e32 vcc, v6, v7
	s_or_b64 s[2:3], vcc, s[2:3]
	s_andn2_b64 exec, exec, s[2:3]
	s_cbranch_execnz .LBB91_14
; %bb.15:
	s_or_b64 exec, exec, s[2:3]
.LBB91_16:
	v_add_u32_e32 v3, v6, v0
	v_mov_b32_e32 v4, 0
	v_lshlrev_b64 v[6:7], 2, v[3:4]
	v_mov_b32_e32 v8, s11
	v_add_co_u32_e32 v6, vcc, s10, v6
	v_lshlrev_b64 v[3:4], 3, v[3:4]
	v_addc_co_u32_e32 v7, vcc, v8, v7, vcc
	s_waitcnt vmcnt(0)
	global_store_dword v[6:7], v5, off
	v_mov_b32_e32 v6, s15
	v_add_co_u32_e32 v3, vcc, s14, v3
	v_addc_co_u32_e32 v4, vcc, v6, v4, vcc
	global_store_dwordx2 v[3:4], v[1:2], off
.LBB91_17:
	s_or_b64 exec, exec, s[4:5]
	s_mov_b64 s[4:5], 0
.LBB91_18:
	s_andn2_b64 vcc, exec, s[4:5]
	s_cbranch_vccnz .LBB91_24
; %bb.19:
	s_cmp_ge_u32 s6, s12
	v_mov_b32_e32 v6, s7
	s_cbranch_scc1 .LBB91_23
; %bb.20:
	s_mov_b64 s[2:3], 0
	v_mov_b32_e32 v7, s12
	v_mov_b32_e32 v6, s7
	;; [unrolled: 1-line block ×4, first 2 shown]
.LBB91_21:                              ; =>This Inner Loop Header: Depth=1
	v_add_u32_e32 v3, v6, v7
	v_lshrrev_b32_e32 v3, 1, v3
	v_lshlrev_b64 v[9:10], 2, v[3:4]
	v_add_co_u32_e32 v9, vcc, s8, v9
	v_addc_co_u32_e32 v10, vcc, v8, v10, vcc
	global_load_dword v9, v[9:10], off
	v_add_u32_e32 v10, 1, v3
	s_waitcnt vmcnt(0)
	v_cmp_gt_i32_e32 vcc, v5, v9
	v_cndmask_b32_e64 v11, 0, 1, vcc
	v_cmp_le_i32_e32 vcc, v9, v5
	v_cndmask_b32_e64 v9, 0, 1, vcc
	v_cndmask_b32_e64 v9, v9, v11, s[0:1]
	v_and_b32_e32 v9, 1, v9
	v_cmp_eq_u32_e32 vcc, 1, v9
	v_cndmask_b32_e32 v7, v3, v7, vcc
	v_cndmask_b32_e32 v6, v6, v10, vcc
	v_cmp_ge_u32_e32 vcc, v6, v7
	s_or_b64 s[2:3], vcc, s[2:3]
	s_andn2_b64 exec, exec, s[2:3]
	s_cbranch_execnz .LBB91_21
; %bb.22:
	s_or_b64 exec, exec, s[2:3]
.LBB91_23:
	v_add_u32_e32 v3, v6, v0
	v_mov_b32_e32 v4, 0
	v_lshlrev_b64 v[6:7], 2, v[3:4]
	v_mov_b32_e32 v0, s11
	v_add_co_u32_e32 v6, vcc, s10, v6
	v_lshlrev_b64 v[3:4], 3, v[3:4]
	v_addc_co_u32_e32 v7, vcc, v0, v7, vcc
	v_mov_b32_e32 v0, s15
	v_add_co_u32_e32 v3, vcc, s14, v3
	v_addc_co_u32_e32 v4, vcc, v0, v4, vcc
	s_waitcnt vmcnt(0)
	global_store_dword v[6:7], v5, off
	global_store_dwordx2 v[3:4], v[1:2], off
.LBB91_24:
	s_endpgm
	.section	.rodata,"a",@progbits
	.p2align	6, 0x0
	.amdhsa_kernel _ZN7rocprim17ROCPRIM_304000_NS6detail33device_block_merge_oddeven_kernelINS1_37wrapped_merge_sort_block_merge_configINS0_14default_configEiN2at4cuda3cub6detail10OpaqueTypeILi8EEEEEPiSC_PSA_SD_jNS1_19radix_merge_compareILb0ELb0EiNS0_19identity_decomposerEEEEEvT0_T1_T2_T3_T4_SL_T5_
		.amdhsa_group_segment_fixed_size 0
		.amdhsa_private_segment_fixed_size 0
		.amdhsa_kernarg_size 44
		.amdhsa_user_sgpr_count 6
		.amdhsa_user_sgpr_private_segment_buffer 1
		.amdhsa_user_sgpr_dispatch_ptr 0
		.amdhsa_user_sgpr_queue_ptr 0
		.amdhsa_user_sgpr_kernarg_segment_ptr 1
		.amdhsa_user_sgpr_dispatch_id 0
		.amdhsa_user_sgpr_flat_scratch_init 0
		.amdhsa_user_sgpr_private_segment_size 0
		.amdhsa_uses_dynamic_stack 0
		.amdhsa_system_sgpr_private_segment_wavefront_offset 0
		.amdhsa_system_sgpr_workgroup_id_x 1
		.amdhsa_system_sgpr_workgroup_id_y 0
		.amdhsa_system_sgpr_workgroup_id_z 0
		.amdhsa_system_sgpr_workgroup_info 0
		.amdhsa_system_vgpr_workitem_id 0
		.amdhsa_next_free_vgpr 12
		.amdhsa_next_free_sgpr 22
		.amdhsa_reserve_vcc 1
		.amdhsa_reserve_flat_scratch 0
		.amdhsa_float_round_mode_32 0
		.amdhsa_float_round_mode_16_64 0
		.amdhsa_float_denorm_mode_32 3
		.amdhsa_float_denorm_mode_16_64 3
		.amdhsa_dx10_clamp 1
		.amdhsa_ieee_mode 1
		.amdhsa_fp16_overflow 0
		.amdhsa_exception_fp_ieee_invalid_op 0
		.amdhsa_exception_fp_denorm_src 0
		.amdhsa_exception_fp_ieee_div_zero 0
		.amdhsa_exception_fp_ieee_overflow 0
		.amdhsa_exception_fp_ieee_underflow 0
		.amdhsa_exception_fp_ieee_inexact 0
		.amdhsa_exception_int_div_zero 0
	.end_amdhsa_kernel
	.section	.text._ZN7rocprim17ROCPRIM_304000_NS6detail33device_block_merge_oddeven_kernelINS1_37wrapped_merge_sort_block_merge_configINS0_14default_configEiN2at4cuda3cub6detail10OpaqueTypeILi8EEEEEPiSC_PSA_SD_jNS1_19radix_merge_compareILb0ELb0EiNS0_19identity_decomposerEEEEEvT0_T1_T2_T3_T4_SL_T5_,"axG",@progbits,_ZN7rocprim17ROCPRIM_304000_NS6detail33device_block_merge_oddeven_kernelINS1_37wrapped_merge_sort_block_merge_configINS0_14default_configEiN2at4cuda3cub6detail10OpaqueTypeILi8EEEEEPiSC_PSA_SD_jNS1_19radix_merge_compareILb0ELb0EiNS0_19identity_decomposerEEEEEvT0_T1_T2_T3_T4_SL_T5_,comdat
.Lfunc_end91:
	.size	_ZN7rocprim17ROCPRIM_304000_NS6detail33device_block_merge_oddeven_kernelINS1_37wrapped_merge_sort_block_merge_configINS0_14default_configEiN2at4cuda3cub6detail10OpaqueTypeILi8EEEEEPiSC_PSA_SD_jNS1_19radix_merge_compareILb0ELb0EiNS0_19identity_decomposerEEEEEvT0_T1_T2_T3_T4_SL_T5_, .Lfunc_end91-_ZN7rocprim17ROCPRIM_304000_NS6detail33device_block_merge_oddeven_kernelINS1_37wrapped_merge_sort_block_merge_configINS0_14default_configEiN2at4cuda3cub6detail10OpaqueTypeILi8EEEEEPiSC_PSA_SD_jNS1_19radix_merge_compareILb0ELb0EiNS0_19identity_decomposerEEEEEvT0_T1_T2_T3_T4_SL_T5_
                                        ; -- End function
	.set _ZN7rocprim17ROCPRIM_304000_NS6detail33device_block_merge_oddeven_kernelINS1_37wrapped_merge_sort_block_merge_configINS0_14default_configEiN2at4cuda3cub6detail10OpaqueTypeILi8EEEEEPiSC_PSA_SD_jNS1_19radix_merge_compareILb0ELb0EiNS0_19identity_decomposerEEEEEvT0_T1_T2_T3_T4_SL_T5_.num_vgpr, 12
	.set _ZN7rocprim17ROCPRIM_304000_NS6detail33device_block_merge_oddeven_kernelINS1_37wrapped_merge_sort_block_merge_configINS0_14default_configEiN2at4cuda3cub6detail10OpaqueTypeILi8EEEEEPiSC_PSA_SD_jNS1_19radix_merge_compareILb0ELb0EiNS0_19identity_decomposerEEEEEvT0_T1_T2_T3_T4_SL_T5_.num_agpr, 0
	.set _ZN7rocprim17ROCPRIM_304000_NS6detail33device_block_merge_oddeven_kernelINS1_37wrapped_merge_sort_block_merge_configINS0_14default_configEiN2at4cuda3cub6detail10OpaqueTypeILi8EEEEEPiSC_PSA_SD_jNS1_19radix_merge_compareILb0ELb0EiNS0_19identity_decomposerEEEEEvT0_T1_T2_T3_T4_SL_T5_.numbered_sgpr, 22
	.set _ZN7rocprim17ROCPRIM_304000_NS6detail33device_block_merge_oddeven_kernelINS1_37wrapped_merge_sort_block_merge_configINS0_14default_configEiN2at4cuda3cub6detail10OpaqueTypeILi8EEEEEPiSC_PSA_SD_jNS1_19radix_merge_compareILb0ELb0EiNS0_19identity_decomposerEEEEEvT0_T1_T2_T3_T4_SL_T5_.num_named_barrier, 0
	.set _ZN7rocprim17ROCPRIM_304000_NS6detail33device_block_merge_oddeven_kernelINS1_37wrapped_merge_sort_block_merge_configINS0_14default_configEiN2at4cuda3cub6detail10OpaqueTypeILi8EEEEEPiSC_PSA_SD_jNS1_19radix_merge_compareILb0ELb0EiNS0_19identity_decomposerEEEEEvT0_T1_T2_T3_T4_SL_T5_.private_seg_size, 0
	.set _ZN7rocprim17ROCPRIM_304000_NS6detail33device_block_merge_oddeven_kernelINS1_37wrapped_merge_sort_block_merge_configINS0_14default_configEiN2at4cuda3cub6detail10OpaqueTypeILi8EEEEEPiSC_PSA_SD_jNS1_19radix_merge_compareILb0ELb0EiNS0_19identity_decomposerEEEEEvT0_T1_T2_T3_T4_SL_T5_.uses_vcc, 1
	.set _ZN7rocprim17ROCPRIM_304000_NS6detail33device_block_merge_oddeven_kernelINS1_37wrapped_merge_sort_block_merge_configINS0_14default_configEiN2at4cuda3cub6detail10OpaqueTypeILi8EEEEEPiSC_PSA_SD_jNS1_19radix_merge_compareILb0ELb0EiNS0_19identity_decomposerEEEEEvT0_T1_T2_T3_T4_SL_T5_.uses_flat_scratch, 0
	.set _ZN7rocprim17ROCPRIM_304000_NS6detail33device_block_merge_oddeven_kernelINS1_37wrapped_merge_sort_block_merge_configINS0_14default_configEiN2at4cuda3cub6detail10OpaqueTypeILi8EEEEEPiSC_PSA_SD_jNS1_19radix_merge_compareILb0ELb0EiNS0_19identity_decomposerEEEEEvT0_T1_T2_T3_T4_SL_T5_.has_dyn_sized_stack, 0
	.set _ZN7rocprim17ROCPRIM_304000_NS6detail33device_block_merge_oddeven_kernelINS1_37wrapped_merge_sort_block_merge_configINS0_14default_configEiN2at4cuda3cub6detail10OpaqueTypeILi8EEEEEPiSC_PSA_SD_jNS1_19radix_merge_compareILb0ELb0EiNS0_19identity_decomposerEEEEEvT0_T1_T2_T3_T4_SL_T5_.has_recursion, 0
	.set _ZN7rocprim17ROCPRIM_304000_NS6detail33device_block_merge_oddeven_kernelINS1_37wrapped_merge_sort_block_merge_configINS0_14default_configEiN2at4cuda3cub6detail10OpaqueTypeILi8EEEEEPiSC_PSA_SD_jNS1_19radix_merge_compareILb0ELb0EiNS0_19identity_decomposerEEEEEvT0_T1_T2_T3_T4_SL_T5_.has_indirect_call, 0
	.section	.AMDGPU.csdata,"",@progbits
; Kernel info:
; codeLenInByte = 844
; TotalNumSgprs: 26
; NumVgprs: 12
; ScratchSize: 0
; MemoryBound: 0
; FloatMode: 240
; IeeeMode: 1
; LDSByteSize: 0 bytes/workgroup (compile time only)
; SGPRBlocks: 3
; VGPRBlocks: 2
; NumSGPRsForWavesPerEU: 26
; NumVGPRsForWavesPerEU: 12
; Occupancy: 10
; WaveLimiterHint : 0
; COMPUTE_PGM_RSRC2:SCRATCH_EN: 0
; COMPUTE_PGM_RSRC2:USER_SGPR: 6
; COMPUTE_PGM_RSRC2:TRAP_HANDLER: 0
; COMPUTE_PGM_RSRC2:TGID_X_EN: 1
; COMPUTE_PGM_RSRC2:TGID_Y_EN: 0
; COMPUTE_PGM_RSRC2:TGID_Z_EN: 0
; COMPUTE_PGM_RSRC2:TIDIG_COMP_CNT: 0
	.section	.text._ZN7rocprim17ROCPRIM_304000_NS6detail45device_block_merge_mergepath_partition_kernelINS1_37wrapped_merge_sort_block_merge_configINS0_14default_configEiN2at4cuda3cub6detail10OpaqueTypeILi8EEEEEPijNS1_19radix_merge_compareILb0ELb1EiNS0_19identity_decomposerEEEEEvT0_T1_jPSH_T2_SH_,"axG",@progbits,_ZN7rocprim17ROCPRIM_304000_NS6detail45device_block_merge_mergepath_partition_kernelINS1_37wrapped_merge_sort_block_merge_configINS0_14default_configEiN2at4cuda3cub6detail10OpaqueTypeILi8EEEEEPijNS1_19radix_merge_compareILb0ELb1EiNS0_19identity_decomposerEEEEEvT0_T1_jPSH_T2_SH_,comdat
	.protected	_ZN7rocprim17ROCPRIM_304000_NS6detail45device_block_merge_mergepath_partition_kernelINS1_37wrapped_merge_sort_block_merge_configINS0_14default_configEiN2at4cuda3cub6detail10OpaqueTypeILi8EEEEEPijNS1_19radix_merge_compareILb0ELb1EiNS0_19identity_decomposerEEEEEvT0_T1_jPSH_T2_SH_ ; -- Begin function _ZN7rocprim17ROCPRIM_304000_NS6detail45device_block_merge_mergepath_partition_kernelINS1_37wrapped_merge_sort_block_merge_configINS0_14default_configEiN2at4cuda3cub6detail10OpaqueTypeILi8EEEEEPijNS1_19radix_merge_compareILb0ELb1EiNS0_19identity_decomposerEEEEEvT0_T1_jPSH_T2_SH_
	.globl	_ZN7rocprim17ROCPRIM_304000_NS6detail45device_block_merge_mergepath_partition_kernelINS1_37wrapped_merge_sort_block_merge_configINS0_14default_configEiN2at4cuda3cub6detail10OpaqueTypeILi8EEEEEPijNS1_19radix_merge_compareILb0ELb1EiNS0_19identity_decomposerEEEEEvT0_T1_jPSH_T2_SH_
	.p2align	8
	.type	_ZN7rocprim17ROCPRIM_304000_NS6detail45device_block_merge_mergepath_partition_kernelINS1_37wrapped_merge_sort_block_merge_configINS0_14default_configEiN2at4cuda3cub6detail10OpaqueTypeILi8EEEEEPijNS1_19radix_merge_compareILb0ELb1EiNS0_19identity_decomposerEEEEEvT0_T1_jPSH_T2_SH_,@function
_ZN7rocprim17ROCPRIM_304000_NS6detail45device_block_merge_mergepath_partition_kernelINS1_37wrapped_merge_sort_block_merge_configINS0_14default_configEiN2at4cuda3cub6detail10OpaqueTypeILi8EEEEEPijNS1_19radix_merge_compareILb0ELb1EiNS0_19identity_decomposerEEEEEvT0_T1_jPSH_T2_SH_: ; @_ZN7rocprim17ROCPRIM_304000_NS6detail45device_block_merge_mergepath_partition_kernelINS1_37wrapped_merge_sort_block_merge_configINS0_14default_configEiN2at4cuda3cub6detail10OpaqueTypeILi8EEEEEPijNS1_19radix_merge_compareILb0ELb1EiNS0_19identity_decomposerEEEEEvT0_T1_jPSH_T2_SH_
; %bb.0:
	s_load_dwordx2 s[2:3], s[4:5], 0x8
	v_lshl_or_b32 v0, s6, 7, v0
	s_waitcnt lgkmcnt(0)
	v_cmp_gt_u32_e32 vcc, s3, v0
	s_and_saveexec_b64 s[0:1], vcc
	s_cbranch_execz .LBB92_6
; %bb.1:
	s_load_dwordx2 s[0:1], s[4:5], 0x18
	s_waitcnt lgkmcnt(0)
	s_lshr_b32 s3, s1, 8
	s_and_b32 s3, s3, 0xfffffe
	s_add_i32 s6, s3, -1
	s_sub_i32 s3, 0, s3
	v_and_b32_e32 v1, s3, v0
	v_lshlrev_b32_e32 v3, 9, v1
	v_min_u32_e32 v1, s2, v3
	v_add_u32_e32 v3, s1, v3
	v_min_u32_e32 v3, s2, v3
	v_add_u32_e32 v4, s1, v3
	v_and_b32_e32 v2, s6, v0
	v_min_u32_e32 v4, s2, v4
	v_lshlrev_b32_e32 v2, 9, v2
	v_sub_u32_e32 v5, v4, v1
	v_min_u32_e32 v6, v5, v2
	v_sub_u32_e32 v2, v3, v1
	v_sub_u32_e32 v4, v4, v3
	v_sub_u32_e64 v5, v6, v4 clamp
	v_min_u32_e32 v7, v6, v2
	v_cmp_lt_u32_e32 vcc, v5, v7
	s_and_saveexec_b64 s[2:3], vcc
	s_cbranch_execz .LBB92_5
; %bb.2:
	s_load_dwordx2 s[6:7], s[4:5], 0x0
	v_mov_b32_e32 v4, 0
	v_mov_b32_e32 v2, v4
	v_lshlrev_b64 v[8:9], 2, v[1:2]
	s_waitcnt lgkmcnt(0)
	v_mov_b32_e32 v11, s7
	v_add_co_u32_e32 v2, vcc, s6, v8
	v_addc_co_u32_e32 v8, vcc, v11, v9, vcc
	v_lshlrev_b64 v[9:10], 2, v[3:4]
	v_add_co_u32_e32 v9, vcc, s6, v9
	v_addc_co_u32_e32 v10, vcc, v11, v10, vcc
	s_mov_b64 s[6:7], 0
.LBB92_3:                               ; =>This Inner Loop Header: Depth=1
	v_add_u32_e32 v3, v7, v5
	v_lshrrev_b32_e32 v3, 1, v3
	v_lshlrev_b64 v[13:14], 2, v[3:4]
	v_mov_b32_e32 v12, v4
	v_xad_u32 v11, v3, -1, v6
	v_lshlrev_b64 v[11:12], 2, v[11:12]
	v_add_co_u32_e32 v13, vcc, v2, v13
	v_addc_co_u32_e32 v14, vcc, v8, v14, vcc
	v_add_co_u32_e32 v11, vcc, v9, v11
	v_addc_co_u32_e32 v12, vcc, v10, v12, vcc
	global_load_dword v15, v[13:14], off
	global_load_dword v16, v[11:12], off
	v_add_u32_e32 v11, 1, v3
	s_waitcnt vmcnt(1)
	v_and_b32_e32 v12, s0, v15
	s_waitcnt vmcnt(0)
	v_and_b32_e32 v13, s0, v16
	v_cmp_gt_i32_e32 vcc, v12, v13
	v_cndmask_b32_e32 v7, v7, v3, vcc
	v_cndmask_b32_e32 v5, v11, v5, vcc
	v_cmp_ge_u32_e32 vcc, v5, v7
	s_or_b64 s[6:7], vcc, s[6:7]
	s_andn2_b64 exec, exec, s[6:7]
	s_cbranch_execnz .LBB92_3
; %bb.4:
	s_or_b64 exec, exec, s[6:7]
.LBB92_5:
	s_or_b64 exec, exec, s[2:3]
	s_load_dwordx2 s[0:1], s[4:5], 0x10
	v_add_u32_e32 v2, v5, v1
	v_mov_b32_e32 v1, 0
	v_lshlrev_b64 v[0:1], 2, v[0:1]
	s_waitcnt lgkmcnt(0)
	v_mov_b32_e32 v3, s1
	v_add_co_u32_e32 v0, vcc, s0, v0
	v_addc_co_u32_e32 v1, vcc, v3, v1, vcc
	global_store_dword v[0:1], v2, off
.LBB92_6:
	s_endpgm
	.section	.rodata,"a",@progbits
	.p2align	6, 0x0
	.amdhsa_kernel _ZN7rocprim17ROCPRIM_304000_NS6detail45device_block_merge_mergepath_partition_kernelINS1_37wrapped_merge_sort_block_merge_configINS0_14default_configEiN2at4cuda3cub6detail10OpaqueTypeILi8EEEEEPijNS1_19radix_merge_compareILb0ELb1EiNS0_19identity_decomposerEEEEEvT0_T1_jPSH_T2_SH_
		.amdhsa_group_segment_fixed_size 0
		.amdhsa_private_segment_fixed_size 0
		.amdhsa_kernarg_size 32
		.amdhsa_user_sgpr_count 6
		.amdhsa_user_sgpr_private_segment_buffer 1
		.amdhsa_user_sgpr_dispatch_ptr 0
		.amdhsa_user_sgpr_queue_ptr 0
		.amdhsa_user_sgpr_kernarg_segment_ptr 1
		.amdhsa_user_sgpr_dispatch_id 0
		.amdhsa_user_sgpr_flat_scratch_init 0
		.amdhsa_user_sgpr_private_segment_size 0
		.amdhsa_uses_dynamic_stack 0
		.amdhsa_system_sgpr_private_segment_wavefront_offset 0
		.amdhsa_system_sgpr_workgroup_id_x 1
		.amdhsa_system_sgpr_workgroup_id_y 0
		.amdhsa_system_sgpr_workgroup_id_z 0
		.amdhsa_system_sgpr_workgroup_info 0
		.amdhsa_system_vgpr_workitem_id 0
		.amdhsa_next_free_vgpr 17
		.amdhsa_next_free_sgpr 8
		.amdhsa_reserve_vcc 1
		.amdhsa_reserve_flat_scratch 0
		.amdhsa_float_round_mode_32 0
		.amdhsa_float_round_mode_16_64 0
		.amdhsa_float_denorm_mode_32 3
		.amdhsa_float_denorm_mode_16_64 3
		.amdhsa_dx10_clamp 1
		.amdhsa_ieee_mode 1
		.amdhsa_fp16_overflow 0
		.amdhsa_exception_fp_ieee_invalid_op 0
		.amdhsa_exception_fp_denorm_src 0
		.amdhsa_exception_fp_ieee_div_zero 0
		.amdhsa_exception_fp_ieee_overflow 0
		.amdhsa_exception_fp_ieee_underflow 0
		.amdhsa_exception_fp_ieee_inexact 0
		.amdhsa_exception_int_div_zero 0
	.end_amdhsa_kernel
	.section	.text._ZN7rocprim17ROCPRIM_304000_NS6detail45device_block_merge_mergepath_partition_kernelINS1_37wrapped_merge_sort_block_merge_configINS0_14default_configEiN2at4cuda3cub6detail10OpaqueTypeILi8EEEEEPijNS1_19radix_merge_compareILb0ELb1EiNS0_19identity_decomposerEEEEEvT0_T1_jPSH_T2_SH_,"axG",@progbits,_ZN7rocprim17ROCPRIM_304000_NS6detail45device_block_merge_mergepath_partition_kernelINS1_37wrapped_merge_sort_block_merge_configINS0_14default_configEiN2at4cuda3cub6detail10OpaqueTypeILi8EEEEEPijNS1_19radix_merge_compareILb0ELb1EiNS0_19identity_decomposerEEEEEvT0_T1_jPSH_T2_SH_,comdat
.Lfunc_end92:
	.size	_ZN7rocprim17ROCPRIM_304000_NS6detail45device_block_merge_mergepath_partition_kernelINS1_37wrapped_merge_sort_block_merge_configINS0_14default_configEiN2at4cuda3cub6detail10OpaqueTypeILi8EEEEEPijNS1_19radix_merge_compareILb0ELb1EiNS0_19identity_decomposerEEEEEvT0_T1_jPSH_T2_SH_, .Lfunc_end92-_ZN7rocprim17ROCPRIM_304000_NS6detail45device_block_merge_mergepath_partition_kernelINS1_37wrapped_merge_sort_block_merge_configINS0_14default_configEiN2at4cuda3cub6detail10OpaqueTypeILi8EEEEEPijNS1_19radix_merge_compareILb0ELb1EiNS0_19identity_decomposerEEEEEvT0_T1_jPSH_T2_SH_
                                        ; -- End function
	.set _ZN7rocprim17ROCPRIM_304000_NS6detail45device_block_merge_mergepath_partition_kernelINS1_37wrapped_merge_sort_block_merge_configINS0_14default_configEiN2at4cuda3cub6detail10OpaqueTypeILi8EEEEEPijNS1_19radix_merge_compareILb0ELb1EiNS0_19identity_decomposerEEEEEvT0_T1_jPSH_T2_SH_.num_vgpr, 17
	.set _ZN7rocprim17ROCPRIM_304000_NS6detail45device_block_merge_mergepath_partition_kernelINS1_37wrapped_merge_sort_block_merge_configINS0_14default_configEiN2at4cuda3cub6detail10OpaqueTypeILi8EEEEEPijNS1_19radix_merge_compareILb0ELb1EiNS0_19identity_decomposerEEEEEvT0_T1_jPSH_T2_SH_.num_agpr, 0
	.set _ZN7rocprim17ROCPRIM_304000_NS6detail45device_block_merge_mergepath_partition_kernelINS1_37wrapped_merge_sort_block_merge_configINS0_14default_configEiN2at4cuda3cub6detail10OpaqueTypeILi8EEEEEPijNS1_19radix_merge_compareILb0ELb1EiNS0_19identity_decomposerEEEEEvT0_T1_jPSH_T2_SH_.numbered_sgpr, 8
	.set _ZN7rocprim17ROCPRIM_304000_NS6detail45device_block_merge_mergepath_partition_kernelINS1_37wrapped_merge_sort_block_merge_configINS0_14default_configEiN2at4cuda3cub6detail10OpaqueTypeILi8EEEEEPijNS1_19radix_merge_compareILb0ELb1EiNS0_19identity_decomposerEEEEEvT0_T1_jPSH_T2_SH_.num_named_barrier, 0
	.set _ZN7rocprim17ROCPRIM_304000_NS6detail45device_block_merge_mergepath_partition_kernelINS1_37wrapped_merge_sort_block_merge_configINS0_14default_configEiN2at4cuda3cub6detail10OpaqueTypeILi8EEEEEPijNS1_19radix_merge_compareILb0ELb1EiNS0_19identity_decomposerEEEEEvT0_T1_jPSH_T2_SH_.private_seg_size, 0
	.set _ZN7rocprim17ROCPRIM_304000_NS6detail45device_block_merge_mergepath_partition_kernelINS1_37wrapped_merge_sort_block_merge_configINS0_14default_configEiN2at4cuda3cub6detail10OpaqueTypeILi8EEEEEPijNS1_19radix_merge_compareILb0ELb1EiNS0_19identity_decomposerEEEEEvT0_T1_jPSH_T2_SH_.uses_vcc, 1
	.set _ZN7rocprim17ROCPRIM_304000_NS6detail45device_block_merge_mergepath_partition_kernelINS1_37wrapped_merge_sort_block_merge_configINS0_14default_configEiN2at4cuda3cub6detail10OpaqueTypeILi8EEEEEPijNS1_19radix_merge_compareILb0ELb1EiNS0_19identity_decomposerEEEEEvT0_T1_jPSH_T2_SH_.uses_flat_scratch, 0
	.set _ZN7rocprim17ROCPRIM_304000_NS6detail45device_block_merge_mergepath_partition_kernelINS1_37wrapped_merge_sort_block_merge_configINS0_14default_configEiN2at4cuda3cub6detail10OpaqueTypeILi8EEEEEPijNS1_19radix_merge_compareILb0ELb1EiNS0_19identity_decomposerEEEEEvT0_T1_jPSH_T2_SH_.has_dyn_sized_stack, 0
	.set _ZN7rocprim17ROCPRIM_304000_NS6detail45device_block_merge_mergepath_partition_kernelINS1_37wrapped_merge_sort_block_merge_configINS0_14default_configEiN2at4cuda3cub6detail10OpaqueTypeILi8EEEEEPijNS1_19radix_merge_compareILb0ELb1EiNS0_19identity_decomposerEEEEEvT0_T1_jPSH_T2_SH_.has_recursion, 0
	.set _ZN7rocprim17ROCPRIM_304000_NS6detail45device_block_merge_mergepath_partition_kernelINS1_37wrapped_merge_sort_block_merge_configINS0_14default_configEiN2at4cuda3cub6detail10OpaqueTypeILi8EEEEEPijNS1_19radix_merge_compareILb0ELb1EiNS0_19identity_decomposerEEEEEvT0_T1_jPSH_T2_SH_.has_indirect_call, 0
	.section	.AMDGPU.csdata,"",@progbits
; Kernel info:
; codeLenInByte = 376
; TotalNumSgprs: 12
; NumVgprs: 17
; ScratchSize: 0
; MemoryBound: 0
; FloatMode: 240
; IeeeMode: 1
; LDSByteSize: 0 bytes/workgroup (compile time only)
; SGPRBlocks: 1
; VGPRBlocks: 4
; NumSGPRsForWavesPerEU: 12
; NumVGPRsForWavesPerEU: 17
; Occupancy: 10
; WaveLimiterHint : 0
; COMPUTE_PGM_RSRC2:SCRATCH_EN: 0
; COMPUTE_PGM_RSRC2:USER_SGPR: 6
; COMPUTE_PGM_RSRC2:TRAP_HANDLER: 0
; COMPUTE_PGM_RSRC2:TGID_X_EN: 1
; COMPUTE_PGM_RSRC2:TGID_Y_EN: 0
; COMPUTE_PGM_RSRC2:TGID_Z_EN: 0
; COMPUTE_PGM_RSRC2:TIDIG_COMP_CNT: 0
	.section	.text._ZN7rocprim17ROCPRIM_304000_NS6detail35device_block_merge_mergepath_kernelINS1_37wrapped_merge_sort_block_merge_configINS0_14default_configEiN2at4cuda3cub6detail10OpaqueTypeILi8EEEEEPiSC_PSA_SD_jNS1_19radix_merge_compareILb0ELb1EiNS0_19identity_decomposerEEEEEvT0_T1_T2_T3_T4_SL_jT5_PKSL_NS1_7vsmem_tE,"axG",@progbits,_ZN7rocprim17ROCPRIM_304000_NS6detail35device_block_merge_mergepath_kernelINS1_37wrapped_merge_sort_block_merge_configINS0_14default_configEiN2at4cuda3cub6detail10OpaqueTypeILi8EEEEEPiSC_PSA_SD_jNS1_19radix_merge_compareILb0ELb1EiNS0_19identity_decomposerEEEEEvT0_T1_T2_T3_T4_SL_jT5_PKSL_NS1_7vsmem_tE,comdat
	.protected	_ZN7rocprim17ROCPRIM_304000_NS6detail35device_block_merge_mergepath_kernelINS1_37wrapped_merge_sort_block_merge_configINS0_14default_configEiN2at4cuda3cub6detail10OpaqueTypeILi8EEEEEPiSC_PSA_SD_jNS1_19radix_merge_compareILb0ELb1EiNS0_19identity_decomposerEEEEEvT0_T1_T2_T3_T4_SL_jT5_PKSL_NS1_7vsmem_tE ; -- Begin function _ZN7rocprim17ROCPRIM_304000_NS6detail35device_block_merge_mergepath_kernelINS1_37wrapped_merge_sort_block_merge_configINS0_14default_configEiN2at4cuda3cub6detail10OpaqueTypeILi8EEEEEPiSC_PSA_SD_jNS1_19radix_merge_compareILb0ELb1EiNS0_19identity_decomposerEEEEEvT0_T1_T2_T3_T4_SL_jT5_PKSL_NS1_7vsmem_tE
	.globl	_ZN7rocprim17ROCPRIM_304000_NS6detail35device_block_merge_mergepath_kernelINS1_37wrapped_merge_sort_block_merge_configINS0_14default_configEiN2at4cuda3cub6detail10OpaqueTypeILi8EEEEEPiSC_PSA_SD_jNS1_19radix_merge_compareILb0ELb1EiNS0_19identity_decomposerEEEEEvT0_T1_T2_T3_T4_SL_jT5_PKSL_NS1_7vsmem_tE
	.p2align	8
	.type	_ZN7rocprim17ROCPRIM_304000_NS6detail35device_block_merge_mergepath_kernelINS1_37wrapped_merge_sort_block_merge_configINS0_14default_configEiN2at4cuda3cub6detail10OpaqueTypeILi8EEEEEPiSC_PSA_SD_jNS1_19radix_merge_compareILb0ELb1EiNS0_19identity_decomposerEEEEEvT0_T1_T2_T3_T4_SL_jT5_PKSL_NS1_7vsmem_tE,@function
_ZN7rocprim17ROCPRIM_304000_NS6detail35device_block_merge_mergepath_kernelINS1_37wrapped_merge_sort_block_merge_configINS0_14default_configEiN2at4cuda3cub6detail10OpaqueTypeILi8EEEEEPiSC_PSA_SD_jNS1_19radix_merge_compareILb0ELb1EiNS0_19identity_decomposerEEEEEvT0_T1_T2_T3_T4_SL_jT5_PKSL_NS1_7vsmem_tE: ; @_ZN7rocprim17ROCPRIM_304000_NS6detail35device_block_merge_mergepath_kernelINS1_37wrapped_merge_sort_block_merge_configINS0_14default_configEiN2at4cuda3cub6detail10OpaqueTypeILi8EEEEEPiSC_PSA_SD_jNS1_19radix_merge_compareILb0ELb1EiNS0_19identity_decomposerEEEEEvT0_T1_T2_T3_T4_SL_jT5_PKSL_NS1_7vsmem_tE
; %bb.0:
	s_load_dwordx2 s[26:27], s[4:5], 0x40
	s_load_dwordx4 s[16:19], s[4:5], 0x20
	s_add_u32 s2, s4, 64
	s_addc_u32 s3, s5, 0
	s_waitcnt lgkmcnt(0)
	s_mul_i32 s0, s27, s8
	s_add_i32 s0, s0, s7
	s_mul_i32 s0, s0, s26
	s_add_i32 s0, s0, s6
	s_cmp_ge_u32 s0, s18
	s_cbranch_scc1 .LBB93_69
; %bb.1:
	s_load_dwordx8 s[8:15], s[4:5], 0x0
	s_load_dwordx2 s[22:23], s[4:5], 0x30
	s_lshr_b32 s27, s16, 9
	s_cmp_lg_u32 s0, s27
	s_mov_b32 s1, 0
	s_cselect_b64 s[20:21], -1, 0
	s_lshl_b64 s[4:5], s[0:1], 2
	s_waitcnt lgkmcnt(0)
	s_add_u32 s4, s22, s4
	s_addc_u32 s5, s23, s5
	s_load_dwordx2 s[22:23], s[4:5], 0x0
	s_lshr_b32 s4, s17, 8
	s_and_b32 s4, s4, 0xfffffe
	s_sub_i32 s4, 0, s4
	s_and_b32 s5, s0, s4
	s_lshl_b32 s7, s5, 9
	s_lshl_b32 s18, s0, 9
	;; [unrolled: 1-line block ×3, first 2 shown]
	s_sub_i32 s24, s18, s7
	s_add_i32 s5, s5, s17
	s_add_i32 s25, s5, s24
	s_waitcnt lgkmcnt(0)
	s_sub_i32 s24, s25, s22
	s_sub_i32 s25, s25, s23
	;; [unrolled: 1-line block ×3, first 2 shown]
	s_min_u32 s24, s16, s24
	s_addk_i32 s25, 0x200
	s_or_b32 s4, s0, s4
	s_min_u32 s7, s16, s5
	s_add_i32 s5, s5, s17
	s_cmp_eq_u32 s4, -1
	s_cselect_b32 s4, s5, s25
	s_cselect_b32 s5, s7, s23
	s_min_u32 s4, s4, s16
	s_mov_b32 s23, s1
	s_sub_i32 s28, s5, s22
	s_sub_i32 s29, s4, s24
	s_lshl_b64 s[30:31], s[22:23], 2
	s_add_u32 s5, s8, s30
	s_mov_b32 s25, s1
	s_addc_u32 s7, s9, s31
	s_lshl_b64 s[30:31], s[24:25], 2
	s_add_u32 s4, s8, s30
	v_mov_b32_e32 v6, 0
	global_load_dword v1, v6, s[2:3] offset:14
	s_addc_u32 s8, s9, s31
	s_cmp_lt_u32 s6, s26
	s_cselect_b32 s1, 12, 18
	s_add_u32 s2, s2, s1
	s_addc_u32 s3, s3, 0
	global_load_ushort v2, v6, s[2:3]
	s_cmp_eq_u32 s0, s27
	v_cmp_gt_u32_e32 vcc, s28, v0
	v_lshlrev_b32_e32 v9, 2, v0
	s_waitcnt vmcnt(1)
	v_lshrrev_b32_e32 v3, 16, v1
	v_and_b32_e32 v1, 0xffff, v1
	v_mul_lo_u32 v1, v1, v3
	s_waitcnt vmcnt(0)
	v_mul_lo_u32 v7, v1, v2
	v_add_u32_e32 v5, v7, v0
	s_cbranch_scc1 .LBB93_3
; %bb.2:
	v_mov_b32_e32 v1, s7
	v_add_co_u32_e64 v3, s[0:1], s5, v9
	v_subrev_u32_e32 v2, s28, v0
	v_addc_co_u32_e64 v1, s[0:1], 0, v1, s[0:1]
	v_lshlrev_b32_e32 v2, 2, v2
	v_mov_b32_e32 v4, s8
	v_add_co_u32_e64 v8, s[0:1], s4, v2
	v_addc_co_u32_e64 v2, s[0:1], 0, v4, s[0:1]
	v_cndmask_b32_e32 v2, v2, v1, vcc
	v_cndmask_b32_e32 v1, v8, v3, vcc
	global_load_dword v1, v[1:2], off
	v_lshlrev_b64 v[2:3], 2, v[5:6]
	v_mov_b32_e32 v4, s7
	v_add_co_u32_e32 v8, vcc, s5, v2
	v_addc_co_u32_e32 v4, vcc, v4, v3, vcc
	v_subrev_co_u32_e32 v2, vcc, s28, v5
	v_mov_b32_e32 v3, v6
	v_lshlrev_b64 v[2:3], 2, v[2:3]
	v_mov_b32_e32 v10, s8
	v_add_co_u32_e64 v2, s[0:1], s4, v2
	v_addc_co_u32_e64 v3, s[0:1], v10, v3, s[0:1]
	v_cndmask_b32_e32 v3, v3, v4, vcc
	v_cndmask_b32_e32 v2, v2, v8, vcc
	v_add_u32_e32 v10, v5, v7
	v_mov_b32_e32 v11, v6
	global_load_dword v2, v[2:3], off
	v_lshlrev_b64 v[3:4], 2, v[10:11]
	v_mov_b32_e32 v8, s7
	v_add_co_u32_e32 v11, vcc, s5, v3
	v_addc_co_u32_e32 v8, vcc, v8, v4, vcc
	v_subrev_co_u32_e32 v3, vcc, s28, v10
	v_mov_b32_e32 v4, v6
	v_lshlrev_b64 v[3:4], 2, v[3:4]
	v_mov_b32_e32 v12, s8
	v_add_co_u32_e64 v3, s[0:1], s4, v3
	v_cndmask_b32_e32 v3, v3, v11, vcc
	v_add_u32_e32 v10, v10, v7
	v_mov_b32_e32 v11, v6
	v_addc_co_u32_e64 v4, s[0:1], v12, v4, s[0:1]
	v_lshlrev_b64 v[11:12], 2, v[10:11]
	v_cndmask_b32_e32 v4, v4, v8, vcc
	global_load_dword v3, v[3:4], off
	v_mov_b32_e32 v4, s7
	v_add_co_u32_e32 v8, vcc, s5, v11
	v_addc_co_u32_e32 v4, vcc, v4, v12, vcc
	v_subrev_co_u32_e32 v10, vcc, s28, v10
	v_mov_b32_e32 v11, v6
	v_lshlrev_b64 v[10:11], 2, v[10:11]
	v_mov_b32_e32 v6, s8
	v_add_co_u32_e64 v10, s[0:1], s4, v10
	v_addc_co_u32_e64 v6, s[0:1], v6, v11, s[0:1]
	v_cndmask_b32_e32 v11, v6, v4, vcc
	v_cndmask_b32_e32 v10, v10, v8, vcc
	global_load_dword v4, v[10:11], off
	s_add_i32 s17, s29, s28
	s_cbranch_execz .LBB93_4
	s_branch .LBB93_13
.LBB93_3:
                                        ; implicit-def: $vgpr1_vgpr2_vgpr3_vgpr4
                                        ; implicit-def: $sgpr17
.LBB93_4:
	s_add_i32 s17, s29, s28
	s_waitcnt vmcnt(3)
	v_mov_b32_e32 v1, 0
	v_cmp_gt_u32_e32 vcc, s17, v0
	s_waitcnt vmcnt(2)
	v_mov_b32_e32 v2, v1
	s_waitcnt vmcnt(1)
	v_mov_b32_e32 v3, v1
	;; [unrolled: 2-line block ×3, first 2 shown]
	s_and_saveexec_b64 s[0:1], vcc
	s_cbranch_execz .LBB93_6
; %bb.5:
	v_mov_b32_e32 v2, s7
	v_add_co_u32_e32 v4, vcc, s5, v9
	v_subrev_u32_e32 v3, s28, v0
	v_addc_co_u32_e32 v2, vcc, 0, v2, vcc
	v_lshlrev_b32_e32 v3, 2, v3
	v_mov_b32_e32 v6, s8
	v_add_co_u32_e32 v8, vcc, s4, v3
	v_addc_co_u32_e32 v3, vcc, 0, v6, vcc
	v_cmp_gt_u32_e32 vcc, s28, v0
	v_cndmask_b32_e32 v3, v3, v2, vcc
	v_cndmask_b32_e32 v2, v8, v4, vcc
	global_load_dword v10, v[2:3], off
	v_mov_b32_e32 v11, v1
	v_mov_b32_e32 v12, v1
	;; [unrolled: 1-line block ×3, first 2 shown]
	s_waitcnt vmcnt(0)
	v_mov_b32_e32 v1, v10
	v_mov_b32_e32 v2, v11
	;; [unrolled: 1-line block ×4, first 2 shown]
.LBB93_6:
	s_or_b64 exec, exec, s[0:1]
	v_cmp_gt_u32_e32 vcc, s17, v5
	s_and_saveexec_b64 s[2:3], vcc
	s_cbranch_execz .LBB93_8
; %bb.7:
	v_mov_b32_e32 v6, 0
	v_lshlrev_b64 v[10:11], 2, v[5:6]
	v_mov_b32_e32 v2, s7
	v_add_co_u32_e32 v8, vcc, s5, v10
	v_addc_co_u32_e32 v2, vcc, v2, v11, vcc
	v_subrev_co_u32_e32 v10, vcc, s28, v5
	v_mov_b32_e32 v11, v6
	v_lshlrev_b64 v[10:11], 2, v[10:11]
	v_mov_b32_e32 v6, s8
	v_add_co_u32_e64 v10, s[0:1], s4, v10
	v_addc_co_u32_e64 v6, s[0:1], v6, v11, s[0:1]
	v_cndmask_b32_e32 v11, v6, v2, vcc
	v_cndmask_b32_e32 v10, v10, v8, vcc
	global_load_dword v2, v[10:11], off
.LBB93_8:
	s_or_b64 exec, exec, s[2:3]
	v_add_u32_e32 v5, v5, v7
	v_cmp_gt_u32_e32 vcc, s17, v5
	s_and_saveexec_b64 s[2:3], vcc
	s_cbranch_execz .LBB93_10
; %bb.9:
	v_mov_b32_e32 v6, 0
	v_lshlrev_b64 v[10:11], 2, v[5:6]
	v_mov_b32_e32 v3, s7
	v_add_co_u32_e32 v8, vcc, s5, v10
	v_addc_co_u32_e32 v3, vcc, v3, v11, vcc
	v_subrev_co_u32_e32 v10, vcc, s28, v5
	v_mov_b32_e32 v11, v6
	v_lshlrev_b64 v[10:11], 2, v[10:11]
	v_mov_b32_e32 v6, s8
	v_add_co_u32_e64 v10, s[0:1], s4, v10
	v_addc_co_u32_e64 v6, s[0:1], v6, v11, s[0:1]
	v_cndmask_b32_e32 v11, v6, v3, vcc
	v_cndmask_b32_e32 v10, v10, v8, vcc
	global_load_dword v3, v[10:11], off
.LBB93_10:
	s_or_b64 exec, exec, s[2:3]
	v_add_u32_e32 v5, v5, v7
	v_cmp_gt_u32_e32 vcc, s17, v5
	s_and_saveexec_b64 s[2:3], vcc
	s_cbranch_execz .LBB93_12
; %bb.11:
	v_mov_b32_e32 v6, 0
	v_lshlrev_b64 v[7:8], 2, v[5:6]
	v_mov_b32_e32 v4, s7
	v_add_co_u32_e32 v7, vcc, s5, v7
	v_addc_co_u32_e32 v8, vcc, v4, v8, vcc
	v_subrev_co_u32_e32 v5, vcc, s28, v5
	v_lshlrev_b64 v[4:5], 2, v[5:6]
	v_mov_b32_e32 v6, s8
	v_add_co_u32_e64 v4, s[0:1], s4, v4
	v_addc_co_u32_e64 v5, s[0:1], v6, v5, s[0:1]
	v_cndmask_b32_e32 v5, v5, v8, vcc
	v_cndmask_b32_e32 v4, v4, v7, vcc
	global_load_dword v4, v[4:5], off
.LBB93_12:
	s_or_b64 exec, exec, s[2:3]
.LBB93_13:
	v_min_u32_e32 v6, s17, v9
	v_sub_u32_e64 v5, v6, s29 clamp
	v_min_u32_e32 v7, s28, v6
	v_cmp_lt_u32_e32 vcc, v5, v7
	s_waitcnt vmcnt(0)
	ds_write2st64_b32 v9, v1, v2 offset1:2
	ds_write2st64_b32 v9, v3, v4 offset0:4 offset1:6
	s_waitcnt lgkmcnt(0)
	s_barrier
	s_and_saveexec_b64 s[0:1], vcc
	s_cbranch_execz .LBB93_17
; %bb.14:
	v_lshlrev_b32_e32 v8, 2, v6
	v_lshl_add_u32 v8, s28, 2, v8
	s_mov_b64 s[2:3], 0
.LBB93_15:                              ; =>This Inner Loop Header: Depth=1
	v_add_u32_e32 v10, v7, v5
	v_lshrrev_b32_e32 v10, 1, v10
	v_not_b32_e32 v11, v10
	v_lshlrev_b32_e32 v12, 2, v10
	v_lshl_add_u32 v11, v11, 2, v8
	ds_read_b32 v12, v12
	ds_read_b32 v11, v11
	v_add_u32_e32 v13, 1, v10
	s_waitcnt lgkmcnt(1)
	v_and_b32_e32 v12, s19, v12
	s_waitcnt lgkmcnt(0)
	v_and_b32_e32 v11, s19, v11
	v_cmp_gt_i32_e32 vcc, v12, v11
	v_cndmask_b32_e32 v7, v7, v10, vcc
	v_cndmask_b32_e32 v5, v13, v5, vcc
	v_cmp_ge_u32_e32 vcc, v5, v7
	s_or_b64 s[2:3], vcc, s[2:3]
	s_andn2_b64 exec, exec, s[2:3]
	s_cbranch_execnz .LBB93_15
; %bb.16:
	s_or_b64 exec, exec, s[2:3]
.LBB93_17:
	s_or_b64 exec, exec, s[0:1]
	v_sub_u32_e32 v6, v6, v5
	v_add_u32_e32 v6, s28, v6
	v_cmp_ge_u32_e32 vcc, s28, v5
	v_cmp_ge_u32_e64 s[0:1], s17, v6
	s_or_b64 s[0:1], vcc, s[0:1]
	v_mov_b32_e32 v10, 0
	v_mov_b32_e32 v11, 0
	;; [unrolled: 1-line block ×4, first 2 shown]
	s_and_saveexec_b64 s[8:9], s[0:1]
	s_cbranch_execz .LBB93_23
; %bb.18:
	v_cmp_gt_u32_e32 vcc, s28, v5
                                        ; implicit-def: $vgpr1
	s_and_saveexec_b64 s[0:1], vcc
; %bb.19:
	v_lshlrev_b32_e32 v1, 2, v5
	ds_read_b32 v1, v1
; %bb.20:
	s_or_b64 exec, exec, s[0:1]
	v_cmp_le_u32_e64 s[0:1], s17, v6
	v_cmp_gt_u32_e64 s[2:3], s17, v6
                                        ; implicit-def: $vgpr2
	s_and_saveexec_b64 s[4:5], s[2:3]
; %bb.21:
	v_lshlrev_b32_e32 v2, 2, v6
	ds_read_b32 v2, v2
; %bb.22:
	s_or_b64 exec, exec, s[4:5]
	s_waitcnt lgkmcnt(0)
	v_and_b32_e32 v3, s19, v2
	v_and_b32_e32 v4, s19, v1
	v_cmp_le_i32_e64 s[2:3], v4, v3
	s_and_b64 s[2:3], vcc, s[2:3]
	s_or_b64 vcc, s[0:1], s[2:3]
	v_mov_b32_e32 v3, s17
	v_mov_b32_e32 v4, s28
	v_cndmask_b32_e32 v13, v6, v5, vcc
	v_cndmask_b32_e32 v7, v3, v4, vcc
	v_add_u32_e32 v8, 1, v13
	v_add_u32_e32 v7, -1, v7
	v_min_u32_e32 v7, v8, v7
	v_lshlrev_b32_e32 v7, 2, v7
	ds_read_b32 v7, v7
	v_cndmask_b32_e32 v6, v8, v6, vcc
	v_cndmask_b32_e32 v5, v5, v8, vcc
	v_cmp_gt_u32_e64 s[2:3], s28, v5
	v_cmp_le_u32_e64 s[0:1], s17, v6
	s_waitcnt lgkmcnt(0)
	v_cndmask_b32_e32 v10, v7, v2, vcc
	v_cndmask_b32_e32 v7, v1, v7, vcc
	v_and_b32_e32 v8, s19, v10
	v_and_b32_e32 v11, s19, v7
	v_cmp_le_i32_e64 s[4:5], v11, v8
	s_and_b64 s[2:3], s[2:3], s[4:5]
	s_or_b64 s[0:1], s[0:1], s[2:3]
	v_cndmask_b32_e64 v12, v6, v5, s[0:1]
	v_cndmask_b32_e64 v8, v3, v4, s[0:1]
	v_add_u32_e32 v11, 1, v12
	v_add_u32_e32 v8, -1, v8
	v_min_u32_e32 v8, v11, v8
	v_lshlrev_b32_e32 v8, 2, v8
	ds_read_b32 v8, v8
	v_cndmask_b32_e64 v6, v11, v6, s[0:1]
	v_cndmask_b32_e64 v5, v5, v11, s[0:1]
	v_cmp_gt_u32_e64 s[4:5], s28, v5
	v_cmp_le_u32_e64 s[2:3], s17, v6
	s_waitcnt lgkmcnt(0)
	v_cndmask_b32_e64 v14, v8, v10, s[0:1]
	v_cndmask_b32_e64 v8, v7, v8, s[0:1]
	v_and_b32_e32 v11, s19, v14
	v_and_b32_e32 v15, s19, v8
	v_cmp_le_i32_e64 s[6:7], v15, v11
	s_and_b64 s[4:5], s[4:5], s[6:7]
	s_or_b64 s[2:3], s[2:3], s[4:5]
	v_cndmask_b32_e64 v11, v6, v5, s[2:3]
	v_cndmask_b32_e64 v3, v3, v4, s[2:3]
	v_add_u32_e32 v4, 1, v11
	v_add_u32_e32 v3, -1, v3
	v_min_u32_e32 v3, v4, v3
	v_lshlrev_b32_e32 v3, 2, v3
	ds_read_b32 v15, v3
	v_cndmask_b32_e32 v1, v2, v1, vcc
	v_cndmask_b32_e64 v2, v10, v7, s[0:1]
	v_cndmask_b32_e64 v3, v14, v8, s[2:3]
	;; [unrolled: 1-line block ×3, first 2 shown]
	s_waitcnt lgkmcnt(0)
	v_cndmask_b32_e64 v7, v15, v14, s[2:3]
	v_cndmask_b32_e64 v8, v8, v15, s[2:3]
	;; [unrolled: 1-line block ×3, first 2 shown]
	v_and_b32_e32 v5, s19, v7
	v_and_b32_e32 v10, s19, v8
	v_cmp_gt_u32_e64 s[0:1], s28, v4
	v_cmp_le_i32_e64 s[2:3], v10, v5
	v_cmp_le_u32_e32 vcc, s17, v6
	s_and_b64 s[0:1], s[0:1], s[2:3]
	s_or_b64 vcc, vcc, s[0:1]
	v_cndmask_b32_e32 v10, v6, v4, vcc
	v_cndmask_b32_e32 v4, v7, v8, vcc
.LBB93_23:
	s_or_b64 exec, exec, s[8:9]
	s_lshl_b64 s[0:1], s[22:23], 3
	s_add_u32 s8, s12, s0
	s_addc_u32 s9, s13, s1
	s_lshl_b64 s[0:1], s[24:25], 3
	s_add_u32 s6, s12, s0
	v_cndmask_b32_e64 v5, 0, 1, s[20:21]
	s_addc_u32 s7, s13, s1
	v_cmp_gt_u32_e64 s[4:5], s28, v0
	v_cmp_ne_u32_e64 s[0:1], 1, v5
	s_andn2_b64 vcc, exec, s[20:21]
	v_cmp_le_u32_e64 s[2:3], s28, v0
	s_barrier
	s_cbranch_vccnz .LBB93_25
; %bb.24:
	v_lshlrev_b32_e32 v8, 3, v0
	v_mov_b32_e32 v5, s9
	v_add_co_u32_e32 v7, vcc, s8, v8
	v_subrev_u32_e32 v6, s28, v0
	v_addc_co_u32_e32 v5, vcc, 0, v5, vcc
	v_lshlrev_b32_e32 v6, 3, v6
	v_mov_b32_e32 v14, s7
	v_add_co_u32_e32 v15, vcc, s6, v6
	v_addc_co_u32_e32 v6, vcc, 0, v14, vcc
	v_cndmask_b32_e64 v6, v6, v5, s[4:5]
	v_cndmask_b32_e64 v5, v15, v7, s[4:5]
	global_load_dwordx2 v[15:16], v[5:6], off
	v_or_b32_e32 v5, 0x80, v0
	v_subrev_u32_e32 v6, s28, v5
	v_min_u32_e32 v6, v5, v6
	v_cmp_gt_u32_e32 vcc, s28, v5
	v_mov_b32_e32 v22, s6
	v_mov_b32_e32 v23, s8
	;; [unrolled: 1-line block ×4, first 2 shown]
	v_cndmask_b32_e32 v5, v22, v23, vcc
	v_lshlrev_b32_e32 v6, 3, v6
	v_cndmask_b32_e32 v14, v7, v21, vcc
	v_add_co_u32_e32 v5, vcc, v5, v6
	v_addc_co_u32_e32 v6, vcc, 0, v14, vcc
	global_load_dwordx2 v[17:18], v[5:6], off
	v_or_b32_e32 v5, 0x100, v0
	v_subrev_u32_e32 v6, s28, v5
	v_min_u32_e32 v6, v5, v6
	v_cmp_gt_u32_e32 vcc, s28, v5
	v_cndmask_b32_e32 v5, v22, v23, vcc
	v_lshlrev_b32_e32 v6, 3, v6
	v_cndmask_b32_e32 v14, v7, v21, vcc
	v_add_co_u32_e32 v5, vcc, v5, v6
	v_addc_co_u32_e32 v6, vcc, 0, v14, vcc
	global_load_dwordx2 v[19:20], v[5:6], off
	v_or_b32_e32 v14, 0x180, v0
	v_subrev_u32_e32 v5, s28, v14
	v_cmp_gt_u32_e32 vcc, s28, v14
	v_cndmask_b32_e32 v6, v7, v21, vcc
	v_min_u32_e32 v7, v14, v5
	v_cndmask_b32_e32 v5, v22, v23, vcc
	s_mov_b64 s[4:5], -1
	s_waitcnt vmcnt(1)
	ds_write2st64_b64 v8, v[15:16], v[17:18] offset1:2
	s_waitcnt vmcnt(0)
	ds_write_b64 v8, v[19:20] offset:2048
	s_cbranch_execz .LBB93_26
	s_branch .LBB93_43
.LBB93_25:
	s_mov_b64 s[4:5], 0
                                        ; implicit-def: $vgpr14
                                        ; implicit-def: $vgpr5_vgpr6
                                        ; implicit-def: $vgpr7
.LBB93_26:
	s_and_saveexec_b64 s[4:5], s[2:3]
	s_xor_b64 s[2:3], exec, s[4:5]
	s_cbranch_execz .LBB93_30
; %bb.27:
	v_subrev_u32_e32 v5, s28, v0
	v_cmp_gt_u32_e32 vcc, s29, v5
	s_and_saveexec_b64 s[4:5], vcc
	s_cbranch_execz .LBB93_29
; %bb.28:
	v_lshlrev_b32_e32 v5, 3, v5
	global_load_dwordx2 v[5:6], v5, s[6:7]
	v_add_u32_e32 v7, v9, v9
	s_waitcnt vmcnt(0)
	ds_write_b64 v7, v[5:6]
.LBB93_29:
	s_or_b64 exec, exec, s[4:5]
.LBB93_30:
	s_or_saveexec_b64 s[2:3], s[2:3]
	v_add_u32_e32 v7, v9, v9
	s_xor_b64 exec, exec, s[2:3]
	s_cbranch_execz .LBB93_32
; %bb.31:
	v_lshlrev_b32_e32 v5, 3, v0
	global_load_dwordx2 v[5:6], v5, s[8:9]
	s_waitcnt vmcnt(0)
	ds_write_b64 v7, v[5:6]
.LBB93_32:
	s_or_b64 exec, exec, s[2:3]
	v_or_b32_e32 v8, 0x80, v0
	v_mov_b32_e32 v5, s22
	v_cmp_le_u32_e32 vcc, s28, v8
	s_mov_b64 s[2:3], -1
	v_mov_b32_e32 v6, s23
	s_and_saveexec_b64 s[4:5], vcc
; %bb.33:
	v_subrev_u32_e32 v8, s28, v8
	v_cmp_gt_u32_e32 vcc, s29, v8
	v_mov_b32_e32 v5, s24
	v_mov_b32_e32 v6, s25
	s_orn2_b64 s[2:3], vcc, exec
; %bb.34:
	s_or_b64 exec, exec, s[4:5]
	s_and_saveexec_b64 s[4:5], s[2:3]
	s_cbranch_execz .LBB93_36
; %bb.35:
	v_lshlrev_b64 v[5:6], 3, v[5:6]
	v_mov_b32_e32 v14, s13
	v_add_co_u32_e32 v5, vcc, s12, v5
	v_addc_co_u32_e32 v6, vcc, v14, v6, vcc
	v_lshlrev_b32_e32 v8, 3, v8
	v_add_co_u32_e32 v5, vcc, v5, v8
	v_addc_co_u32_e32 v6, vcc, 0, v6, vcc
	global_load_dwordx2 v[5:6], v[5:6], off
	s_waitcnt vmcnt(0)
	ds_write_b64 v7, v[5:6] offset:1024
.LBB93_36:
	s_or_b64 exec, exec, s[4:5]
	v_or_b32_e32 v8, 0x100, v0
	v_mov_b32_e32 v5, s22
	v_cmp_le_u32_e32 vcc, s28, v8
	s_mov_b64 s[2:3], -1
	v_mov_b32_e32 v6, s23
	s_and_saveexec_b64 s[4:5], vcc
; %bb.37:
	v_subrev_u32_e32 v8, s28, v8
	v_cmp_gt_u32_e32 vcc, s29, v8
	v_mov_b32_e32 v5, s24
	v_mov_b32_e32 v6, s25
	s_orn2_b64 s[2:3], vcc, exec
; %bb.38:
	s_or_b64 exec, exec, s[4:5]
	s_and_saveexec_b64 s[4:5], s[2:3]
	s_cbranch_execz .LBB93_40
; %bb.39:
	v_lshlrev_b64 v[5:6], 3, v[5:6]
	v_mov_b32_e32 v14, s13
	v_add_co_u32_e32 v5, vcc, s12, v5
	v_addc_co_u32_e32 v6, vcc, v14, v6, vcc
	v_lshlrev_b32_e32 v8, 3, v8
	v_add_co_u32_e32 v5, vcc, v5, v8
	v_addc_co_u32_e32 v6, vcc, 0, v6, vcc
	global_load_dwordx2 v[5:6], v[5:6], off
	s_waitcnt vmcnt(0)
	ds_write_b64 v7, v[5:6] offset:2048
.LBB93_40:
	s_or_b64 exec, exec, s[4:5]
	v_or_b32_e32 v14, 0x180, v0
	v_mov_b32_e32 v5, s8
	v_cmp_le_u32_e32 vcc, s28, v14
	s_mov_b64 s[4:5], -1
	v_mov_b32_e32 v6, s9
	v_mov_b32_e32 v7, v14
	s_and_saveexec_b64 s[2:3], vcc
; %bb.41:
	v_subrev_u32_e32 v7, s28, v14
	v_cmp_gt_u32_e32 vcc, s29, v7
	v_mov_b32_e32 v5, s6
	v_mov_b32_e32 v6, s7
	s_orn2_b64 s[4:5], vcc, exec
; %bb.42:
	s_or_b64 exec, exec, s[2:3]
.LBB93_43:
	s_and_saveexec_b64 s[2:3], s[4:5]
	s_cbranch_execz .LBB93_45
; %bb.44:
	v_mov_b32_e32 v8, 0
	v_lshlrev_b64 v[7:8], 3, v[7:8]
	v_add_co_u32_e32 v5, vcc, v5, v7
	v_addc_co_u32_e32 v6, vcc, v6, v8, vcc
	global_load_dwordx2 v[5:6], v[5:6], off
	v_lshlrev_b32_e32 v7, 3, v14
	s_waitcnt vmcnt(0)
	ds_write_b64 v7, v[5:6]
.LBB93_45:
	s_or_b64 exec, exec, s[2:3]
	s_and_b64 vcc, exec, s[0:1]
	v_add_u32_e32 v5, s18, v9
	s_waitcnt lgkmcnt(0)
	s_barrier
	s_cbranch_vccnz .LBB93_47
; %bb.46:
	v_lshlrev_b32_e32 v14, 3, v13
	v_lshlrev_b32_e32 v16, 3, v12
	;; [unrolled: 1-line block ×3, first 2 shown]
	v_mov_b32_e32 v6, 0
	ds_read_b64 v[14:15], v14
	ds_read_b64 v[16:17], v16
	ds_read_b64 v[18:19], v18
	v_lshlrev_b64 v[7:8], 3, v[5:6]
	v_mov_b32_e32 v20, s15
	v_add_co_u32_e32 v7, vcc, s14, v7
	v_addc_co_u32_e32 v8, vcc, v20, v8, vcc
	s_mov_b64 s[0:1], -1
	s_waitcnt lgkmcnt(1)
	global_store_dwordx4 v[7:8], v[14:17], off
	s_waitcnt lgkmcnt(0)
	global_store_dwordx2 v[7:8], v[18:19], off offset:16
	s_cbranch_execz .LBB93_48
	s_branch .LBB93_57
.LBB93_47:
	s_mov_b64 s[0:1], 0
.LBB93_48:
	v_cmp_gt_u32_e32 vcc, s17, v9
	s_and_saveexec_b64 s[2:3], vcc
	s_cbranch_execz .LBB93_50
; %bb.49:
	v_lshlrev_b32_e32 v8, 3, v13
	v_mov_b32_e32 v6, 0
	ds_read_b64 v[13:14], v8
	v_lshlrev_b64 v[6:7], 3, v[5:6]
	v_mov_b32_e32 v15, s15
	v_add_co_u32_e32 v6, vcc, s14, v6
	v_addc_co_u32_e32 v7, vcc, v15, v7, vcc
	s_waitcnt lgkmcnt(0)
	global_store_dwordx2 v[6:7], v[13:14], off
.LBB93_50:
	s_or_b64 exec, exec, s[2:3]
	v_or_b32_e32 v6, 1, v9
	v_cmp_gt_u32_e32 vcc, s17, v6
	s_and_saveexec_b64 s[2:3], vcc
	s_cbranch_execz .LBB93_52
; %bb.51:
	v_lshlrev_b32_e32 v8, 3, v12
	v_mov_b32_e32 v6, 0
	ds_read_b64 v[12:13], v8
	v_lshlrev_b64 v[6:7], 3, v[5:6]
	v_mov_b32_e32 v14, s15
	v_add_co_u32_e32 v6, vcc, s14, v6
	v_addc_co_u32_e32 v7, vcc, v14, v7, vcc
	s_waitcnt lgkmcnt(0)
	global_store_dwordx2 v[6:7], v[12:13], off offset:8
.LBB93_52:
	s_or_b64 exec, exec, s[2:3]
	v_or_b32_e32 v6, 2, v9
	v_cmp_gt_u32_e32 vcc, s17, v6
	s_and_saveexec_b64 s[2:3], vcc
	s_cbranch_execz .LBB93_54
; %bb.53:
	v_lshlrev_b32_e32 v8, 3, v11
	v_mov_b32_e32 v6, 0
	ds_read_b64 v[11:12], v8
	v_lshlrev_b64 v[6:7], 3, v[5:6]
	v_mov_b32_e32 v13, s15
	v_add_co_u32_e32 v6, vcc, s14, v6
	v_addc_co_u32_e32 v7, vcc, v13, v7, vcc
	s_waitcnt lgkmcnt(0)
	global_store_dwordx2 v[6:7], v[11:12], off offset:16
.LBB93_54:
	s_or_b64 exec, exec, s[2:3]
	v_or_b32_e32 v6, 3, v9
	v_cmp_gt_u32_e32 vcc, s17, v6
	s_and_saveexec_b64 s[2:3], vcc
; %bb.55:
	v_mov_b32_e32 v6, 0
	s_or_b64 s[0:1], s[0:1], exec
; %bb.56:
	s_or_b64 exec, exec, s[2:3]
.LBB93_57:
	s_and_saveexec_b64 s[2:3], s[0:1]
	s_cbranch_execz .LBB93_59
; %bb.58:
	v_lshlrev_b32_e32 v7, 3, v10
	ds_read_b64 v[7:8], v7
	v_lshlrev_b64 v[5:6], 3, v[5:6]
	v_mov_b32_e32 v10, s15
	v_add_co_u32_e32 v5, vcc, s14, v5
	v_addc_co_u32_e32 v6, vcc, v10, v6, vcc
	s_waitcnt lgkmcnt(0)
	global_store_dwordx2 v[5:6], v[7:8], off offset:24
.LBB93_59:
	s_or_b64 exec, exec, s[2:3]
	v_lshrrev_b32_e32 v5, 3, v0
	v_lshlrev_b32_e32 v6, 2, v9
	v_lshl_add_u32 v6, v5, 2, v6
	s_waitcnt vmcnt(0)
	s_barrier
	s_barrier
	ds_write2_b32 v6, v1, v2 offset1:1
	ds_write2_b32 v6, v3, v4 offset0:2 offset1:3
	v_and_b32_e32 v1, 12, v5
	v_or_b32_e32 v5, 0x80, v0
	v_add_u32_e32 v7, v1, v9
	v_lshrrev_b32_e32 v1, 3, v5
	v_and_b32_e32 v1, 28, v1
	v_or_b32_e32 v4, 0x100, v0
	s_mov_b32 s19, 0
	v_add_u32_e32 v8, v1, v9
	v_lshrrev_b32_e32 v1, 3, v4
	s_lshl_b64 s[0:1], s[18:19], 2
	v_and_b32_e32 v1, 44, v1
	v_or_b32_e32 v3, 0x180, v0
	s_add_u32 s0, s10, s0
	v_add_u32_e32 v10, v1, v9
	v_lshrrev_b32_e32 v1, 3, v3
	s_addc_u32 s1, s11, s1
	v_and_b32_e32 v1, 60, v1
	v_add_u32_e32 v11, v1, v9
	v_mov_b32_e32 v2, s1
	v_add_co_u32_e32 v1, vcc, s0, v9
	v_addc_co_u32_e32 v2, vcc, 0, v2, vcc
	s_and_b64 vcc, exec, s[20:21]
	s_waitcnt lgkmcnt(0)
	s_cbranch_vccz .LBB93_61
; %bb.60:
	s_barrier
	ds_read_b32 v9, v7
	ds_read_b32 v12, v8 offset:512
	ds_read_b32 v13, v10 offset:1024
	;; [unrolled: 1-line block ×3, first 2 shown]
	s_waitcnt lgkmcnt(3)
	global_store_dword v[1:2], v9, off
	s_waitcnt lgkmcnt(2)
	global_store_dword v[1:2], v12, off offset:512
	s_waitcnt lgkmcnt(1)
	global_store_dword v[1:2], v13, off offset:1024
	s_mov_b64 s[0:1], -1
	s_cbranch_execz .LBB93_62
	s_branch .LBB93_67
.LBB93_61:
	s_mov_b64 s[0:1], 0
                                        ; implicit-def: $vgpr6
.LBB93_62:
	s_waitcnt vmcnt(0) lgkmcnt(0)
	s_barrier
	ds_read_b32 v9, v8 offset:512
	ds_read_b32 v8, v10 offset:1024
	;; [unrolled: 1-line block ×3, first 2 shown]
	s_sub_i32 s2, s16, s18
	v_cmp_gt_u32_e32 vcc, s2, v0
	s_and_saveexec_b64 s[0:1], vcc
	s_cbranch_execnz .LBB93_70
; %bb.63:
	s_or_b64 exec, exec, s[0:1]
	v_cmp_gt_u32_e32 vcc, s2, v5
	s_and_saveexec_b64 s[0:1], vcc
	s_cbranch_execnz .LBB93_71
.LBB93_64:
	s_or_b64 exec, exec, s[0:1]
	v_cmp_gt_u32_e32 vcc, s2, v4
	s_and_saveexec_b64 s[0:1], vcc
	s_cbranch_execz .LBB93_66
.LBB93_65:
	s_waitcnt lgkmcnt(1)
	global_store_dword v[1:2], v8, off offset:1024
.LBB93_66:
	s_or_b64 exec, exec, s[0:1]
	v_cmp_gt_u32_e64 s[0:1], s2, v3
.LBB93_67:
	s_and_saveexec_b64 s[2:3], s[0:1]
	s_cbranch_execz .LBB93_69
; %bb.68:
	s_waitcnt lgkmcnt(0)
	global_store_dword v[1:2], v6, off offset:1536
.LBB93_69:
	s_endpgm
.LBB93_70:
	ds_read_b32 v0, v7
	s_waitcnt lgkmcnt(0)
	global_store_dword v[1:2], v0, off
	s_or_b64 exec, exec, s[0:1]
	v_cmp_gt_u32_e32 vcc, s2, v5
	s_and_saveexec_b64 s[0:1], vcc
	s_cbranch_execz .LBB93_64
.LBB93_71:
	s_waitcnt lgkmcnt(2)
	global_store_dword v[1:2], v9, off offset:512
	s_or_b64 exec, exec, s[0:1]
	v_cmp_gt_u32_e32 vcc, s2, v4
	s_and_saveexec_b64 s[0:1], vcc
	s_cbranch_execnz .LBB93_65
	s_branch .LBB93_66
	.section	.rodata,"a",@progbits
	.p2align	6, 0x0
	.amdhsa_kernel _ZN7rocprim17ROCPRIM_304000_NS6detail35device_block_merge_mergepath_kernelINS1_37wrapped_merge_sort_block_merge_configINS0_14default_configEiN2at4cuda3cub6detail10OpaqueTypeILi8EEEEEPiSC_PSA_SD_jNS1_19radix_merge_compareILb0ELb1EiNS0_19identity_decomposerEEEEEvT0_T1_T2_T3_T4_SL_jT5_PKSL_NS1_7vsmem_tE
		.amdhsa_group_segment_fixed_size 4112
		.amdhsa_private_segment_fixed_size 0
		.amdhsa_kernarg_size 320
		.amdhsa_user_sgpr_count 6
		.amdhsa_user_sgpr_private_segment_buffer 1
		.amdhsa_user_sgpr_dispatch_ptr 0
		.amdhsa_user_sgpr_queue_ptr 0
		.amdhsa_user_sgpr_kernarg_segment_ptr 1
		.amdhsa_user_sgpr_dispatch_id 0
		.amdhsa_user_sgpr_flat_scratch_init 0
		.amdhsa_user_sgpr_private_segment_size 0
		.amdhsa_uses_dynamic_stack 0
		.amdhsa_system_sgpr_private_segment_wavefront_offset 0
		.amdhsa_system_sgpr_workgroup_id_x 1
		.amdhsa_system_sgpr_workgroup_id_y 1
		.amdhsa_system_sgpr_workgroup_id_z 1
		.amdhsa_system_sgpr_workgroup_info 0
		.amdhsa_system_vgpr_workitem_id 0
		.amdhsa_next_free_vgpr 29
		.amdhsa_next_free_sgpr 61
		.amdhsa_reserve_vcc 1
		.amdhsa_reserve_flat_scratch 0
		.amdhsa_float_round_mode_32 0
		.amdhsa_float_round_mode_16_64 0
		.amdhsa_float_denorm_mode_32 3
		.amdhsa_float_denorm_mode_16_64 3
		.amdhsa_dx10_clamp 1
		.amdhsa_ieee_mode 1
		.amdhsa_fp16_overflow 0
		.amdhsa_exception_fp_ieee_invalid_op 0
		.amdhsa_exception_fp_denorm_src 0
		.amdhsa_exception_fp_ieee_div_zero 0
		.amdhsa_exception_fp_ieee_overflow 0
		.amdhsa_exception_fp_ieee_underflow 0
		.amdhsa_exception_fp_ieee_inexact 0
		.amdhsa_exception_int_div_zero 0
	.end_amdhsa_kernel
	.section	.text._ZN7rocprim17ROCPRIM_304000_NS6detail35device_block_merge_mergepath_kernelINS1_37wrapped_merge_sort_block_merge_configINS0_14default_configEiN2at4cuda3cub6detail10OpaqueTypeILi8EEEEEPiSC_PSA_SD_jNS1_19radix_merge_compareILb0ELb1EiNS0_19identity_decomposerEEEEEvT0_T1_T2_T3_T4_SL_jT5_PKSL_NS1_7vsmem_tE,"axG",@progbits,_ZN7rocprim17ROCPRIM_304000_NS6detail35device_block_merge_mergepath_kernelINS1_37wrapped_merge_sort_block_merge_configINS0_14default_configEiN2at4cuda3cub6detail10OpaqueTypeILi8EEEEEPiSC_PSA_SD_jNS1_19radix_merge_compareILb0ELb1EiNS0_19identity_decomposerEEEEEvT0_T1_T2_T3_T4_SL_jT5_PKSL_NS1_7vsmem_tE,comdat
.Lfunc_end93:
	.size	_ZN7rocprim17ROCPRIM_304000_NS6detail35device_block_merge_mergepath_kernelINS1_37wrapped_merge_sort_block_merge_configINS0_14default_configEiN2at4cuda3cub6detail10OpaqueTypeILi8EEEEEPiSC_PSA_SD_jNS1_19radix_merge_compareILb0ELb1EiNS0_19identity_decomposerEEEEEvT0_T1_T2_T3_T4_SL_jT5_PKSL_NS1_7vsmem_tE, .Lfunc_end93-_ZN7rocprim17ROCPRIM_304000_NS6detail35device_block_merge_mergepath_kernelINS1_37wrapped_merge_sort_block_merge_configINS0_14default_configEiN2at4cuda3cub6detail10OpaqueTypeILi8EEEEEPiSC_PSA_SD_jNS1_19radix_merge_compareILb0ELb1EiNS0_19identity_decomposerEEEEEvT0_T1_T2_T3_T4_SL_jT5_PKSL_NS1_7vsmem_tE
                                        ; -- End function
	.set _ZN7rocprim17ROCPRIM_304000_NS6detail35device_block_merge_mergepath_kernelINS1_37wrapped_merge_sort_block_merge_configINS0_14default_configEiN2at4cuda3cub6detail10OpaqueTypeILi8EEEEEPiSC_PSA_SD_jNS1_19radix_merge_compareILb0ELb1EiNS0_19identity_decomposerEEEEEvT0_T1_T2_T3_T4_SL_jT5_PKSL_NS1_7vsmem_tE.num_vgpr, 24
	.set _ZN7rocprim17ROCPRIM_304000_NS6detail35device_block_merge_mergepath_kernelINS1_37wrapped_merge_sort_block_merge_configINS0_14default_configEiN2at4cuda3cub6detail10OpaqueTypeILi8EEEEEPiSC_PSA_SD_jNS1_19radix_merge_compareILb0ELb1EiNS0_19identity_decomposerEEEEEvT0_T1_T2_T3_T4_SL_jT5_PKSL_NS1_7vsmem_tE.num_agpr, 0
	.set _ZN7rocprim17ROCPRIM_304000_NS6detail35device_block_merge_mergepath_kernelINS1_37wrapped_merge_sort_block_merge_configINS0_14default_configEiN2at4cuda3cub6detail10OpaqueTypeILi8EEEEEPiSC_PSA_SD_jNS1_19radix_merge_compareILb0ELb1EiNS0_19identity_decomposerEEEEEvT0_T1_T2_T3_T4_SL_jT5_PKSL_NS1_7vsmem_tE.numbered_sgpr, 32
	.set _ZN7rocprim17ROCPRIM_304000_NS6detail35device_block_merge_mergepath_kernelINS1_37wrapped_merge_sort_block_merge_configINS0_14default_configEiN2at4cuda3cub6detail10OpaqueTypeILi8EEEEEPiSC_PSA_SD_jNS1_19radix_merge_compareILb0ELb1EiNS0_19identity_decomposerEEEEEvT0_T1_T2_T3_T4_SL_jT5_PKSL_NS1_7vsmem_tE.num_named_barrier, 0
	.set _ZN7rocprim17ROCPRIM_304000_NS6detail35device_block_merge_mergepath_kernelINS1_37wrapped_merge_sort_block_merge_configINS0_14default_configEiN2at4cuda3cub6detail10OpaqueTypeILi8EEEEEPiSC_PSA_SD_jNS1_19radix_merge_compareILb0ELb1EiNS0_19identity_decomposerEEEEEvT0_T1_T2_T3_T4_SL_jT5_PKSL_NS1_7vsmem_tE.private_seg_size, 0
	.set _ZN7rocprim17ROCPRIM_304000_NS6detail35device_block_merge_mergepath_kernelINS1_37wrapped_merge_sort_block_merge_configINS0_14default_configEiN2at4cuda3cub6detail10OpaqueTypeILi8EEEEEPiSC_PSA_SD_jNS1_19radix_merge_compareILb0ELb1EiNS0_19identity_decomposerEEEEEvT0_T1_T2_T3_T4_SL_jT5_PKSL_NS1_7vsmem_tE.uses_vcc, 1
	.set _ZN7rocprim17ROCPRIM_304000_NS6detail35device_block_merge_mergepath_kernelINS1_37wrapped_merge_sort_block_merge_configINS0_14default_configEiN2at4cuda3cub6detail10OpaqueTypeILi8EEEEEPiSC_PSA_SD_jNS1_19radix_merge_compareILb0ELb1EiNS0_19identity_decomposerEEEEEvT0_T1_T2_T3_T4_SL_jT5_PKSL_NS1_7vsmem_tE.uses_flat_scratch, 0
	.set _ZN7rocprim17ROCPRIM_304000_NS6detail35device_block_merge_mergepath_kernelINS1_37wrapped_merge_sort_block_merge_configINS0_14default_configEiN2at4cuda3cub6detail10OpaqueTypeILi8EEEEEPiSC_PSA_SD_jNS1_19radix_merge_compareILb0ELb1EiNS0_19identity_decomposerEEEEEvT0_T1_T2_T3_T4_SL_jT5_PKSL_NS1_7vsmem_tE.has_dyn_sized_stack, 0
	.set _ZN7rocprim17ROCPRIM_304000_NS6detail35device_block_merge_mergepath_kernelINS1_37wrapped_merge_sort_block_merge_configINS0_14default_configEiN2at4cuda3cub6detail10OpaqueTypeILi8EEEEEPiSC_PSA_SD_jNS1_19radix_merge_compareILb0ELb1EiNS0_19identity_decomposerEEEEEvT0_T1_T2_T3_T4_SL_jT5_PKSL_NS1_7vsmem_tE.has_recursion, 0
	.set _ZN7rocprim17ROCPRIM_304000_NS6detail35device_block_merge_mergepath_kernelINS1_37wrapped_merge_sort_block_merge_configINS0_14default_configEiN2at4cuda3cub6detail10OpaqueTypeILi8EEEEEPiSC_PSA_SD_jNS1_19radix_merge_compareILb0ELb1EiNS0_19identity_decomposerEEEEEvT0_T1_T2_T3_T4_SL_jT5_PKSL_NS1_7vsmem_tE.has_indirect_call, 0
	.section	.AMDGPU.csdata,"",@progbits
; Kernel info:
; codeLenInByte = 3316
; TotalNumSgprs: 36
; NumVgprs: 24
; ScratchSize: 0
; MemoryBound: 0
; FloatMode: 240
; IeeeMode: 1
; LDSByteSize: 4112 bytes/workgroup (compile time only)
; SGPRBlocks: 8
; VGPRBlocks: 7
; NumSGPRsForWavesPerEU: 65
; NumVGPRsForWavesPerEU: 29
; Occupancy: 8
; WaveLimiterHint : 1
; COMPUTE_PGM_RSRC2:SCRATCH_EN: 0
; COMPUTE_PGM_RSRC2:USER_SGPR: 6
; COMPUTE_PGM_RSRC2:TRAP_HANDLER: 0
; COMPUTE_PGM_RSRC2:TGID_X_EN: 1
; COMPUTE_PGM_RSRC2:TGID_Y_EN: 1
; COMPUTE_PGM_RSRC2:TGID_Z_EN: 1
; COMPUTE_PGM_RSRC2:TIDIG_COMP_CNT: 0
	.section	.text._ZN7rocprim17ROCPRIM_304000_NS6detail33device_block_merge_oddeven_kernelINS1_37wrapped_merge_sort_block_merge_configINS0_14default_configEiN2at4cuda3cub6detail10OpaqueTypeILi8EEEEEPiSC_PSA_SD_jNS1_19radix_merge_compareILb0ELb1EiNS0_19identity_decomposerEEEEEvT0_T1_T2_T3_T4_SL_T5_,"axG",@progbits,_ZN7rocprim17ROCPRIM_304000_NS6detail33device_block_merge_oddeven_kernelINS1_37wrapped_merge_sort_block_merge_configINS0_14default_configEiN2at4cuda3cub6detail10OpaqueTypeILi8EEEEEPiSC_PSA_SD_jNS1_19radix_merge_compareILb0ELb1EiNS0_19identity_decomposerEEEEEvT0_T1_T2_T3_T4_SL_T5_,comdat
	.protected	_ZN7rocprim17ROCPRIM_304000_NS6detail33device_block_merge_oddeven_kernelINS1_37wrapped_merge_sort_block_merge_configINS0_14default_configEiN2at4cuda3cub6detail10OpaqueTypeILi8EEEEEPiSC_PSA_SD_jNS1_19radix_merge_compareILb0ELb1EiNS0_19identity_decomposerEEEEEvT0_T1_T2_T3_T4_SL_T5_ ; -- Begin function _ZN7rocprim17ROCPRIM_304000_NS6detail33device_block_merge_oddeven_kernelINS1_37wrapped_merge_sort_block_merge_configINS0_14default_configEiN2at4cuda3cub6detail10OpaqueTypeILi8EEEEEPiSC_PSA_SD_jNS1_19radix_merge_compareILb0ELb1EiNS0_19identity_decomposerEEEEEvT0_T1_T2_T3_T4_SL_T5_
	.globl	_ZN7rocprim17ROCPRIM_304000_NS6detail33device_block_merge_oddeven_kernelINS1_37wrapped_merge_sort_block_merge_configINS0_14default_configEiN2at4cuda3cub6detail10OpaqueTypeILi8EEEEEPiSC_PSA_SD_jNS1_19radix_merge_compareILb0ELb1EiNS0_19identity_decomposerEEEEEvT0_T1_T2_T3_T4_SL_T5_
	.p2align	8
	.type	_ZN7rocprim17ROCPRIM_304000_NS6detail33device_block_merge_oddeven_kernelINS1_37wrapped_merge_sort_block_merge_configINS0_14default_configEiN2at4cuda3cub6detail10OpaqueTypeILi8EEEEEPiSC_PSA_SD_jNS1_19radix_merge_compareILb0ELb1EiNS0_19identity_decomposerEEEEEvT0_T1_T2_T3_T4_SL_T5_,@function
_ZN7rocprim17ROCPRIM_304000_NS6detail33device_block_merge_oddeven_kernelINS1_37wrapped_merge_sort_block_merge_configINS0_14default_configEiN2at4cuda3cub6detail10OpaqueTypeILi8EEEEEPiSC_PSA_SD_jNS1_19radix_merge_compareILb0ELb1EiNS0_19identity_decomposerEEEEEvT0_T1_T2_T3_T4_SL_T5_: ; @_ZN7rocprim17ROCPRIM_304000_NS6detail33device_block_merge_oddeven_kernelINS1_37wrapped_merge_sort_block_merge_configINS0_14default_configEiN2at4cuda3cub6detail10OpaqueTypeILi8EEEEEPiSC_PSA_SD_jNS1_19radix_merge_compareILb0ELb1EiNS0_19identity_decomposerEEEEEvT0_T1_T2_T3_T4_SL_T5_
; %bb.0:
	s_load_dwordx4 s[16:19], s[4:5], 0x20
	s_waitcnt lgkmcnt(0)
	s_lshr_b32 s0, s16, 7
	s_cmp_eq_u32 s6, s0
	s_cselect_b64 s[20:21], -1, 0
	s_cmp_lg_u32 s6, s0
	s_cselect_b64 s[0:1], -1, 0
	s_lshl_b32 s22, s6, 7
	s_sub_i32 s2, s16, s22
	v_cmp_gt_u32_e64 s[2:3], s2, v0
	s_or_b64 s[0:1], s[0:1], s[2:3]
	s_and_saveexec_b64 s[8:9], s[0:1]
	s_cbranch_execz .LBB94_24
; %bb.1:
	s_load_dwordx8 s[8:15], s[4:5], 0x0
	s_mov_b32 s23, 0
	s_lshl_b64 s[0:1], s[22:23], 2
	v_lshlrev_b32_e32 v4, 3, v0
	v_lshlrev_b32_e32 v3, 2, v0
	s_waitcnt lgkmcnt(0)
	s_add_u32 s0, s8, s0
	s_addc_u32 s1, s9, s1
	s_lshl_b64 s[4:5], s[22:23], 3
	s_add_u32 s4, s12, s4
	s_addc_u32 s5, s13, s5
	global_load_dwordx2 v[1:2], v4, s[4:5]
	global_load_dword v5, v3, s[0:1]
	s_lshr_b32 s0, s17, 7
	s_sub_i32 s1, 0, s0
	s_and_b32 s1, s6, s1
	s_and_b32 s0, s1, s0
	s_lshl_b32 s13, s1, 7
	s_sub_i32 s6, 0, s17
	s_cmp_eq_u32 s0, 0
	s_cselect_b64 s[0:1], -1, 0
	s_and_b64 s[4:5], s[0:1], exec
	s_cselect_b32 s6, s17, s6
	s_add_i32 s6, s6, s13
	s_mov_b64 s[4:5], -1
	s_cmp_gt_u32 s16, s6
	v_add_u32_e32 v3, s22, v0
	s_cbranch_scc1 .LBB94_9
; %bb.2:
	s_and_b64 vcc, exec, s[20:21]
	s_cbranch_vccz .LBB94_6
; %bb.3:
	v_cmp_gt_u32_e32 vcc, s16, v3
	s_and_saveexec_b64 s[4:5], vcc
	s_cbranch_execz .LBB94_5
; %bb.4:
	v_mov_b32_e32 v4, 0
	v_lshlrev_b64 v[6:7], 3, v[3:4]
	v_mov_b32_e32 v0, s15
	v_add_co_u32_e32 v6, vcc, s14, v6
	v_lshlrev_b64 v[8:9], 2, v[3:4]
	v_addc_co_u32_e32 v7, vcc, v0, v7, vcc
	v_mov_b32_e32 v0, s11
	v_add_co_u32_e32 v8, vcc, s10, v8
	v_addc_co_u32_e32 v9, vcc, v0, v9, vcc
	s_waitcnt vmcnt(0)
	global_store_dword v[8:9], v5, off
	global_store_dwordx2 v[6:7], v[1:2], off
.LBB94_5:
	s_or_b64 exec, exec, s[4:5]
	s_mov_b64 s[4:5], 0
.LBB94_6:
	s_andn2_b64 vcc, exec, s[4:5]
	s_cbranch_vccnz .LBB94_8
; %bb.7:
	v_mov_b32_e32 v4, 0
	v_lshlrev_b64 v[6:7], 2, v[3:4]
	v_mov_b32_e32 v0, s11
	v_add_co_u32_e32 v6, vcc, s10, v6
	v_lshlrev_b64 v[8:9], 3, v[3:4]
	v_addc_co_u32_e32 v7, vcc, v0, v7, vcc
	v_mov_b32_e32 v0, s15
	v_add_co_u32_e32 v8, vcc, s14, v8
	v_addc_co_u32_e32 v9, vcc, v0, v9, vcc
	s_waitcnt vmcnt(0)
	global_store_dword v[6:7], v5, off
	global_store_dwordx2 v[8:9], v[1:2], off
.LBB94_8:
	s_mov_b64 s[4:5], 0
.LBB94_9:
	s_andn2_b64 vcc, exec, s[4:5]
	s_cbranch_vccnz .LBB94_24
; %bb.10:
	s_min_u32 s7, s6, s16
	s_add_i32 s4, s7, s17
	s_min_u32 s12, s4, s16
	s_min_u32 s4, s13, s7
	s_add_i32 s13, s13, s7
	v_subrev_u32_e32 v0, s13, v3
	v_add_u32_e32 v0, s4, v0
	s_waitcnt vmcnt(0)
	v_and_b32_e32 v6, s18, v5
	s_mov_b64 s[4:5], -1
	s_and_b64 vcc, exec, s[20:21]
	s_cbranch_vccz .LBB94_18
; %bb.11:
	s_and_saveexec_b64 s[4:5], s[2:3]
	s_cbranch_execz .LBB94_17
; %bb.12:
	s_cmp_ge_u32 s6, s12
	v_mov_b32_e32 v7, s7
	s_cbranch_scc1 .LBB94_16
; %bb.13:
	s_mov_b64 s[2:3], 0
	v_mov_b32_e32 v8, s12
	v_mov_b32_e32 v7, s7
	;; [unrolled: 1-line block ×4, first 2 shown]
.LBB94_14:                              ; =>This Inner Loop Header: Depth=1
	v_add_u32_e32 v3, v7, v8
	v_lshrrev_b32_e32 v3, 1, v3
	v_lshlrev_b64 v[10:11], 2, v[3:4]
	v_add_co_u32_e32 v10, vcc, s8, v10
	v_addc_co_u32_e32 v11, vcc, v9, v11, vcc
	global_load_dword v10, v[10:11], off
	v_add_u32_e32 v11, 1, v3
	s_waitcnt vmcnt(0)
	v_and_b32_e32 v10, s18, v10
	v_cmp_gt_i32_e32 vcc, v6, v10
	v_cndmask_b32_e64 v12, 0, 1, vcc
	v_cmp_le_i32_e32 vcc, v10, v6
	v_cndmask_b32_e64 v10, 0, 1, vcc
	v_cndmask_b32_e64 v10, v10, v12, s[0:1]
	v_and_b32_e32 v10, 1, v10
	v_cmp_eq_u32_e32 vcc, 1, v10
	v_cndmask_b32_e32 v8, v3, v8, vcc
	v_cndmask_b32_e32 v7, v7, v11, vcc
	v_cmp_ge_u32_e32 vcc, v7, v8
	s_or_b64 s[2:3], vcc, s[2:3]
	s_andn2_b64 exec, exec, s[2:3]
	s_cbranch_execnz .LBB94_14
; %bb.15:
	s_or_b64 exec, exec, s[2:3]
.LBB94_16:
	v_add_u32_e32 v3, v7, v0
	v_mov_b32_e32 v4, 0
	v_lshlrev_b64 v[7:8], 2, v[3:4]
	v_mov_b32_e32 v9, s11
	v_add_co_u32_e32 v7, vcc, s10, v7
	v_lshlrev_b64 v[3:4], 3, v[3:4]
	v_addc_co_u32_e32 v8, vcc, v9, v8, vcc
	global_store_dword v[7:8], v5, off
	v_mov_b32_e32 v7, s15
	v_add_co_u32_e32 v3, vcc, s14, v3
	v_addc_co_u32_e32 v4, vcc, v7, v4, vcc
	global_store_dwordx2 v[3:4], v[1:2], off
.LBB94_17:
	s_or_b64 exec, exec, s[4:5]
	s_mov_b64 s[4:5], 0
.LBB94_18:
	s_andn2_b64 vcc, exec, s[4:5]
	s_cbranch_vccnz .LBB94_24
; %bb.19:
	s_cmp_ge_u32 s6, s12
	v_mov_b32_e32 v7, s7
	s_cbranch_scc1 .LBB94_23
; %bb.20:
	s_mov_b64 s[2:3], 0
	v_mov_b32_e32 v8, s12
	v_mov_b32_e32 v7, s7
	;; [unrolled: 1-line block ×4, first 2 shown]
.LBB94_21:                              ; =>This Inner Loop Header: Depth=1
	v_add_u32_e32 v3, v7, v8
	v_lshrrev_b32_e32 v3, 1, v3
	v_lshlrev_b64 v[10:11], 2, v[3:4]
	v_add_co_u32_e32 v10, vcc, s8, v10
	v_addc_co_u32_e32 v11, vcc, v9, v11, vcc
	global_load_dword v10, v[10:11], off
	v_add_u32_e32 v11, 1, v3
	s_waitcnt vmcnt(0)
	v_and_b32_e32 v10, s18, v10
	v_cmp_gt_i32_e32 vcc, v6, v10
	v_cndmask_b32_e64 v12, 0, 1, vcc
	v_cmp_le_i32_e32 vcc, v10, v6
	v_cndmask_b32_e64 v10, 0, 1, vcc
	v_cndmask_b32_e64 v10, v10, v12, s[0:1]
	v_and_b32_e32 v10, 1, v10
	v_cmp_eq_u32_e32 vcc, 1, v10
	v_cndmask_b32_e32 v8, v3, v8, vcc
	v_cndmask_b32_e32 v7, v7, v11, vcc
	v_cmp_ge_u32_e32 vcc, v7, v8
	s_or_b64 s[2:3], vcc, s[2:3]
	s_andn2_b64 exec, exec, s[2:3]
	s_cbranch_execnz .LBB94_21
; %bb.22:
	s_or_b64 exec, exec, s[2:3]
.LBB94_23:
	v_add_u32_e32 v3, v7, v0
	v_mov_b32_e32 v4, 0
	v_lshlrev_b64 v[6:7], 2, v[3:4]
	v_mov_b32_e32 v0, s11
	v_add_co_u32_e32 v6, vcc, s10, v6
	v_lshlrev_b64 v[3:4], 3, v[3:4]
	v_addc_co_u32_e32 v7, vcc, v0, v7, vcc
	v_mov_b32_e32 v0, s15
	v_add_co_u32_e32 v3, vcc, s14, v3
	v_addc_co_u32_e32 v4, vcc, v0, v4, vcc
	global_store_dword v[6:7], v5, off
	global_store_dwordx2 v[3:4], v[1:2], off
.LBB94_24:
	s_endpgm
	.section	.rodata,"a",@progbits
	.p2align	6, 0x0
	.amdhsa_kernel _ZN7rocprim17ROCPRIM_304000_NS6detail33device_block_merge_oddeven_kernelINS1_37wrapped_merge_sort_block_merge_configINS0_14default_configEiN2at4cuda3cub6detail10OpaqueTypeILi8EEEEEPiSC_PSA_SD_jNS1_19radix_merge_compareILb0ELb1EiNS0_19identity_decomposerEEEEEvT0_T1_T2_T3_T4_SL_T5_
		.amdhsa_group_segment_fixed_size 0
		.amdhsa_private_segment_fixed_size 0
		.amdhsa_kernarg_size 44
		.amdhsa_user_sgpr_count 6
		.amdhsa_user_sgpr_private_segment_buffer 1
		.amdhsa_user_sgpr_dispatch_ptr 0
		.amdhsa_user_sgpr_queue_ptr 0
		.amdhsa_user_sgpr_kernarg_segment_ptr 1
		.amdhsa_user_sgpr_dispatch_id 0
		.amdhsa_user_sgpr_flat_scratch_init 0
		.amdhsa_user_sgpr_private_segment_size 0
		.amdhsa_uses_dynamic_stack 0
		.amdhsa_system_sgpr_private_segment_wavefront_offset 0
		.amdhsa_system_sgpr_workgroup_id_x 1
		.amdhsa_system_sgpr_workgroup_id_y 0
		.amdhsa_system_sgpr_workgroup_id_z 0
		.amdhsa_system_sgpr_workgroup_info 0
		.amdhsa_system_vgpr_workitem_id 0
		.amdhsa_next_free_vgpr 13
		.amdhsa_next_free_sgpr 24
		.amdhsa_reserve_vcc 1
		.amdhsa_reserve_flat_scratch 0
		.amdhsa_float_round_mode_32 0
		.amdhsa_float_round_mode_16_64 0
		.amdhsa_float_denorm_mode_32 3
		.amdhsa_float_denorm_mode_16_64 3
		.amdhsa_dx10_clamp 1
		.amdhsa_ieee_mode 1
		.amdhsa_fp16_overflow 0
		.amdhsa_exception_fp_ieee_invalid_op 0
		.amdhsa_exception_fp_denorm_src 0
		.amdhsa_exception_fp_ieee_div_zero 0
		.amdhsa_exception_fp_ieee_overflow 0
		.amdhsa_exception_fp_ieee_underflow 0
		.amdhsa_exception_fp_ieee_inexact 0
		.amdhsa_exception_int_div_zero 0
	.end_amdhsa_kernel
	.section	.text._ZN7rocprim17ROCPRIM_304000_NS6detail33device_block_merge_oddeven_kernelINS1_37wrapped_merge_sort_block_merge_configINS0_14default_configEiN2at4cuda3cub6detail10OpaqueTypeILi8EEEEEPiSC_PSA_SD_jNS1_19radix_merge_compareILb0ELb1EiNS0_19identity_decomposerEEEEEvT0_T1_T2_T3_T4_SL_T5_,"axG",@progbits,_ZN7rocprim17ROCPRIM_304000_NS6detail33device_block_merge_oddeven_kernelINS1_37wrapped_merge_sort_block_merge_configINS0_14default_configEiN2at4cuda3cub6detail10OpaqueTypeILi8EEEEEPiSC_PSA_SD_jNS1_19radix_merge_compareILb0ELb1EiNS0_19identity_decomposerEEEEEvT0_T1_T2_T3_T4_SL_T5_,comdat
.Lfunc_end94:
	.size	_ZN7rocprim17ROCPRIM_304000_NS6detail33device_block_merge_oddeven_kernelINS1_37wrapped_merge_sort_block_merge_configINS0_14default_configEiN2at4cuda3cub6detail10OpaqueTypeILi8EEEEEPiSC_PSA_SD_jNS1_19radix_merge_compareILb0ELb1EiNS0_19identity_decomposerEEEEEvT0_T1_T2_T3_T4_SL_T5_, .Lfunc_end94-_ZN7rocprim17ROCPRIM_304000_NS6detail33device_block_merge_oddeven_kernelINS1_37wrapped_merge_sort_block_merge_configINS0_14default_configEiN2at4cuda3cub6detail10OpaqueTypeILi8EEEEEPiSC_PSA_SD_jNS1_19radix_merge_compareILb0ELb1EiNS0_19identity_decomposerEEEEEvT0_T1_T2_T3_T4_SL_T5_
                                        ; -- End function
	.set _ZN7rocprim17ROCPRIM_304000_NS6detail33device_block_merge_oddeven_kernelINS1_37wrapped_merge_sort_block_merge_configINS0_14default_configEiN2at4cuda3cub6detail10OpaqueTypeILi8EEEEEPiSC_PSA_SD_jNS1_19radix_merge_compareILb0ELb1EiNS0_19identity_decomposerEEEEEvT0_T1_T2_T3_T4_SL_T5_.num_vgpr, 13
	.set _ZN7rocprim17ROCPRIM_304000_NS6detail33device_block_merge_oddeven_kernelINS1_37wrapped_merge_sort_block_merge_configINS0_14default_configEiN2at4cuda3cub6detail10OpaqueTypeILi8EEEEEPiSC_PSA_SD_jNS1_19radix_merge_compareILb0ELb1EiNS0_19identity_decomposerEEEEEvT0_T1_T2_T3_T4_SL_T5_.num_agpr, 0
	.set _ZN7rocprim17ROCPRIM_304000_NS6detail33device_block_merge_oddeven_kernelINS1_37wrapped_merge_sort_block_merge_configINS0_14default_configEiN2at4cuda3cub6detail10OpaqueTypeILi8EEEEEPiSC_PSA_SD_jNS1_19radix_merge_compareILb0ELb1EiNS0_19identity_decomposerEEEEEvT0_T1_T2_T3_T4_SL_T5_.numbered_sgpr, 24
	.set _ZN7rocprim17ROCPRIM_304000_NS6detail33device_block_merge_oddeven_kernelINS1_37wrapped_merge_sort_block_merge_configINS0_14default_configEiN2at4cuda3cub6detail10OpaqueTypeILi8EEEEEPiSC_PSA_SD_jNS1_19radix_merge_compareILb0ELb1EiNS0_19identity_decomposerEEEEEvT0_T1_T2_T3_T4_SL_T5_.num_named_barrier, 0
	.set _ZN7rocprim17ROCPRIM_304000_NS6detail33device_block_merge_oddeven_kernelINS1_37wrapped_merge_sort_block_merge_configINS0_14default_configEiN2at4cuda3cub6detail10OpaqueTypeILi8EEEEEPiSC_PSA_SD_jNS1_19radix_merge_compareILb0ELb1EiNS0_19identity_decomposerEEEEEvT0_T1_T2_T3_T4_SL_T5_.private_seg_size, 0
	.set _ZN7rocprim17ROCPRIM_304000_NS6detail33device_block_merge_oddeven_kernelINS1_37wrapped_merge_sort_block_merge_configINS0_14default_configEiN2at4cuda3cub6detail10OpaqueTypeILi8EEEEEPiSC_PSA_SD_jNS1_19radix_merge_compareILb0ELb1EiNS0_19identity_decomposerEEEEEvT0_T1_T2_T3_T4_SL_T5_.uses_vcc, 1
	.set _ZN7rocprim17ROCPRIM_304000_NS6detail33device_block_merge_oddeven_kernelINS1_37wrapped_merge_sort_block_merge_configINS0_14default_configEiN2at4cuda3cub6detail10OpaqueTypeILi8EEEEEPiSC_PSA_SD_jNS1_19radix_merge_compareILb0ELb1EiNS0_19identity_decomposerEEEEEvT0_T1_T2_T3_T4_SL_T5_.uses_flat_scratch, 0
	.set _ZN7rocprim17ROCPRIM_304000_NS6detail33device_block_merge_oddeven_kernelINS1_37wrapped_merge_sort_block_merge_configINS0_14default_configEiN2at4cuda3cub6detail10OpaqueTypeILi8EEEEEPiSC_PSA_SD_jNS1_19radix_merge_compareILb0ELb1EiNS0_19identity_decomposerEEEEEvT0_T1_T2_T3_T4_SL_T5_.has_dyn_sized_stack, 0
	.set _ZN7rocprim17ROCPRIM_304000_NS6detail33device_block_merge_oddeven_kernelINS1_37wrapped_merge_sort_block_merge_configINS0_14default_configEiN2at4cuda3cub6detail10OpaqueTypeILi8EEEEEPiSC_PSA_SD_jNS1_19radix_merge_compareILb0ELb1EiNS0_19identity_decomposerEEEEEvT0_T1_T2_T3_T4_SL_T5_.has_recursion, 0
	.set _ZN7rocprim17ROCPRIM_304000_NS6detail33device_block_merge_oddeven_kernelINS1_37wrapped_merge_sort_block_merge_configINS0_14default_configEiN2at4cuda3cub6detail10OpaqueTypeILi8EEEEEPiSC_PSA_SD_jNS1_19radix_merge_compareILb0ELb1EiNS0_19identity_decomposerEEEEEvT0_T1_T2_T3_T4_SL_T5_.has_indirect_call, 0
	.section	.AMDGPU.csdata,"",@progbits
; Kernel info:
; codeLenInByte = 852
; TotalNumSgprs: 28
; NumVgprs: 13
; ScratchSize: 0
; MemoryBound: 0
; FloatMode: 240
; IeeeMode: 1
; LDSByteSize: 0 bytes/workgroup (compile time only)
; SGPRBlocks: 3
; VGPRBlocks: 3
; NumSGPRsForWavesPerEU: 28
; NumVGPRsForWavesPerEU: 13
; Occupancy: 10
; WaveLimiterHint : 0
; COMPUTE_PGM_RSRC2:SCRATCH_EN: 0
; COMPUTE_PGM_RSRC2:USER_SGPR: 6
; COMPUTE_PGM_RSRC2:TRAP_HANDLER: 0
; COMPUTE_PGM_RSRC2:TGID_X_EN: 1
; COMPUTE_PGM_RSRC2:TGID_Y_EN: 0
; COMPUTE_PGM_RSRC2:TGID_Z_EN: 0
; COMPUTE_PGM_RSRC2:TIDIG_COMP_CNT: 0
	.section	.text._ZN7rocprim17ROCPRIM_304000_NS6detail26onesweep_histograms_kernelINS1_34wrapped_radix_sort_onesweep_configINS0_14default_configEiN2at4cuda3cub6detail10OpaqueTypeILi8EEEEELb0EPKimNS0_19identity_decomposerEEEvT1_PT2_SG_SG_T3_jj,"axG",@progbits,_ZN7rocprim17ROCPRIM_304000_NS6detail26onesweep_histograms_kernelINS1_34wrapped_radix_sort_onesweep_configINS0_14default_configEiN2at4cuda3cub6detail10OpaqueTypeILi8EEEEELb0EPKimNS0_19identity_decomposerEEEvT1_PT2_SG_SG_T3_jj,comdat
	.protected	_ZN7rocprim17ROCPRIM_304000_NS6detail26onesweep_histograms_kernelINS1_34wrapped_radix_sort_onesweep_configINS0_14default_configEiN2at4cuda3cub6detail10OpaqueTypeILi8EEEEELb0EPKimNS0_19identity_decomposerEEEvT1_PT2_SG_SG_T3_jj ; -- Begin function _ZN7rocprim17ROCPRIM_304000_NS6detail26onesweep_histograms_kernelINS1_34wrapped_radix_sort_onesweep_configINS0_14default_configEiN2at4cuda3cub6detail10OpaqueTypeILi8EEEEELb0EPKimNS0_19identity_decomposerEEEvT1_PT2_SG_SG_T3_jj
	.globl	_ZN7rocprim17ROCPRIM_304000_NS6detail26onesweep_histograms_kernelINS1_34wrapped_radix_sort_onesweep_configINS0_14default_configEiN2at4cuda3cub6detail10OpaqueTypeILi8EEEEELb0EPKimNS0_19identity_decomposerEEEvT1_PT2_SG_SG_T3_jj
	.p2align	8
	.type	_ZN7rocprim17ROCPRIM_304000_NS6detail26onesweep_histograms_kernelINS1_34wrapped_radix_sort_onesweep_configINS0_14default_configEiN2at4cuda3cub6detail10OpaqueTypeILi8EEEEELb0EPKimNS0_19identity_decomposerEEEvT1_PT2_SG_SG_T3_jj,@function
_ZN7rocprim17ROCPRIM_304000_NS6detail26onesweep_histograms_kernelINS1_34wrapped_radix_sort_onesweep_configINS0_14default_configEiN2at4cuda3cub6detail10OpaqueTypeILi8EEEEELb0EPKimNS0_19identity_decomposerEEEvT1_PT2_SG_SG_T3_jj: ; @_ZN7rocprim17ROCPRIM_304000_NS6detail26onesweep_histograms_kernelINS1_34wrapped_radix_sort_onesweep_configINS0_14default_configEiN2at4cuda3cub6detail10OpaqueTypeILi8EEEEELb0EPKimNS0_19identity_decomposerEEEvT1_PT2_SG_SG_T3_jj
; %bb.0:
	s_load_dwordx8 s[24:31], s[4:5], 0x0
	s_load_dwordx2 s[34:35], s[4:5], 0x24
	v_mov_b32_e32 v1, s6
	v_mov_b32_e32 v2, 0
	s_mul_hi_u32 s0, s6, 0x3000
	s_waitcnt lgkmcnt(0)
	v_cmp_le_u64_e32 vcc, s[30:31], v[1:2]
	s_mulk_i32 s6, 0x3000
	s_add_u32 s24, s24, s6
	s_addc_u32 s25, s25, s0
	s_mov_b64 s[0:1], -1
	v_lshlrev_b32_e32 v3, 2, v0
	s_cbranch_vccz .LBB95_82
; %bb.1:
	s_mul_i32 s0, s30, 0xfffff400
	v_lshlrev_b32_e32 v16, 2, v0
	s_add_i32 s28, s0, s28
	v_mov_b32_e32 v2, s25
	v_add_co_u32_e32 v1, vcc, s24, v16
	v_addc_co_u32_e32 v2, vcc, 0, v2, vcc
	v_cmp_gt_u32_e64 s[22:23], s28, v0
                                        ; implicit-def: $vgpr15
	s_and_saveexec_b64 s[0:1], s[22:23]
	s_cbranch_execz .LBB95_3
; %bb.2:
	global_load_dword v4, v[1:2], off
	s_waitcnt vmcnt(0)
	v_xor_b32_e32 v15, 0x80000000, v4
.LBB95_3:
	s_or_b64 exec, exec, s[0:1]
	v_or_b32_e32 v4, 0x100, v0
	v_cmp_gt_u32_e64 s[20:21], s28, v4
                                        ; implicit-def: $vgpr14
	s_and_saveexec_b64 s[0:1], s[20:21]
	s_cbranch_execz .LBB95_5
; %bb.4:
	global_load_dword v4, v[1:2], off offset:1024
	s_waitcnt vmcnt(0)
	v_xor_b32_e32 v14, 0x80000000, v4
.LBB95_5:
	s_or_b64 exec, exec, s[0:1]
	v_or_b32_e32 v4, 0x200, v0
	v_cmp_gt_u32_e64 s[18:19], s28, v4
                                        ; implicit-def: $vgpr13
	s_and_saveexec_b64 s[0:1], s[18:19]
	s_cbranch_execz .LBB95_7
; %bb.6:
	global_load_dword v4, v[1:2], off offset:2048
	s_waitcnt vmcnt(0)
	v_xor_b32_e32 v13, 0x80000000, v4
.LBB95_7:
	s_or_b64 exec, exec, s[0:1]
	v_or_b32_e32 v4, 0x300, v0
	v_cmp_gt_u32_e64 s[16:17], s28, v4
                                        ; implicit-def: $vgpr12
	s_and_saveexec_b64 s[0:1], s[16:17]
	s_cbranch_execz .LBB95_9
; %bb.8:
	global_load_dword v4, v[1:2], off offset:3072
	s_waitcnt vmcnt(0)
	v_xor_b32_e32 v12, 0x80000000, v4
.LBB95_9:
	s_or_b64 exec, exec, s[0:1]
	v_or_b32_e32 v4, 0x400, v0
	v_cmp_gt_u32_e64 s[14:15], s28, v4
                                        ; implicit-def: $vgpr11
	s_and_saveexec_b64 s[0:1], s[14:15]
	s_cbranch_execz .LBB95_11
; %bb.10:
	v_add_co_u32_e32 v4, vcc, 0x1000, v1
	v_addc_co_u32_e32 v5, vcc, 0, v2, vcc
	global_load_dword v4, v[4:5], off
	s_waitcnt vmcnt(0)
	v_xor_b32_e32 v11, 0x80000000, v4
.LBB95_11:
	s_or_b64 exec, exec, s[0:1]
	v_or_b32_e32 v4, 0x500, v0
	v_cmp_gt_u32_e64 s[12:13], s28, v4
                                        ; implicit-def: $vgpr10
	s_and_saveexec_b64 s[0:1], s[12:13]
	s_cbranch_execz .LBB95_13
; %bb.12:
	v_add_co_u32_e32 v4, vcc, 0x1000, v1
	v_addc_co_u32_e32 v5, vcc, 0, v2, vcc
	global_load_dword v4, v[4:5], off offset:1024
	s_waitcnt vmcnt(0)
	v_xor_b32_e32 v10, 0x80000000, v4
.LBB95_13:
	s_or_b64 exec, exec, s[0:1]
	v_or_b32_e32 v4, 0x600, v0
	v_cmp_gt_u32_e64 s[10:11], s28, v4
                                        ; implicit-def: $vgpr9
	s_and_saveexec_b64 s[0:1], s[10:11]
	s_cbranch_execz .LBB95_15
; %bb.14:
	v_add_co_u32_e32 v4, vcc, 0x1000, v1
	v_addc_co_u32_e32 v5, vcc, 0, v2, vcc
	global_load_dword v4, v[4:5], off offset:2048
	s_waitcnt vmcnt(0)
	v_xor_b32_e32 v9, 0x80000000, v4
.LBB95_15:
	s_or_b64 exec, exec, s[0:1]
	v_or_b32_e32 v4, 0x700, v0
	v_cmp_gt_u32_e64 s[8:9], s28, v4
                                        ; implicit-def: $vgpr8
	s_and_saveexec_b64 s[0:1], s[8:9]
	s_cbranch_execz .LBB95_17
; %bb.16:
	v_add_co_u32_e32 v4, vcc, 0x1000, v1
	v_addc_co_u32_e32 v5, vcc, 0, v2, vcc
	global_load_dword v4, v[4:5], off offset:3072
	s_waitcnt vmcnt(0)
	v_xor_b32_e32 v8, 0x80000000, v4
.LBB95_17:
	s_or_b64 exec, exec, s[0:1]
	v_or_b32_e32 v4, 0x800, v0
	v_cmp_gt_u32_e64 s[6:7], s28, v4
                                        ; implicit-def: $vgpr7
	s_and_saveexec_b64 s[0:1], s[6:7]
	s_cbranch_execz .LBB95_19
; %bb.18:
	v_add_co_u32_e32 v4, vcc, 0x2000, v1
	v_addc_co_u32_e32 v5, vcc, 0, v2, vcc
	global_load_dword v4, v[4:5], off
	s_waitcnt vmcnt(0)
	v_xor_b32_e32 v7, 0x80000000, v4
.LBB95_19:
	s_or_b64 exec, exec, s[0:1]
	v_or_b32_e32 v4, 0x900, v0
	v_cmp_gt_u32_e64 s[4:5], s28, v4
                                        ; implicit-def: $vgpr6
	s_and_saveexec_b64 s[0:1], s[4:5]
	s_cbranch_execz .LBB95_21
; %bb.20:
	v_add_co_u32_e32 v4, vcc, 0x2000, v1
	v_addc_co_u32_e32 v5, vcc, 0, v2, vcc
	global_load_dword v4, v[4:5], off offset:1024
	s_waitcnt vmcnt(0)
	v_xor_b32_e32 v6, 0x80000000, v4
.LBB95_21:
	s_or_b64 exec, exec, s[0:1]
	v_or_b32_e32 v4, 0xa00, v0
	v_cmp_gt_u32_e64 s[2:3], s28, v4
                                        ; implicit-def: $vgpr5
	s_and_saveexec_b64 s[0:1], s[2:3]
	s_cbranch_execz .LBB95_23
; %bb.22:
	v_add_co_u32_e32 v4, vcc, 0x2000, v1
	v_addc_co_u32_e32 v5, vcc, 0, v2, vcc
	global_load_dword v4, v[4:5], off offset:2048
	s_waitcnt vmcnt(0)
	v_xor_b32_e32 v5, 0x80000000, v4
.LBB95_23:
	s_or_b64 exec, exec, s[0:1]
	v_or_b32_e32 v4, 0xb00, v0
	v_cmp_gt_u32_e64 s[0:1], s28, v4
                                        ; implicit-def: $vgpr4
	s_and_saveexec_b64 s[28:29], s[0:1]
	s_cbranch_execz .LBB95_25
; %bb.24:
	v_add_co_u32_e32 v1, vcc, 0x2000, v1
	v_addc_co_u32_e32 v2, vcc, 0, v2, vcc
	global_load_dword v1, v[1:2], off offset:3072
	s_waitcnt vmcnt(0)
	v_xor_b32_e32 v4, 0x80000000, v1
.LBB95_25:
	s_or_b64 exec, exec, s[28:29]
	v_or_b32_e32 v1, 0xffffff00, v0
	s_mov_b64 s[28:29], 0
	v_mov_b32_e32 v2, 0
	s_movk_i32 s30, 0xeff
.LBB95_26:                              ; =>This Inner Loop Header: Depth=1
	v_add_u32_e32 v1, 0x100, v1
	v_cmp_lt_u32_e32 vcc, s30, v1
	ds_write_b32 v16, v2
	s_or_b64 s[28:29], vcc, s[28:29]
	v_add_u32_e32 v16, 0x400, v16
	s_andn2_b64 exec, exec, s[28:29]
	s_cbranch_execnz .LBB95_26
; %bb.27:
	s_or_b64 exec, exec, s[28:29]
	s_cmp_gt_u32 s35, s34
	s_cselect_b64 s[28:29], -1, 0
	s_cmp_le_u32 s35, s34
	s_waitcnt lgkmcnt(0)
	s_barrier
	s_cbranch_scc1 .LBB95_76
; %bb.28:
	v_and_b32_e32 v1, 3, v0
	v_lshlrev_b32_e32 v1, 2, v1
	s_sub_i32 s33, s35, s34
	v_mov_b32_e32 v2, 1
	s_mov_b32 s36, s33
	v_mov_b32_e32 v16, v1
	s_mov_b32 s37, s34
	s_branch .LBB95_30
.LBB95_29:                              ;   in Loop: Header=BB95_30 Depth=1
	s_or_b64 exec, exec, s[30:31]
	s_add_i32 s37, s37, 8
	s_add_i32 s36, s36, -8
	s_cmp_lt_u32 s37, s35
	v_add_u32_e32 v16, 0x1000, v16
	s_cbranch_scc0 .LBB95_32
.LBB95_30:                              ; =>This Inner Loop Header: Depth=1
	s_and_saveexec_b64 s[30:31], s[22:23]
	s_cbranch_execz .LBB95_29
; %bb.31:                               ;   in Loop: Header=BB95_30 Depth=1
	s_min_u32 s38, s36, 8
	v_lshrrev_b32_e32 v17, s37, v15
	v_bfe_u32 v17, v17, 0, s38
	v_lshl_add_u32 v17, v17, 4, v16
	ds_add_u32 v17, v2
	s_branch .LBB95_29
.LBB95_32:
	v_mov_b32_e32 v2, 1
	s_mov_b32 s30, s33
	v_mov_b32_e32 v15, v1
	s_mov_b32 s31, s34
	s_branch .LBB95_34
.LBB95_33:                              ;   in Loop: Header=BB95_34 Depth=1
	s_or_b64 exec, exec, s[22:23]
	s_add_i32 s31, s31, 8
	s_add_i32 s30, s30, -8
	s_cmp_lt_u32 s31, s35
	v_add_u32_e32 v15, 0x1000, v15
	s_cbranch_scc0 .LBB95_36
.LBB95_34:                              ; =>This Inner Loop Header: Depth=1
	s_and_saveexec_b64 s[22:23], s[20:21]
	s_cbranch_execz .LBB95_33
; %bb.35:                               ;   in Loop: Header=BB95_34 Depth=1
	s_min_u32 s36, s30, 8
	v_lshrrev_b32_e32 v16, s31, v14
	v_bfe_u32 v16, v16, 0, s36
	v_lshl_add_u32 v16, v16, 4, v15
	ds_add_u32 v16, v2
	s_branch .LBB95_33
.LBB95_36:
	;; [unrolled: 23-line block ×11, first 2 shown]
	v_mov_b32_e32 v2, 1
	s_mov_b32 s4, s34
	s_branch .LBB95_74
.LBB95_73:                              ;   in Loop: Header=BB95_74 Depth=1
	s_or_b64 exec, exec, s[2:3]
	s_add_i32 s4, s4, 8
	s_add_i32 s33, s33, -8
	s_cmp_lt_u32 s4, s35
	v_add_u32_e32 v1, 0x1000, v1
	s_cbranch_scc0 .LBB95_76
.LBB95_74:                              ; =>This Inner Loop Header: Depth=1
	s_and_saveexec_b64 s[2:3], s[0:1]
	s_cbranch_execz .LBB95_73
; %bb.75:                               ;   in Loop: Header=BB95_74 Depth=1
	s_min_u32 s5, s33, 8
	v_lshrrev_b32_e32 v5, s4, v4
	v_bfe_u32 v5, v5, 0, s5
	v_lshl_add_u32 v5, v5, 4, v1
	ds_add_u32 v5, v2
	s_branch .LBB95_73
.LBB95_76:
	s_and_b64 vcc, exec, s[28:29]
	s_waitcnt lgkmcnt(0)
	s_barrier
	s_cbranch_vccz .LBB95_81
; %bb.77:
	s_movk_i32 s0, 0x100
	v_cmp_gt_u32_e32 vcc, s0, v0
	v_lshlrev_b32_e32 v4, 4, v0
	v_mov_b32_e32 v2, 0
	v_mov_b32_e32 v1, v0
	s_mov_b32 s4, s34
	s_branch .LBB95_79
.LBB95_78:                              ;   in Loop: Header=BB95_79 Depth=1
	s_or_b64 exec, exec, s[2:3]
	s_add_i32 s4, s4, 8
	v_add_u32_e32 v1, 0x100, v1
	s_cmp_lt_u32 s4, s35
	v_add_u32_e32 v4, 0x1000, v4
	s_cbranch_scc0 .LBB95_81
.LBB95_79:                              ; =>This Inner Loop Header: Depth=1
	s_and_saveexec_b64 s[2:3], vcc
	s_cbranch_execz .LBB95_78
; %bb.80:                               ;   in Loop: Header=BB95_79 Depth=1
	ds_read2_b32 v[5:6], v4 offset1:1
	ds_read2_b32 v[7:8], v4 offset0:2 offset1:3
	v_lshlrev_b64 v[9:10], 3, v[1:2]
	v_mov_b32_e32 v11, s27
	s_waitcnt lgkmcnt(1)
	v_add_u32_e32 v5, v6, v5
	s_waitcnt lgkmcnt(0)
	v_add3_u32 v5, v5, v7, v8
	v_add_co_u32_e64 v7, s[0:1], s26, v9
	v_addc_co_u32_e64 v8, s[0:1], v11, v10, s[0:1]
	v_mov_b32_e32 v6, v2
	global_atomic_add_x2 v[7:8], v[5:6], off
	s_branch .LBB95_78
.LBB95_81:
	s_mov_b64 s[0:1], 0
.LBB95_82:
	s_and_b64 vcc, exec, s[0:1]
	s_cbranch_vccz .LBB95_122
; %bb.83:
	v_mov_b32_e32 v1, s25
	v_add_co_u32_e32 v4, vcc, s24, v3
	v_addc_co_u32_e32 v5, vcc, 0, v1, vcc
	v_add_co_u32_e32 v1, vcc, 0x1000, v4
	v_addc_co_u32_e32 v2, vcc, 0, v5, vcc
	v_add_co_u32_e32 v16, vcc, 0x2000, v4
	global_load_dword v15, v3, s[24:25]
	global_load_dword v14, v3, s[24:25] offset:1024
	global_load_dword v13, v3, s[24:25] offset:2048
	;; [unrolled: 1-line block ×3, first 2 shown]
	v_addc_co_u32_e32 v17, vcc, 0, v5, vcc
	global_load_dword v12, v[1:2], off
	global_load_dword v10, v[1:2], off offset:1024
	global_load_dword v9, v[1:2], off offset:2048
	;; [unrolled: 1-line block ×3, first 2 shown]
	global_load_dword v7, v[16:17], off
	global_load_dword v6, v[16:17], off offset:1024
	global_load_dword v5, v[16:17], off offset:2048
	;; [unrolled: 1-line block ×3, first 2 shown]
	s_cmp_eq_u32 s34, 0
	s_cselect_b64 s[0:1], -1, 0
	s_cmp_eq_u32 s35, 32
	s_cselect_b64 s[2:3], -1, 0
	s_and_b64 s[2:3], s[0:1], s[2:3]
	v_mov_b32_e32 v1, 0
	s_mov_b64 s[0:1], -1
	s_and_b64 vcc, exec, s[2:3]
	s_cbranch_vccnz .LBB95_117
; %bb.84:
	v_or_b32_e32 v2, 0xffffff00, v0
	s_mov_b64 s[0:1], 0
	s_movk_i32 s2, 0xeff
.LBB95_85:                              ; =>This Inner Loop Header: Depth=1
	v_add_u32_e32 v2, 0x100, v2
	v_cmp_lt_u32_e32 vcc, s2, v2
	ds_write_b32 v3, v1
	s_or_b64 s[0:1], vcc, s[0:1]
	v_add_u32_e32 v3, 0x400, v3
	s_andn2_b64 exec, exec, s[0:1]
	s_cbranch_execnz .LBB95_85
; %bb.86:
	s_or_b64 exec, exec, s[0:1]
	s_cmp_gt_u32 s35, s34
	s_cselect_b64 s[0:1], -1, 0
	s_cmp_le_u32 s35, s34
	s_waitcnt vmcnt(0) lgkmcnt(0)
	s_barrier
	s_cbranch_scc1 .LBB95_111
; %bb.87:
	v_and_b32_e32 v1, 3, v0
	v_lshlrev_b32_e32 v1, 2, v1
	s_sub_i32 s2, s35, s34
	v_xor_b32_e32 v2, 0x80000000, v15
	v_mov_b32_e32 v3, 1
	s_mov_b32 s3, s2
	v_mov_b32_e32 v16, v1
	s_mov_b32 s4, s34
.LBB95_88:                              ; =>This Inner Loop Header: Depth=1
	s_min_u32 s5, s3, 8
	v_lshrrev_b32_e32 v17, s4, v2
	v_bfe_u32 v17, v17, 0, s5
	v_lshl_add_u32 v17, v17, 4, v16
	ds_add_u32 v17, v3
	s_add_i32 s4, s4, 8
	s_add_i32 s3, s3, -8
	s_cmp_lt_u32 s4, s35
	v_add_u32_e32 v16, 0x1000, v16
	s_cbranch_scc1 .LBB95_88
; %bb.89:
	v_xor_b32_e32 v2, 0x80000000, v14
	v_mov_b32_e32 v3, 1
	s_mov_b32 s3, s2
	v_mov_b32_e32 v16, v1
	s_mov_b32 s4, s34
.LBB95_90:                              ; =>This Inner Loop Header: Depth=1
	s_min_u32 s5, s3, 8
	v_lshrrev_b32_e32 v17, s4, v2
	v_bfe_u32 v17, v17, 0, s5
	v_lshl_add_u32 v17, v17, 4, v16
	ds_add_u32 v17, v3
	s_add_i32 s4, s4, 8
	s_add_i32 s3, s3, -8
	s_cmp_lt_u32 s4, s35
	v_add_u32_e32 v16, 0x1000, v16
	s_cbranch_scc1 .LBB95_90
; %bb.91:
	;; [unrolled: 17-line block ×6, first 2 shown]
	v_xor_b32_e32 v2, 0x80000000, v9
	v_mov_b32_e32 v3, 1
	s_mov_b32 s3, s2
	v_mov_b32_e32 v16, v1
	s_mov_b32 s4, s34
.LBB95_100:                             ; =>This Inner Loop Header: Depth=1
	s_min_u32 s5, s3, 8
	v_lshrrev_b32_e32 v17, s4, v2
	v_bfe_u32 v17, v17, 0, s5
	v_lshl_add_u32 v17, v17, 4, v16
	ds_add_u32 v17, v3
	s_add_i32 s4, s4, 8
	s_add_i32 s3, s3, -8
	s_cmp_lt_u32 s4, s35
	v_add_u32_e32 v16, 0x1000, v16
	s_cbranch_scc1 .LBB95_100
; %bb.101:
	v_xor_b32_e32 v2, 0x80000000, v8
	v_mov_b32_e32 v3, 1
	s_mov_b32 s3, s2
	v_mov_b32_e32 v16, v1
	s_mov_b32 s4, s34
.LBB95_102:                             ; =>This Inner Loop Header: Depth=1
	s_min_u32 s5, s3, 8
	v_lshrrev_b32_e32 v17, s4, v2
	v_bfe_u32 v17, v17, 0, s5
	v_lshl_add_u32 v17, v17, 4, v16
	ds_add_u32 v17, v3
	s_add_i32 s4, s4, 8
	s_add_i32 s3, s3, -8
	s_cmp_lt_u32 s4, s35
	v_add_u32_e32 v16, 0x1000, v16
	s_cbranch_scc1 .LBB95_102
; %bb.103:
	;; [unrolled: 17-line block ×5, first 2 shown]
	v_xor_b32_e32 v2, 0x80000000, v4
	v_mov_b32_e32 v3, 1
	s_mov_b32 s3, s34
.LBB95_110:                             ; =>This Inner Loop Header: Depth=1
	s_min_u32 s4, s2, 8
	v_lshrrev_b32_e32 v16, s3, v2
	v_bfe_u32 v16, v16, 0, s4
	v_lshl_add_u32 v16, v16, 4, v1
	ds_add_u32 v16, v3
	s_add_i32 s3, s3, 8
	s_add_i32 s2, s2, -8
	s_cmp_lt_u32 s3, s35
	v_add_u32_e32 v1, 0x1000, v1
	s_cbranch_scc1 .LBB95_110
.LBB95_111:
	s_and_b64 vcc, exec, s[0:1]
	s_waitcnt lgkmcnt(0)
	s_barrier
	s_cbranch_vccz .LBB95_116
; %bb.112:
	s_movk_i32 s0, 0x100
	v_cmp_gt_u32_e32 vcc, s0, v0
	v_lshlrev_b32_e32 v3, 4, v0
	v_mov_b32_e32 v2, 0
	v_mov_b32_e32 v1, v0
	s_branch .LBB95_114
.LBB95_113:                             ;   in Loop: Header=BB95_114 Depth=1
	s_or_b64 exec, exec, s[2:3]
	s_add_i32 s34, s34, 8
	v_add_u32_e32 v1, 0x100, v1
	s_cmp_ge_u32 s34, s35
	v_add_u32_e32 v3, 0x1000, v3
	s_cbranch_scc1 .LBB95_116
.LBB95_114:                             ; =>This Inner Loop Header: Depth=1
	s_and_saveexec_b64 s[2:3], vcc
	s_cbranch_execz .LBB95_113
; %bb.115:                              ;   in Loop: Header=BB95_114 Depth=1
	ds_read2_b32 v[16:17], v3 offset1:1
	ds_read2_b32 v[18:19], v3 offset0:2 offset1:3
	v_lshlrev_b64 v[20:21], 3, v[1:2]
	v_mov_b32_e32 v22, s27
	s_waitcnt lgkmcnt(1)
	v_add_u32_e32 v16, v17, v16
	s_waitcnt lgkmcnt(0)
	v_add3_u32 v16, v16, v18, v19
	v_add_co_u32_e64 v18, s[0:1], s26, v20
	v_addc_co_u32_e64 v19, s[0:1], v22, v21, s[0:1]
	v_mov_b32_e32 v17, v2
	global_atomic_add_x2 v[18:19], v[16:17], off
	s_branch .LBB95_113
.LBB95_116:
	s_mov_b64 s[0:1], 0
.LBB95_117:
	s_and_b64 vcc, exec, s[0:1]
	s_cbranch_vccz .LBB95_122
; %bb.118:
	v_or_b32_e32 v1, 0xffffff00, v0
	v_lshlrev_b32_e32 v2, 2, v0
	s_mov_b64 s[0:1], 0
	v_mov_b32_e32 v3, 0
	s_movk_i32 s2, 0xeff
.LBB95_119:                             ; =>This Inner Loop Header: Depth=1
	v_add_u32_e32 v1, 0x100, v1
	v_cmp_lt_u32_e32 vcc, s2, v1
	ds_write_b32 v2, v3
	s_or_b64 s[0:1], vcc, s[0:1]
	v_add_u32_e32 v2, 0x400, v2
	s_andn2_b64 exec, exec, s[0:1]
	s_cbranch_execnz .LBB95_119
; %bb.120:
	s_or_b64 exec, exec, s[0:1]
	v_and_b32_e32 v1, 3, v0
	s_waitcnt vmcnt(11)
	v_lshlrev_b32_e32 v2, 4, v15
	v_lshlrev_b32_e32 v1, 2, v1
	s_movk_i32 s0, 0xff0
	v_and_or_b32 v2, v2, s0, v1
	v_mov_b32_e32 v3, 1
	s_waitcnt vmcnt(0) lgkmcnt(0)
	s_barrier
	ds_add_u32 v2, v3
	v_bfe_u32 v2, v15, 8, 8
	v_lshl_or_b32 v2, v2, 4, v1
	ds_add_u32 v2, v3 offset:4096
	v_bfe_u32 v2, v15, 16, 8
	v_lshl_or_b32 v2, v2, 4, v1
	ds_add_u32 v2, v3 offset:8192
	v_mov_b32_e32 v2, 2
	v_lshlrev_b32_sdwa v15, v2, v15 dst_sel:DWORD dst_unused:UNUSED_PAD src0_sel:DWORD src1_sel:BYTE_3
	v_xor_b32_e32 v15, 0x200, v15
	v_lshl_or_b32 v15, v15, 2, v1
	ds_add_u32 v15, v3 offset:12288
	v_lshlrev_b32_e32 v15, 4, v14
	v_and_or_b32 v15, v15, s0, v1
	ds_add_u32 v15, v3
	v_bfe_u32 v15, v14, 8, 8
	v_lshl_or_b32 v15, v15, 4, v1
	ds_add_u32 v15, v3 offset:4096
	v_bfe_u32 v15, v14, 16, 8
	v_lshlrev_b32_sdwa v14, v2, v14 dst_sel:DWORD dst_unused:UNUSED_PAD src0_sel:DWORD src1_sel:BYTE_3
	v_lshl_or_b32 v15, v15, 4, v1
	v_xor_b32_e32 v14, 0x200, v14
	ds_add_u32 v15, v3 offset:8192
	v_lshl_or_b32 v14, v14, 2, v1
	ds_add_u32 v14, v3 offset:12288
	v_lshlrev_b32_e32 v14, 4, v13
	v_and_or_b32 v14, v14, s0, v1
	ds_add_u32 v14, v3
	v_bfe_u32 v14, v13, 8, 8
	v_lshl_or_b32 v14, v14, 4, v1
	ds_add_u32 v14, v3 offset:4096
	v_bfe_u32 v14, v13, 16, 8
	v_lshlrev_b32_sdwa v13, v2, v13 dst_sel:DWORD dst_unused:UNUSED_PAD src0_sel:DWORD src1_sel:BYTE_3
	v_lshl_or_b32 v14, v14, 4, v1
	v_xor_b32_e32 v13, 0x200, v13
	ds_add_u32 v14, v3 offset:8192
	v_lshl_or_b32 v13, v13, 2, v1
	ds_add_u32 v13, v3 offset:12288
	v_lshlrev_b32_e32 v13, 4, v11
	v_and_or_b32 v13, v13, s0, v1
	ds_add_u32 v13, v3
	v_bfe_u32 v13, v11, 8, 8
	v_lshl_or_b32 v13, v13, 4, v1
	ds_add_u32 v13, v3 offset:4096
	v_bfe_u32 v13, v11, 16, 8
	v_lshlrev_b32_sdwa v11, v2, v11 dst_sel:DWORD dst_unused:UNUSED_PAD src0_sel:DWORD src1_sel:BYTE_3
	v_lshl_or_b32 v13, v13, 4, v1
	v_xor_b32_e32 v11, 0x200, v11
	ds_add_u32 v13, v3 offset:8192
	v_lshl_or_b32 v11, v11, 2, v1
	ds_add_u32 v11, v3 offset:12288
	v_lshlrev_b32_e32 v11, 4, v12
	v_and_or_b32 v11, v11, s0, v1
	ds_add_u32 v11, v3
	v_bfe_u32 v11, v12, 8, 8
	v_lshl_or_b32 v11, v11, 4, v1
	ds_add_u32 v11, v3 offset:4096
	v_bfe_u32 v11, v12, 16, 8
	v_lshl_or_b32 v11, v11, 4, v1
	ds_add_u32 v11, v3 offset:8192
	v_lshlrev_b32_sdwa v11, v2, v12 dst_sel:DWORD dst_unused:UNUSED_PAD src0_sel:DWORD src1_sel:BYTE_3
	v_xor_b32_e32 v11, 0x200, v11
	v_lshl_or_b32 v11, v11, 2, v1
	ds_add_u32 v11, v3 offset:12288
	v_lshlrev_b32_e32 v11, 4, v10
	v_and_or_b32 v11, v11, s0, v1
	ds_add_u32 v11, v3
	v_bfe_u32 v11, v10, 8, 8
	v_lshl_or_b32 v11, v11, 4, v1
	ds_add_u32 v11, v3 offset:4096
	v_bfe_u32 v11, v10, 16, 8
	v_lshlrev_b32_sdwa v10, v2, v10 dst_sel:DWORD dst_unused:UNUSED_PAD src0_sel:DWORD src1_sel:BYTE_3
	v_lshl_or_b32 v11, v11, 4, v1
	v_xor_b32_e32 v10, 0x200, v10
	ds_add_u32 v11, v3 offset:8192
	v_lshl_or_b32 v10, v10, 2, v1
	ds_add_u32 v10, v3 offset:12288
	v_lshlrev_b32_e32 v10, 4, v9
	v_and_or_b32 v10, v10, s0, v1
	ds_add_u32 v10, v3
	v_bfe_u32 v10, v9, 8, 8
	v_lshl_or_b32 v10, v10, 4, v1
	ds_add_u32 v10, v3 offset:4096
	v_bfe_u32 v10, v9, 16, 8
	v_lshlrev_b32_sdwa v9, v2, v9 dst_sel:DWORD dst_unused:UNUSED_PAD src0_sel:DWORD src1_sel:BYTE_3
	v_lshl_or_b32 v10, v10, 4, v1
	v_xor_b32_e32 v9, 0x200, v9
	ds_add_u32 v10, v3 offset:8192
	;; [unrolled: 13-line block ×7, first 2 shown]
	v_lshl_or_b32 v1, v2, 2, v1
	ds_add_u32 v1, v3 offset:12288
	s_movk_i32 s0, 0x100
	v_cmp_gt_u32_e32 vcc, s0, v0
	s_waitcnt lgkmcnt(0)
	s_barrier
	s_and_saveexec_b64 s[0:1], vcc
	s_cbranch_execz .LBB95_122
; %bb.121:
	v_lshlrev_b32_e32 v6, 4, v0
	ds_read2_b32 v[1:2], v6 offset1:1
	ds_read2_b32 v[3:4], v6 offset0:2 offset1:3
	v_lshlrev_b32_e32 v7, 3, v0
	v_mov_b32_e32 v5, 0
	v_or_b32_e32 v0, 0x1000, v6
	s_waitcnt lgkmcnt(1)
	v_add_u32_e32 v1, v2, v1
	s_waitcnt lgkmcnt(0)
	v_add3_u32 v4, v1, v3, v4
	global_atomic_add_x2 v7, v[4:5], s[26:27]
	v_or_b32_e32 v2, 0x1008, v6
	ds_read2_b32 v[0:1], v0 offset1:1
	ds_read2_b32 v[2:3], v2 offset1:1
	v_or_b32_e32 v9, 0x2000, v6
	v_mov_b32_e32 v8, s27
	s_movk_i32 s0, 0x1000
	s_waitcnt lgkmcnt(1)
	v_add_u32_e32 v0, v1, v0
	s_waitcnt lgkmcnt(0)
	v_add3_u32 v4, v0, v2, v3
	global_atomic_add_x2 v7, v[4:5], s[26:27] offset:2048
	v_or_b32_e32 v2, 0x2008, v6
	ds_read2_b32 v[0:1], v9 offset1:1
	ds_read2_b32 v[2:3], v2 offset1:1
	v_add_co_u32_e32 v7, vcc, s26, v7
	v_addc_co_u32_e32 v8, vcc, 0, v8, vcc
	s_waitcnt lgkmcnt(1)
	v_add_u32_e32 v0, v1, v0
	s_waitcnt lgkmcnt(0)
	v_add3_u32 v4, v0, v2, v3
	v_add_co_u32_e32 v0, vcc, s0, v7
	v_addc_co_u32_e32 v1, vcc, 0, v8, vcc
	global_atomic_add_x2 v[0:1], v[4:5], off
	v_or_b32_e32 v2, 0x3000, v6
	v_or_b32_e32 v4, 0x3008, v6
	ds_read2_b32 v[2:3], v2 offset1:1
	ds_read2_b32 v[6:7], v4 offset1:1
	s_waitcnt lgkmcnt(1)
	v_add_u32_e32 v2, v3, v2
	s_waitcnt lgkmcnt(0)
	v_add3_u32 v4, v2, v6, v7
	global_atomic_add_x2 v[0:1], v[4:5], off offset:2048
.LBB95_122:
	s_endpgm
	.section	.rodata,"a",@progbits
	.p2align	6, 0x0
	.amdhsa_kernel _ZN7rocprim17ROCPRIM_304000_NS6detail26onesweep_histograms_kernelINS1_34wrapped_radix_sort_onesweep_configINS0_14default_configEiN2at4cuda3cub6detail10OpaqueTypeILi8EEEEELb0EPKimNS0_19identity_decomposerEEEvT1_PT2_SG_SG_T3_jj
		.amdhsa_group_segment_fixed_size 16384
		.amdhsa_private_segment_fixed_size 0
		.amdhsa_kernarg_size 44
		.amdhsa_user_sgpr_count 6
		.amdhsa_user_sgpr_private_segment_buffer 1
		.amdhsa_user_sgpr_dispatch_ptr 0
		.amdhsa_user_sgpr_queue_ptr 0
		.amdhsa_user_sgpr_kernarg_segment_ptr 1
		.amdhsa_user_sgpr_dispatch_id 0
		.amdhsa_user_sgpr_flat_scratch_init 0
		.amdhsa_user_sgpr_private_segment_size 0
		.amdhsa_uses_dynamic_stack 0
		.amdhsa_system_sgpr_private_segment_wavefront_offset 0
		.amdhsa_system_sgpr_workgroup_id_x 1
		.amdhsa_system_sgpr_workgroup_id_y 0
		.amdhsa_system_sgpr_workgroup_id_z 0
		.amdhsa_system_sgpr_workgroup_info 0
		.amdhsa_system_vgpr_workitem_id 0
		.amdhsa_next_free_vgpr 49
		.amdhsa_next_free_sgpr 98
		.amdhsa_reserve_vcc 1
		.amdhsa_reserve_flat_scratch 0
		.amdhsa_float_round_mode_32 0
		.amdhsa_float_round_mode_16_64 0
		.amdhsa_float_denorm_mode_32 3
		.amdhsa_float_denorm_mode_16_64 3
		.amdhsa_dx10_clamp 1
		.amdhsa_ieee_mode 1
		.amdhsa_fp16_overflow 0
		.amdhsa_exception_fp_ieee_invalid_op 0
		.amdhsa_exception_fp_denorm_src 0
		.amdhsa_exception_fp_ieee_div_zero 0
		.amdhsa_exception_fp_ieee_overflow 0
		.amdhsa_exception_fp_ieee_underflow 0
		.amdhsa_exception_fp_ieee_inexact 0
		.amdhsa_exception_int_div_zero 0
	.end_amdhsa_kernel
	.section	.text._ZN7rocprim17ROCPRIM_304000_NS6detail26onesweep_histograms_kernelINS1_34wrapped_radix_sort_onesweep_configINS0_14default_configEiN2at4cuda3cub6detail10OpaqueTypeILi8EEEEELb0EPKimNS0_19identity_decomposerEEEvT1_PT2_SG_SG_T3_jj,"axG",@progbits,_ZN7rocprim17ROCPRIM_304000_NS6detail26onesweep_histograms_kernelINS1_34wrapped_radix_sort_onesweep_configINS0_14default_configEiN2at4cuda3cub6detail10OpaqueTypeILi8EEEEELb0EPKimNS0_19identity_decomposerEEEvT1_PT2_SG_SG_T3_jj,comdat
.Lfunc_end95:
	.size	_ZN7rocprim17ROCPRIM_304000_NS6detail26onesweep_histograms_kernelINS1_34wrapped_radix_sort_onesweep_configINS0_14default_configEiN2at4cuda3cub6detail10OpaqueTypeILi8EEEEELb0EPKimNS0_19identity_decomposerEEEvT1_PT2_SG_SG_T3_jj, .Lfunc_end95-_ZN7rocprim17ROCPRIM_304000_NS6detail26onesweep_histograms_kernelINS1_34wrapped_radix_sort_onesweep_configINS0_14default_configEiN2at4cuda3cub6detail10OpaqueTypeILi8EEEEELb0EPKimNS0_19identity_decomposerEEEvT1_PT2_SG_SG_T3_jj
                                        ; -- End function
	.set _ZN7rocprim17ROCPRIM_304000_NS6detail26onesweep_histograms_kernelINS1_34wrapped_radix_sort_onesweep_configINS0_14default_configEiN2at4cuda3cub6detail10OpaqueTypeILi8EEEEELb0EPKimNS0_19identity_decomposerEEEvT1_PT2_SG_SG_T3_jj.num_vgpr, 23
	.set _ZN7rocprim17ROCPRIM_304000_NS6detail26onesweep_histograms_kernelINS1_34wrapped_radix_sort_onesweep_configINS0_14default_configEiN2at4cuda3cub6detail10OpaqueTypeILi8EEEEELb0EPKimNS0_19identity_decomposerEEEvT1_PT2_SG_SG_T3_jj.num_agpr, 0
	.set _ZN7rocprim17ROCPRIM_304000_NS6detail26onesweep_histograms_kernelINS1_34wrapped_radix_sort_onesweep_configINS0_14default_configEiN2at4cuda3cub6detail10OpaqueTypeILi8EEEEELb0EPKimNS0_19identity_decomposerEEEvT1_PT2_SG_SG_T3_jj.numbered_sgpr, 39
	.set _ZN7rocprim17ROCPRIM_304000_NS6detail26onesweep_histograms_kernelINS1_34wrapped_radix_sort_onesweep_configINS0_14default_configEiN2at4cuda3cub6detail10OpaqueTypeILi8EEEEELb0EPKimNS0_19identity_decomposerEEEvT1_PT2_SG_SG_T3_jj.num_named_barrier, 0
	.set _ZN7rocprim17ROCPRIM_304000_NS6detail26onesweep_histograms_kernelINS1_34wrapped_radix_sort_onesweep_configINS0_14default_configEiN2at4cuda3cub6detail10OpaqueTypeILi8EEEEELb0EPKimNS0_19identity_decomposerEEEvT1_PT2_SG_SG_T3_jj.private_seg_size, 0
	.set _ZN7rocprim17ROCPRIM_304000_NS6detail26onesweep_histograms_kernelINS1_34wrapped_radix_sort_onesweep_configINS0_14default_configEiN2at4cuda3cub6detail10OpaqueTypeILi8EEEEELb0EPKimNS0_19identity_decomposerEEEvT1_PT2_SG_SG_T3_jj.uses_vcc, 1
	.set _ZN7rocprim17ROCPRIM_304000_NS6detail26onesweep_histograms_kernelINS1_34wrapped_radix_sort_onesweep_configINS0_14default_configEiN2at4cuda3cub6detail10OpaqueTypeILi8EEEEELb0EPKimNS0_19identity_decomposerEEEvT1_PT2_SG_SG_T3_jj.uses_flat_scratch, 0
	.set _ZN7rocprim17ROCPRIM_304000_NS6detail26onesweep_histograms_kernelINS1_34wrapped_radix_sort_onesweep_configINS0_14default_configEiN2at4cuda3cub6detail10OpaqueTypeILi8EEEEELb0EPKimNS0_19identity_decomposerEEEvT1_PT2_SG_SG_T3_jj.has_dyn_sized_stack, 0
	.set _ZN7rocprim17ROCPRIM_304000_NS6detail26onesweep_histograms_kernelINS1_34wrapped_radix_sort_onesweep_configINS0_14default_configEiN2at4cuda3cub6detail10OpaqueTypeILi8EEEEELb0EPKimNS0_19identity_decomposerEEEvT1_PT2_SG_SG_T3_jj.has_recursion, 0
	.set _ZN7rocprim17ROCPRIM_304000_NS6detail26onesweep_histograms_kernelINS1_34wrapped_radix_sort_onesweep_configINS0_14default_configEiN2at4cuda3cub6detail10OpaqueTypeILi8EEEEELb0EPKimNS0_19identity_decomposerEEEvT1_PT2_SG_SG_T3_jj.has_indirect_call, 0
	.section	.AMDGPU.csdata,"",@progbits
; Kernel info:
; codeLenInByte = 5104
; TotalNumSgprs: 43
; NumVgprs: 23
; ScratchSize: 0
; MemoryBound: 0
; FloatMode: 240
; IeeeMode: 1
; LDSByteSize: 16384 bytes/workgroup (compile time only)
; SGPRBlocks: 12
; VGPRBlocks: 12
; NumSGPRsForWavesPerEU: 102
; NumVGPRsForWavesPerEU: 49
; Occupancy: 4
; WaveLimiterHint : 1
; COMPUTE_PGM_RSRC2:SCRATCH_EN: 0
; COMPUTE_PGM_RSRC2:USER_SGPR: 6
; COMPUTE_PGM_RSRC2:TRAP_HANDLER: 0
; COMPUTE_PGM_RSRC2:TGID_X_EN: 1
; COMPUTE_PGM_RSRC2:TGID_Y_EN: 0
; COMPUTE_PGM_RSRC2:TGID_Z_EN: 0
; COMPUTE_PGM_RSRC2:TIDIG_COMP_CNT: 0
	.section	.text._ZN7rocprim17ROCPRIM_304000_NS6detail25onesweep_iteration_kernelINS1_34wrapped_radix_sort_onesweep_configINS0_14default_configEiN2at4cuda3cub6detail10OpaqueTypeILi8EEEEELb0EPKiPiPKSA_PSA_mNS0_19identity_decomposerEEEvT1_T2_T3_T4_jPT5_SO_PNS1_23onesweep_lookback_stateET6_jjj,"axG",@progbits,_ZN7rocprim17ROCPRIM_304000_NS6detail25onesweep_iteration_kernelINS1_34wrapped_radix_sort_onesweep_configINS0_14default_configEiN2at4cuda3cub6detail10OpaqueTypeILi8EEEEELb0EPKiPiPKSA_PSA_mNS0_19identity_decomposerEEEvT1_T2_T3_T4_jPT5_SO_PNS1_23onesweep_lookback_stateET6_jjj,comdat
	.protected	_ZN7rocprim17ROCPRIM_304000_NS6detail25onesweep_iteration_kernelINS1_34wrapped_radix_sort_onesweep_configINS0_14default_configEiN2at4cuda3cub6detail10OpaqueTypeILi8EEEEELb0EPKiPiPKSA_PSA_mNS0_19identity_decomposerEEEvT1_T2_T3_T4_jPT5_SO_PNS1_23onesweep_lookback_stateET6_jjj ; -- Begin function _ZN7rocprim17ROCPRIM_304000_NS6detail25onesweep_iteration_kernelINS1_34wrapped_radix_sort_onesweep_configINS0_14default_configEiN2at4cuda3cub6detail10OpaqueTypeILi8EEEEELb0EPKiPiPKSA_PSA_mNS0_19identity_decomposerEEEvT1_T2_T3_T4_jPT5_SO_PNS1_23onesweep_lookback_stateET6_jjj
	.globl	_ZN7rocprim17ROCPRIM_304000_NS6detail25onesweep_iteration_kernelINS1_34wrapped_radix_sort_onesweep_configINS0_14default_configEiN2at4cuda3cub6detail10OpaqueTypeILi8EEEEELb0EPKiPiPKSA_PSA_mNS0_19identity_decomposerEEEvT1_T2_T3_T4_jPT5_SO_PNS1_23onesweep_lookback_stateET6_jjj
	.p2align	8
	.type	_ZN7rocprim17ROCPRIM_304000_NS6detail25onesweep_iteration_kernelINS1_34wrapped_radix_sort_onesweep_configINS0_14default_configEiN2at4cuda3cub6detail10OpaqueTypeILi8EEEEELb0EPKiPiPKSA_PSA_mNS0_19identity_decomposerEEEvT1_T2_T3_T4_jPT5_SO_PNS1_23onesweep_lookback_stateET6_jjj,@function
_ZN7rocprim17ROCPRIM_304000_NS6detail25onesweep_iteration_kernelINS1_34wrapped_radix_sort_onesweep_configINS0_14default_configEiN2at4cuda3cub6detail10OpaqueTypeILi8EEEEELb0EPKiPiPKSA_PSA_mNS0_19identity_decomposerEEEvT1_T2_T3_T4_jPT5_SO_PNS1_23onesweep_lookback_stateET6_jjj: ; @_ZN7rocprim17ROCPRIM_304000_NS6detail25onesweep_iteration_kernelINS1_34wrapped_radix_sort_onesweep_configINS0_14default_configEiN2at4cuda3cub6detail10OpaqueTypeILi8EEEEELb0EPKiPiPKSA_PSA_mNS0_19identity_decomposerEEEvT1_T2_T3_T4_jPT5_SO_PNS1_23onesweep_lookback_stateET6_jjj
; %bb.0:
	s_load_dwordx8 s[56:63], s[4:5], 0x0
	s_load_dwordx4 s[68:71], s[4:5], 0x44
	s_load_dwordx4 s[64:67], s[4:5], 0x28
	s_load_dwordx2 s[72:73], s[4:5], 0x38
	s_mov_b32 s7, s6
	s_mov_b64 s[0:1], -1
	s_waitcnt lgkmcnt(0)
	s_cmp_ge_u32 s6, s70
	s_mul_i32 s54, s6, 0xc00
	v_mbcnt_lo_u32_b32 v29, -1, 0
	s_cbranch_scc0 .LBB96_152
; %bb.1:
	s_load_dword s2, s[4:5], 0x20
	s_mulk_i32 s70, 0xf400
	s_mov_b32 s55, 0
	s_lshl_b64 s[0:1], s[54:55], 2
	v_mbcnt_hi_u32_b32 v10, -1, v29
	s_waitcnt lgkmcnt(0)
	s_add_i32 s70, s70, s2
	s_add_u32 s0, s56, s0
	s_addc_u32 s1, s57, s1
	v_and_b32_e32 v19, 0xc0, v0
	v_lshlrev_b32_e32 v3, 2, v10
	v_mul_u32_u24_e32 v9, 12, v19
	v_mov_b32_e32 v4, s1
	v_add_co_u32_e32 v3, vcc, s0, v3
	v_addc_co_u32_e32 v4, vcc, 0, v4, vcc
	v_lshlrev_b32_e32 v5, 2, v9
	v_add_co_u32_e32 v3, vcc, v3, v5
	v_addc_co_u32_e32 v4, vcc, 0, v4, vcc
	v_or_b32_e32 v5, v10, v9
	v_mov_b32_e32 v7, -1
	v_cmp_gt_u32_e32 vcc, s70, v5
	v_mov_b32_e32 v8, -1
	s_and_saveexec_b64 s[0:1], vcc
	s_cbranch_execz .LBB96_3
; %bb.2:
	global_load_dword v6, v[3:4], off
	s_waitcnt vmcnt(0)
	v_xor_b32_e32 v8, 0x80000000, v6
.LBB96_3:
	s_or_b64 exec, exec, s[0:1]
	v_add_u32_e32 v6, 64, v5
	v_cmp_gt_u32_e64 s[0:1], s70, v6
	s_and_saveexec_b64 s[2:3], s[0:1]
	s_cbranch_execz .LBB96_5
; %bb.4:
	global_load_dword v6, v[3:4], off offset:256
	s_waitcnt vmcnt(0)
	v_xor_b32_e32 v7, 0x80000000, v6
.LBB96_5:
	s_or_b64 exec, exec, s[2:3]
	v_add_u32_e32 v6, 0x80, v5
	v_cmp_gt_u32_e64 s[2:3], s70, v6
	v_mov_b32_e32 v11, -1
	v_mov_b32_e32 v12, -1
	s_and_saveexec_b64 s[8:9], s[2:3]
	s_cbranch_execz .LBB96_7
; %bb.6:
	global_load_dword v6, v[3:4], off offset:512
	s_waitcnt vmcnt(0)
	v_xor_b32_e32 v12, 0x80000000, v6
.LBB96_7:
	s_or_b64 exec, exec, s[8:9]
	v_add_u32_e32 v6, 0xc0, v5
	v_cmp_gt_u32_e64 s[50:51], s70, v6
	s_and_saveexec_b64 s[8:9], s[50:51]
	s_cbranch_execz .LBB96_9
; %bb.8:
	global_load_dword v6, v[3:4], off offset:768
	s_waitcnt vmcnt(0)
	v_xor_b32_e32 v11, 0x80000000, v6
.LBB96_9:
	s_or_b64 exec, exec, s[8:9]
	v_add_u32_e32 v6, 0x100, v5
	v_cmp_gt_u32_e64 s[8:9], s70, v6
	v_mov_b32_e32 v13, -1
	v_mov_b32_e32 v14, -1
	s_and_saveexec_b64 s[10:11], s[8:9]
	s_cbranch_execz .LBB96_11
; %bb.10:
	global_load_dword v6, v[3:4], off offset:1024
	s_waitcnt vmcnt(0)
	v_xor_b32_e32 v14, 0x80000000, v6
.LBB96_11:
	s_or_b64 exec, exec, s[10:11]
	v_add_u32_e32 v6, 0x140, v5
	v_cmp_gt_u32_e64 s[10:11], s70, v6
	s_and_saveexec_b64 s[12:13], s[10:11]
	s_cbranch_execz .LBB96_13
; %bb.12:
	global_load_dword v6, v[3:4], off offset:1280
	s_waitcnt vmcnt(0)
	v_xor_b32_e32 v13, 0x80000000, v6
.LBB96_13:
	s_or_b64 exec, exec, s[12:13]
	v_add_u32_e32 v6, 0x180, v5
	v_cmp_gt_u32_e64 s[12:13], s70, v6
	v_mov_b32_e32 v15, -1
	v_mov_b32_e32 v16, -1
	s_and_saveexec_b64 s[14:15], s[12:13]
	s_cbranch_execz .LBB96_15
; %bb.14:
	global_load_dword v6, v[3:4], off offset:1536
	s_waitcnt vmcnt(0)
	v_xor_b32_e32 v16, 0x80000000, v6
.LBB96_15:
	s_or_b64 exec, exec, s[14:15]
	v_add_u32_e32 v6, 0x1c0, v5
	v_cmp_gt_u32_e64 s[18:19], s70, v6
	s_and_saveexec_b64 s[14:15], s[18:19]
	s_cbranch_execz .LBB96_17
; %bb.16:
	global_load_dword v6, v[3:4], off offset:1792
	s_waitcnt vmcnt(0)
	v_xor_b32_e32 v15, 0x80000000, v6
.LBB96_17:
	s_or_b64 exec, exec, s[14:15]
	v_add_u32_e32 v6, 0x200, v5
	v_cmp_gt_u32_e64 s[22:23], s70, v6
	v_mov_b32_e32 v17, -1
	v_mov_b32_e32 v18, -1
	s_and_saveexec_b64 s[14:15], s[22:23]
	s_cbranch_execz .LBB96_19
; %bb.18:
	global_load_dword v6, v[3:4], off offset:2048
	s_waitcnt vmcnt(0)
	v_xor_b32_e32 v18, 0x80000000, v6
.LBB96_19:
	s_or_b64 exec, exec, s[14:15]
	v_add_u32_e32 v6, 0x240, v5
	v_cmp_gt_u32_e64 s[20:21], s70, v6
	s_and_saveexec_b64 s[14:15], s[20:21]
	s_cbranch_execz .LBB96_21
; %bb.20:
	global_load_dword v6, v[3:4], off offset:2304
	s_waitcnt vmcnt(0)
	v_xor_b32_e32 v17, 0x80000000, v6
.LBB96_21:
	s_or_b64 exec, exec, s[14:15]
	v_add_u32_e32 v6, 0x280, v5
	v_cmp_gt_u32_e64 s[16:17], s70, v6
	v_mov_b32_e32 v20, -1
	v_mov_b32_e32 v21, -1
	s_and_saveexec_b64 s[14:15], s[16:17]
	s_cbranch_execz .LBB96_23
; %bb.22:
	global_load_dword v6, v[3:4], off offset:2560
	s_waitcnt vmcnt(0)
	v_xor_b32_e32 v21, 0x80000000, v6
.LBB96_23:
	s_or_b64 exec, exec, s[14:15]
	v_add_u32_e32 v5, 0x2c0, v5
	v_cmp_gt_u32_e64 s[14:15], s70, v5
	s_and_saveexec_b64 s[24:25], s[14:15]
	s_cbranch_execz .LBB96_25
; %bb.24:
	global_load_dword v3, v[3:4], off offset:2816
	s_waitcnt vmcnt(0)
	v_xor_b32_e32 v20, 0x80000000, v3
.LBB96_25:
	s_or_b64 exec, exec, s[24:25]
	s_load_dword s24, s[4:5], 0x5c
	s_load_dword s33, s[4:5], 0x50
	s_add_u32 s25, s4, 0x50
	s_addc_u32 s26, s5, 0
	v_mov_b32_e32 v3, 0
	s_waitcnt lgkmcnt(0)
	s_lshr_b32 s27, s24, 16
	s_cmp_lt_u32 s6, s33
	s_cselect_b32 s24, 12, 18
	s_add_u32 s24, s25, s24
	s_addc_u32 s25, s26, 0
	global_load_ushort v5, v3, s[24:25]
	s_lshl_b32 s24, -1, s69
	v_lshrrev_b32_e32 v4, s68, v8
	s_not_b32 s74, s24
	v_and_b32_e32 v23, s74, v4
	v_and_b32_e32 v24, 1, v23
	v_add_co_u32_e64 v26, s[24:25], -1, v24
	v_lshlrev_b32_e32 v4, 30, v23
	v_addc_co_u32_e64 v27, s[24:25], 0, -1, s[24:25]
	v_mad_u32_u24 v6, v2, s27, v1
	v_cmp_ne_u32_e64 s[24:25], 0, v24
	v_cmp_gt_i64_e64 s[26:27], 0, v[3:4]
	v_not_b32_e32 v24, v4
	v_lshlrev_b32_e32 v4, 29, v23
	v_xor_b32_e32 v27, s25, v27
	v_xor_b32_e32 v26, s24, v26
	v_ashrrev_i32_e32 v24, 31, v24
	v_cmp_gt_i64_e64 s[24:25], 0, v[3:4]
	v_not_b32_e32 v28, v4
	v_lshlrev_b32_e32 v4, 28, v23
	v_and_b32_e32 v27, exec_hi, v27
	v_and_b32_e32 v26, exec_lo, v26
	v_xor_b32_e32 v30, s27, v24
	v_xor_b32_e32 v24, s26, v24
	v_ashrrev_i32_e32 v28, 31, v28
	v_cmp_gt_i64_e64 s[26:27], 0, v[3:4]
	v_not_b32_e32 v31, v4
	v_lshlrev_b32_e32 v4, 27, v23
	v_and_b32_e32 v27, v27, v30
	v_and_b32_e32 v24, v26, v24
	v_xor_b32_e32 v26, s25, v28
	v_xor_b32_e32 v28, s24, v28
	v_ashrrev_i32_e32 v30, 31, v31
	v_cmp_gt_i64_e64 s[24:25], 0, v[3:4]
	v_not_b32_e32 v31, v4
	v_lshlrev_b32_e32 v4, 26, v23
	v_and_b32_e32 v26, v27, v26
	v_and_b32_e32 v24, v24, v28
	;; [unrolled: 8-line block ×3, first 2 shown]
	v_xor_b32_e32 v27, s25, v30
	v_xor_b32_e32 v28, s24, v30
	v_ashrrev_i32_e32 v30, 31, v31
	v_cmp_gt_i64_e64 s[24:25], 0, v[3:4]
	v_not_b32_e32 v31, v4
	v_mul_lo_u32 v25, v23, 20
	v_lshlrev_b32_e32 v4, 24, v23
	v_and_b32_e32 v23, v26, v27
	v_and_b32_e32 v24, v24, v28
	v_xor_b32_e32 v26, s27, v30
	v_xor_b32_e32 v27, s26, v30
	v_ashrrev_i32_e32 v28, 31, v31
	v_and_b32_e32 v23, v23, v26
	v_and_b32_e32 v24, v24, v27
	v_xor_b32_e32 v26, s25, v28
	v_xor_b32_e32 v27, s24, v28
	v_cmp_gt_i64_e64 s[26:27], 0, v[3:4]
	v_not_b32_e32 v4, v4
	v_and_b32_e32 v26, v23, v26
	v_and_b32_e32 v27, v24, v27
	v_ashrrev_i32_e32 v4, 31, v4
	v_xor_b32_e32 v28, s27, v4
	v_xor_b32_e32 v4, s26, v4
	v_and_b32_e32 v4, v27, v4
	v_mul_u32_u24_e32 v22, 20, v0
	ds_write2_b32 v22, v3, v3 offset0:4 offset1:5
	ds_write2_b32 v22, v3, v3 offset0:6 offset1:7
	ds_write_b32 v22, v3 offset:32
	s_waitcnt vmcnt(0) lgkmcnt(0)
	s_barrier
	; wave barrier
	v_mad_u64_u32 v[23:24], s[24:25], v6, v5, v[0:1]
	v_and_b32_e32 v5, v26, v28
	v_cmp_ne_u64_e64 s[24:25], 0, v[4:5]
	v_lshrrev_b32_e32 v6, 6, v23
	v_mbcnt_lo_u32_b32 v23, v4, 0
	v_mbcnt_hi_u32_b32 v23, v5, v23
	v_cmp_eq_u32_e64 s[26:27], 0, v23
	v_lshl_add_u32 v24, v6, 2, v25
	s_and_b64 s[26:27], s[24:25], s[26:27]
	s_and_saveexec_b64 s[24:25], s[26:27]
; %bb.26:
	v_bcnt_u32_b32 v4, v4, 0
	v_bcnt_u32_b32 v4, v5, v4
	ds_write_b32 v24, v4 offset:16
; %bb.27:
	s_or_b64 exec, exec, s[24:25]
	v_lshrrev_b32_e32 v4, s68, v7
	v_and_b32_e32 v5, s74, v4
	v_mul_lo_u32 v4, v5, 20
	v_and_b32_e32 v27, 1, v5
	; wave barrier
	v_lshl_add_u32 v26, v6, 2, v4
	v_add_co_u32_e64 v4, s[24:25], -1, v27
	v_addc_co_u32_e64 v28, s[24:25], 0, -1, s[24:25]
	v_cmp_ne_u32_e64 s[24:25], 0, v27
	v_xor_b32_e32 v4, s24, v4
	v_xor_b32_e32 v27, s25, v28
	v_and_b32_e32 v28, exec_lo, v4
	v_lshlrev_b32_e32 v4, 30, v5
	v_cmp_gt_i64_e64 s[24:25], 0, v[3:4]
	v_not_b32_e32 v4, v4
	v_ashrrev_i32_e32 v4, 31, v4
	v_xor_b32_e32 v30, s25, v4
	v_xor_b32_e32 v4, s24, v4
	v_and_b32_e32 v28, v28, v4
	v_lshlrev_b32_e32 v4, 29, v5
	v_cmp_gt_i64_e64 s[24:25], 0, v[3:4]
	v_not_b32_e32 v4, v4
	v_and_b32_e32 v27, exec_hi, v27
	v_ashrrev_i32_e32 v4, 31, v4
	v_and_b32_e32 v27, v27, v30
	v_xor_b32_e32 v30, s25, v4
	v_xor_b32_e32 v4, s24, v4
	v_and_b32_e32 v28, v28, v4
	v_lshlrev_b32_e32 v4, 28, v5
	v_cmp_gt_i64_e64 s[24:25], 0, v[3:4]
	v_not_b32_e32 v4, v4
	v_ashrrev_i32_e32 v4, 31, v4
	v_and_b32_e32 v27, v27, v30
	v_xor_b32_e32 v30, s25, v4
	v_xor_b32_e32 v4, s24, v4
	v_and_b32_e32 v28, v28, v4
	v_lshlrev_b32_e32 v4, 27, v5
	v_cmp_gt_i64_e64 s[24:25], 0, v[3:4]
	v_not_b32_e32 v4, v4
	;; [unrolled: 8-line block ×5, first 2 shown]
	v_ashrrev_i32_e32 v3, 31, v3
	v_xor_b32_e32 v4, s25, v3
	v_xor_b32_e32 v3, s24, v3
	ds_read_b32 v25, v26 offset:16
	v_and_b32_e32 v27, v27, v30
	v_and_b32_e32 v3, v28, v3
	;; [unrolled: 1-line block ×3, first 2 shown]
	v_mbcnt_lo_u32_b32 v5, v3, 0
	v_mbcnt_hi_u32_b32 v27, v4, v5
	v_cmp_ne_u64_e64 s[24:25], 0, v[3:4]
	v_cmp_eq_u32_e64 s[26:27], 0, v27
	s_and_b64 s[26:27], s[24:25], s[26:27]
	; wave barrier
	s_and_saveexec_b64 s[24:25], s[26:27]
	s_cbranch_execz .LBB96_29
; %bb.28:
	v_bcnt_u32_b32 v3, v3, 0
	v_bcnt_u32_b32 v3, v4, v3
	s_waitcnt lgkmcnt(0)
	v_add_u32_e32 v3, v25, v3
	ds_write_b32 v26, v3 offset:16
.LBB96_29:
	s_or_b64 exec, exec, s[24:25]
	v_lshrrev_b32_e32 v3, s68, v12
	v_and_b32_e32 v5, s74, v3
	v_and_b32_e32 v4, 1, v5
	v_mul_lo_u32 v3, v5, 20
	v_add_co_u32_e64 v31, s[24:25], -1, v4
	v_addc_co_u32_e64 v32, s[24:25], 0, -1, s[24:25]
	v_cmp_ne_u32_e64 s[24:25], 0, v4
	v_xor_b32_e32 v4, s25, v32
	v_lshl_add_u32 v30, v6, 2, v3
	v_mov_b32_e32 v3, 0
	v_and_b32_e32 v32, exec_hi, v4
	v_lshlrev_b32_e32 v4, 30, v5
	v_xor_b32_e32 v31, s24, v31
	v_cmp_gt_i64_e64 s[24:25], 0, v[3:4]
	v_not_b32_e32 v4, v4
	v_ashrrev_i32_e32 v4, 31, v4
	v_and_b32_e32 v31, exec_lo, v31
	v_xor_b32_e32 v33, s25, v4
	v_xor_b32_e32 v4, s24, v4
	v_and_b32_e32 v31, v31, v4
	v_lshlrev_b32_e32 v4, 29, v5
	v_cmp_gt_i64_e64 s[24:25], 0, v[3:4]
	v_not_b32_e32 v4, v4
	v_ashrrev_i32_e32 v4, 31, v4
	v_and_b32_e32 v32, v32, v33
	v_xor_b32_e32 v33, s25, v4
	v_xor_b32_e32 v4, s24, v4
	v_and_b32_e32 v31, v31, v4
	v_lshlrev_b32_e32 v4, 28, v5
	v_cmp_gt_i64_e64 s[24:25], 0, v[3:4]
	v_not_b32_e32 v4, v4
	v_ashrrev_i32_e32 v4, 31, v4
	v_and_b32_e32 v32, v32, v33
	;; [unrolled: 8-line block ×5, first 2 shown]
	v_xor_b32_e32 v33, s25, v4
	v_xor_b32_e32 v4, s24, v4
	v_and_b32_e32 v31, v31, v4
	v_lshlrev_b32_e32 v4, 24, v5
	v_cmp_gt_i64_e64 s[24:25], 0, v[3:4]
	v_not_b32_e32 v4, v4
	v_ashrrev_i32_e32 v4, 31, v4
	v_xor_b32_e32 v5, s25, v4
	v_xor_b32_e32 v4, s24, v4
	; wave barrier
	ds_read_b32 v28, v30 offset:16
	v_and_b32_e32 v32, v32, v33
	v_and_b32_e32 v4, v31, v4
	;; [unrolled: 1-line block ×3, first 2 shown]
	v_mbcnt_lo_u32_b32 v31, v4, 0
	v_mbcnt_hi_u32_b32 v31, v5, v31
	v_cmp_ne_u64_e64 s[24:25], 0, v[4:5]
	v_cmp_eq_u32_e64 s[26:27], 0, v31
	s_and_b64 s[26:27], s[24:25], s[26:27]
	; wave barrier
	s_and_saveexec_b64 s[24:25], s[26:27]
	s_cbranch_execz .LBB96_31
; %bb.30:
	v_bcnt_u32_b32 v4, v4, 0
	v_bcnt_u32_b32 v4, v5, v4
	s_waitcnt lgkmcnt(0)
	v_add_u32_e32 v4, v28, v4
	ds_write_b32 v30, v4 offset:16
.LBB96_31:
	s_or_b64 exec, exec, s[24:25]
	v_lshrrev_b32_e32 v4, s68, v11
	v_and_b32_e32 v5, s74, v4
	v_mul_lo_u32 v4, v5, 20
	v_and_b32_e32 v34, 1, v5
	; wave barrier
	v_lshl_add_u32 v33, v6, 2, v4
	v_add_co_u32_e64 v4, s[24:25], -1, v34
	v_addc_co_u32_e64 v35, s[24:25], 0, -1, s[24:25]
	v_cmp_ne_u32_e64 s[24:25], 0, v34
	v_xor_b32_e32 v4, s24, v4
	v_xor_b32_e32 v34, s25, v35
	v_and_b32_e32 v35, exec_lo, v4
	v_lshlrev_b32_e32 v4, 30, v5
	v_cmp_gt_i64_e64 s[24:25], 0, v[3:4]
	v_not_b32_e32 v4, v4
	v_ashrrev_i32_e32 v4, 31, v4
	v_xor_b32_e32 v36, s25, v4
	v_xor_b32_e32 v4, s24, v4
	v_and_b32_e32 v35, v35, v4
	v_lshlrev_b32_e32 v4, 29, v5
	v_cmp_gt_i64_e64 s[24:25], 0, v[3:4]
	v_not_b32_e32 v4, v4
	v_and_b32_e32 v34, exec_hi, v34
	v_ashrrev_i32_e32 v4, 31, v4
	v_and_b32_e32 v34, v34, v36
	v_xor_b32_e32 v36, s25, v4
	v_xor_b32_e32 v4, s24, v4
	v_and_b32_e32 v35, v35, v4
	v_lshlrev_b32_e32 v4, 28, v5
	v_cmp_gt_i64_e64 s[24:25], 0, v[3:4]
	v_not_b32_e32 v4, v4
	v_ashrrev_i32_e32 v4, 31, v4
	v_and_b32_e32 v34, v34, v36
	v_xor_b32_e32 v36, s25, v4
	v_xor_b32_e32 v4, s24, v4
	v_and_b32_e32 v35, v35, v4
	v_lshlrev_b32_e32 v4, 27, v5
	v_cmp_gt_i64_e64 s[24:25], 0, v[3:4]
	v_not_b32_e32 v4, v4
	;; [unrolled: 8-line block ×5, first 2 shown]
	v_ashrrev_i32_e32 v3, 31, v3
	v_xor_b32_e32 v4, s25, v3
	v_xor_b32_e32 v3, s24, v3
	ds_read_b32 v32, v33 offset:16
	v_and_b32_e32 v34, v34, v36
	v_and_b32_e32 v3, v35, v3
	;; [unrolled: 1-line block ×3, first 2 shown]
	v_mbcnt_lo_u32_b32 v5, v3, 0
	v_mbcnt_hi_u32_b32 v34, v4, v5
	v_cmp_ne_u64_e64 s[24:25], 0, v[3:4]
	v_cmp_eq_u32_e64 s[26:27], 0, v34
	s_and_b64 s[26:27], s[24:25], s[26:27]
	; wave barrier
	s_and_saveexec_b64 s[24:25], s[26:27]
	s_cbranch_execz .LBB96_33
; %bb.32:
	v_bcnt_u32_b32 v3, v3, 0
	v_bcnt_u32_b32 v3, v4, v3
	s_waitcnt lgkmcnt(0)
	v_add_u32_e32 v3, v32, v3
	ds_write_b32 v33, v3 offset:16
.LBB96_33:
	s_or_b64 exec, exec, s[24:25]
	v_lshrrev_b32_e32 v3, s68, v14
	v_and_b32_e32 v5, s74, v3
	v_and_b32_e32 v4, 1, v5
	v_mul_lo_u32 v3, v5, 20
	v_add_co_u32_e64 v37, s[24:25], -1, v4
	v_addc_co_u32_e64 v38, s[24:25], 0, -1, s[24:25]
	v_cmp_ne_u32_e64 s[24:25], 0, v4
	v_xor_b32_e32 v4, s25, v38
	v_lshl_add_u32 v36, v6, 2, v3
	v_mov_b32_e32 v3, 0
	v_and_b32_e32 v38, exec_hi, v4
	v_lshlrev_b32_e32 v4, 30, v5
	v_xor_b32_e32 v37, s24, v37
	v_cmp_gt_i64_e64 s[24:25], 0, v[3:4]
	v_not_b32_e32 v4, v4
	v_ashrrev_i32_e32 v4, 31, v4
	v_and_b32_e32 v37, exec_lo, v37
	v_xor_b32_e32 v39, s25, v4
	v_xor_b32_e32 v4, s24, v4
	v_and_b32_e32 v37, v37, v4
	v_lshlrev_b32_e32 v4, 29, v5
	v_cmp_gt_i64_e64 s[24:25], 0, v[3:4]
	v_not_b32_e32 v4, v4
	v_ashrrev_i32_e32 v4, 31, v4
	v_and_b32_e32 v38, v38, v39
	v_xor_b32_e32 v39, s25, v4
	v_xor_b32_e32 v4, s24, v4
	v_and_b32_e32 v37, v37, v4
	v_lshlrev_b32_e32 v4, 28, v5
	v_cmp_gt_i64_e64 s[24:25], 0, v[3:4]
	v_not_b32_e32 v4, v4
	v_ashrrev_i32_e32 v4, 31, v4
	v_and_b32_e32 v38, v38, v39
	;; [unrolled: 8-line block ×5, first 2 shown]
	v_xor_b32_e32 v39, s25, v4
	v_xor_b32_e32 v4, s24, v4
	v_and_b32_e32 v37, v37, v4
	v_lshlrev_b32_e32 v4, 24, v5
	v_cmp_gt_i64_e64 s[24:25], 0, v[3:4]
	v_not_b32_e32 v4, v4
	v_ashrrev_i32_e32 v4, 31, v4
	v_xor_b32_e32 v5, s25, v4
	v_xor_b32_e32 v4, s24, v4
	; wave barrier
	ds_read_b32 v35, v36 offset:16
	v_and_b32_e32 v38, v38, v39
	v_and_b32_e32 v4, v37, v4
	;; [unrolled: 1-line block ×3, first 2 shown]
	v_mbcnt_lo_u32_b32 v37, v4, 0
	v_mbcnt_hi_u32_b32 v37, v5, v37
	v_cmp_ne_u64_e64 s[24:25], 0, v[4:5]
	v_cmp_eq_u32_e64 s[26:27], 0, v37
	s_and_b64 s[26:27], s[24:25], s[26:27]
	; wave barrier
	s_and_saveexec_b64 s[24:25], s[26:27]
	s_cbranch_execz .LBB96_35
; %bb.34:
	v_bcnt_u32_b32 v4, v4, 0
	v_bcnt_u32_b32 v4, v5, v4
	s_waitcnt lgkmcnt(0)
	v_add_u32_e32 v4, v35, v4
	ds_write_b32 v36, v4 offset:16
.LBB96_35:
	s_or_b64 exec, exec, s[24:25]
	v_lshrrev_b32_e32 v4, s68, v13
	v_and_b32_e32 v5, s74, v4
	v_mul_lo_u32 v4, v5, 20
	v_and_b32_e32 v40, 1, v5
	; wave barrier
	v_lshl_add_u32 v39, v6, 2, v4
	v_add_co_u32_e64 v4, s[24:25], -1, v40
	v_addc_co_u32_e64 v41, s[24:25], 0, -1, s[24:25]
	v_cmp_ne_u32_e64 s[24:25], 0, v40
	v_xor_b32_e32 v4, s24, v4
	v_xor_b32_e32 v40, s25, v41
	v_and_b32_e32 v41, exec_lo, v4
	v_lshlrev_b32_e32 v4, 30, v5
	v_cmp_gt_i64_e64 s[24:25], 0, v[3:4]
	v_not_b32_e32 v4, v4
	v_ashrrev_i32_e32 v4, 31, v4
	v_xor_b32_e32 v42, s25, v4
	v_xor_b32_e32 v4, s24, v4
	v_and_b32_e32 v41, v41, v4
	v_lshlrev_b32_e32 v4, 29, v5
	v_cmp_gt_i64_e64 s[24:25], 0, v[3:4]
	v_not_b32_e32 v4, v4
	v_and_b32_e32 v40, exec_hi, v40
	v_ashrrev_i32_e32 v4, 31, v4
	v_and_b32_e32 v40, v40, v42
	v_xor_b32_e32 v42, s25, v4
	v_xor_b32_e32 v4, s24, v4
	v_and_b32_e32 v41, v41, v4
	v_lshlrev_b32_e32 v4, 28, v5
	v_cmp_gt_i64_e64 s[24:25], 0, v[3:4]
	v_not_b32_e32 v4, v4
	v_ashrrev_i32_e32 v4, 31, v4
	v_and_b32_e32 v40, v40, v42
	v_xor_b32_e32 v42, s25, v4
	v_xor_b32_e32 v4, s24, v4
	v_and_b32_e32 v41, v41, v4
	v_lshlrev_b32_e32 v4, 27, v5
	v_cmp_gt_i64_e64 s[24:25], 0, v[3:4]
	v_not_b32_e32 v4, v4
	;; [unrolled: 8-line block ×5, first 2 shown]
	v_ashrrev_i32_e32 v3, 31, v3
	v_xor_b32_e32 v4, s25, v3
	v_xor_b32_e32 v3, s24, v3
	ds_read_b32 v38, v39 offset:16
	v_and_b32_e32 v40, v40, v42
	v_and_b32_e32 v3, v41, v3
	;; [unrolled: 1-line block ×3, first 2 shown]
	v_mbcnt_lo_u32_b32 v5, v3, 0
	v_mbcnt_hi_u32_b32 v45, v4, v5
	v_cmp_ne_u64_e64 s[24:25], 0, v[3:4]
	v_cmp_eq_u32_e64 s[26:27], 0, v45
	s_and_b64 s[26:27], s[24:25], s[26:27]
	; wave barrier
	s_and_saveexec_b64 s[24:25], s[26:27]
	s_cbranch_execz .LBB96_37
; %bb.36:
	v_bcnt_u32_b32 v3, v3, 0
	v_bcnt_u32_b32 v3, v4, v3
	s_waitcnt lgkmcnt(0)
	v_add_u32_e32 v3, v38, v3
	ds_write_b32 v39, v3 offset:16
.LBB96_37:
	s_or_b64 exec, exec, s[24:25]
	v_lshrrev_b32_e32 v3, s68, v16
	v_and_b32_e32 v5, s74, v3
	v_and_b32_e32 v4, 1, v5
	v_mul_lo_u32 v3, v5, 20
	v_add_co_u32_e64 v41, s[24:25], -1, v4
	v_addc_co_u32_e64 v42, s[24:25], 0, -1, s[24:25]
	v_cmp_ne_u32_e64 s[24:25], 0, v4
	v_xor_b32_e32 v4, s25, v42
	v_lshl_add_u32 v40, v6, 2, v3
	v_mov_b32_e32 v3, 0
	v_and_b32_e32 v42, exec_hi, v4
	v_lshlrev_b32_e32 v4, 30, v5
	v_xor_b32_e32 v41, s24, v41
	v_cmp_gt_i64_e64 s[24:25], 0, v[3:4]
	v_not_b32_e32 v4, v4
	v_ashrrev_i32_e32 v4, 31, v4
	v_and_b32_e32 v41, exec_lo, v41
	v_xor_b32_e32 v43, s25, v4
	v_xor_b32_e32 v4, s24, v4
	v_and_b32_e32 v41, v41, v4
	v_lshlrev_b32_e32 v4, 29, v5
	v_cmp_gt_i64_e64 s[24:25], 0, v[3:4]
	v_not_b32_e32 v4, v4
	v_ashrrev_i32_e32 v4, 31, v4
	v_and_b32_e32 v42, v42, v43
	v_xor_b32_e32 v43, s25, v4
	v_xor_b32_e32 v4, s24, v4
	v_and_b32_e32 v41, v41, v4
	v_lshlrev_b32_e32 v4, 28, v5
	v_cmp_gt_i64_e64 s[24:25], 0, v[3:4]
	v_not_b32_e32 v4, v4
	v_ashrrev_i32_e32 v4, 31, v4
	v_and_b32_e32 v42, v42, v43
	;; [unrolled: 8-line block ×5, first 2 shown]
	v_xor_b32_e32 v43, s25, v4
	v_xor_b32_e32 v4, s24, v4
	v_and_b32_e32 v41, v41, v4
	v_lshlrev_b32_e32 v4, 24, v5
	v_cmp_gt_i64_e64 s[24:25], 0, v[3:4]
	v_not_b32_e32 v4, v4
	v_ashrrev_i32_e32 v4, 31, v4
	v_xor_b32_e32 v5, s25, v4
	v_xor_b32_e32 v4, s24, v4
	; wave barrier
	ds_read_b32 v46, v40 offset:16
	v_and_b32_e32 v42, v42, v43
	v_and_b32_e32 v4, v41, v4
	;; [unrolled: 1-line block ×3, first 2 shown]
	v_mbcnt_lo_u32_b32 v41, v4, 0
	v_mbcnt_hi_u32_b32 v47, v5, v41
	v_cmp_ne_u64_e64 s[24:25], 0, v[4:5]
	v_cmp_eq_u32_e64 s[26:27], 0, v47
	s_and_b64 s[26:27], s[24:25], s[26:27]
	; wave barrier
	s_and_saveexec_b64 s[24:25], s[26:27]
	s_cbranch_execz .LBB96_39
; %bb.38:
	v_bcnt_u32_b32 v4, v4, 0
	v_bcnt_u32_b32 v4, v5, v4
	s_waitcnt lgkmcnt(0)
	v_add_u32_e32 v4, v46, v4
	ds_write_b32 v40, v4 offset:16
.LBB96_39:
	s_or_b64 exec, exec, s[24:25]
	v_lshrrev_b32_e32 v4, s68, v15
	v_and_b32_e32 v5, s74, v4
	v_mul_lo_u32 v4, v5, 20
	v_and_b32_e32 v42, 1, v5
	; wave barrier
	v_lshl_add_u32 v41, v6, 2, v4
	v_add_co_u32_e64 v4, s[24:25], -1, v42
	v_addc_co_u32_e64 v43, s[24:25], 0, -1, s[24:25]
	v_cmp_ne_u32_e64 s[24:25], 0, v42
	v_xor_b32_e32 v4, s24, v4
	v_xor_b32_e32 v42, s25, v43
	v_and_b32_e32 v43, exec_lo, v4
	v_lshlrev_b32_e32 v4, 30, v5
	v_cmp_gt_i64_e64 s[24:25], 0, v[3:4]
	v_not_b32_e32 v4, v4
	v_ashrrev_i32_e32 v4, 31, v4
	v_xor_b32_e32 v44, s25, v4
	v_xor_b32_e32 v4, s24, v4
	v_and_b32_e32 v43, v43, v4
	v_lshlrev_b32_e32 v4, 29, v5
	v_cmp_gt_i64_e64 s[24:25], 0, v[3:4]
	v_not_b32_e32 v4, v4
	v_and_b32_e32 v42, exec_hi, v42
	v_ashrrev_i32_e32 v4, 31, v4
	v_and_b32_e32 v42, v42, v44
	v_xor_b32_e32 v44, s25, v4
	v_xor_b32_e32 v4, s24, v4
	v_and_b32_e32 v43, v43, v4
	v_lshlrev_b32_e32 v4, 28, v5
	v_cmp_gt_i64_e64 s[24:25], 0, v[3:4]
	v_not_b32_e32 v4, v4
	v_ashrrev_i32_e32 v4, 31, v4
	v_and_b32_e32 v42, v42, v44
	v_xor_b32_e32 v44, s25, v4
	v_xor_b32_e32 v4, s24, v4
	v_and_b32_e32 v43, v43, v4
	v_lshlrev_b32_e32 v4, 27, v5
	v_cmp_gt_i64_e64 s[24:25], 0, v[3:4]
	v_not_b32_e32 v4, v4
	;; [unrolled: 8-line block ×5, first 2 shown]
	v_ashrrev_i32_e32 v3, 31, v3
	v_xor_b32_e32 v4, s25, v3
	v_xor_b32_e32 v3, s24, v3
	ds_read_b32 v48, v41 offset:16
	v_and_b32_e32 v42, v42, v44
	v_and_b32_e32 v3, v43, v3
	;; [unrolled: 1-line block ×3, first 2 shown]
	v_mbcnt_lo_u32_b32 v5, v3, 0
	v_mbcnt_hi_u32_b32 v49, v4, v5
	v_cmp_ne_u64_e64 s[24:25], 0, v[3:4]
	v_cmp_eq_u32_e64 s[26:27], 0, v49
	s_and_b64 s[26:27], s[24:25], s[26:27]
	; wave barrier
	s_and_saveexec_b64 s[24:25], s[26:27]
	s_cbranch_execz .LBB96_41
; %bb.40:
	v_bcnt_u32_b32 v3, v3, 0
	v_bcnt_u32_b32 v3, v4, v3
	s_waitcnt lgkmcnt(0)
	v_add_u32_e32 v3, v48, v3
	ds_write_b32 v41, v3 offset:16
.LBB96_41:
	s_or_b64 exec, exec, s[24:25]
	v_lshrrev_b32_e32 v3, s68, v18
	v_and_b32_e32 v5, s74, v3
	v_and_b32_e32 v4, 1, v5
	v_mul_lo_u32 v3, v5, 20
	v_add_co_u32_e64 v43, s[24:25], -1, v4
	v_addc_co_u32_e64 v44, s[24:25], 0, -1, s[24:25]
	v_cmp_ne_u32_e64 s[24:25], 0, v4
	v_xor_b32_e32 v4, s25, v44
	v_lshl_add_u32 v42, v6, 2, v3
	v_mov_b32_e32 v3, 0
	v_and_b32_e32 v44, exec_hi, v4
	v_lshlrev_b32_e32 v4, 30, v5
	v_xor_b32_e32 v43, s24, v43
	v_cmp_gt_i64_e64 s[24:25], 0, v[3:4]
	v_not_b32_e32 v4, v4
	v_ashrrev_i32_e32 v4, 31, v4
	v_and_b32_e32 v43, exec_lo, v43
	v_xor_b32_e32 v51, s25, v4
	v_xor_b32_e32 v4, s24, v4
	v_and_b32_e32 v43, v43, v4
	v_lshlrev_b32_e32 v4, 29, v5
	v_cmp_gt_i64_e64 s[24:25], 0, v[3:4]
	v_not_b32_e32 v4, v4
	v_ashrrev_i32_e32 v4, 31, v4
	v_and_b32_e32 v44, v44, v51
	v_xor_b32_e32 v51, s25, v4
	v_xor_b32_e32 v4, s24, v4
	v_and_b32_e32 v43, v43, v4
	v_lshlrev_b32_e32 v4, 28, v5
	v_cmp_gt_i64_e64 s[24:25], 0, v[3:4]
	v_not_b32_e32 v4, v4
	v_ashrrev_i32_e32 v4, 31, v4
	v_and_b32_e32 v44, v44, v51
	v_xor_b32_e32 v51, s25, v4
	v_xor_b32_e32 v4, s24, v4
	v_and_b32_e32 v43, v43, v4
	v_lshlrev_b32_e32 v4, 27, v5
	v_cmp_gt_i64_e64 s[24:25], 0, v[3:4]
	v_not_b32_e32 v4, v4
	v_ashrrev_i32_e32 v4, 31, v4
	v_and_b32_e32 v44, v44, v51
	v_xor_b32_e32 v51, s25, v4
	v_xor_b32_e32 v4, s24, v4
	v_and_b32_e32 v43, v43, v4
	v_lshlrev_b32_e32 v4, 26, v5
	v_cmp_gt_i64_e64 s[24:25], 0, v[3:4]
	v_not_b32_e32 v4, v4
	v_ashrrev_i32_e32 v4, 31, v4
	v_and_b32_e32 v44, v44, v51
	v_xor_b32_e32 v51, s25, v4
	v_xor_b32_e32 v4, s24, v4
	v_and_b32_e32 v43, v43, v4
	v_lshlrev_b32_e32 v4, 25, v5
	v_cmp_gt_i64_e64 s[24:25], 0, v[3:4]
	v_not_b32_e32 v4, v4
	v_ashrrev_i32_e32 v4, 31, v4
	v_and_b32_e32 v44, v44, v51
	v_xor_b32_e32 v51, s25, v4
	v_xor_b32_e32 v4, s24, v4
	v_and_b32_e32 v43, v43, v4
	v_lshlrev_b32_e32 v4, 24, v5
	v_cmp_gt_i64_e64 s[24:25], 0, v[3:4]
	v_not_b32_e32 v4, v4
	v_ashrrev_i32_e32 v4, 31, v4
	v_xor_b32_e32 v5, s25, v4
	v_xor_b32_e32 v4, s24, v4
	; wave barrier
	ds_read_b32 v50, v42 offset:16
	v_and_b32_e32 v44, v44, v51
	v_and_b32_e32 v4, v43, v4
	;; [unrolled: 1-line block ×3, first 2 shown]
	v_mbcnt_lo_u32_b32 v43, v4, 0
	v_mbcnt_hi_u32_b32 v51, v5, v43
	v_cmp_ne_u64_e64 s[24:25], 0, v[4:5]
	v_cmp_eq_u32_e64 s[26:27], 0, v51
	s_and_b64 s[26:27], s[24:25], s[26:27]
	; wave barrier
	s_and_saveexec_b64 s[24:25], s[26:27]
	s_cbranch_execz .LBB96_43
; %bb.42:
	v_bcnt_u32_b32 v4, v4, 0
	v_bcnt_u32_b32 v4, v5, v4
	s_waitcnt lgkmcnt(0)
	v_add_u32_e32 v4, v50, v4
	ds_write_b32 v42, v4 offset:16
.LBB96_43:
	s_or_b64 exec, exec, s[24:25]
	v_lshrrev_b32_e32 v4, s68, v17
	v_and_b32_e32 v5, s74, v4
	v_mul_lo_u32 v4, v5, 20
	v_and_b32_e32 v44, 1, v5
	; wave barrier
	v_lshl_add_u32 v43, v6, 2, v4
	v_add_co_u32_e64 v4, s[24:25], -1, v44
	v_addc_co_u32_e64 v53, s[24:25], 0, -1, s[24:25]
	v_cmp_ne_u32_e64 s[24:25], 0, v44
	v_xor_b32_e32 v4, s24, v4
	v_xor_b32_e32 v44, s25, v53
	v_and_b32_e32 v53, exec_lo, v4
	v_lshlrev_b32_e32 v4, 30, v5
	v_cmp_gt_i64_e64 s[24:25], 0, v[3:4]
	v_not_b32_e32 v4, v4
	v_ashrrev_i32_e32 v4, 31, v4
	v_xor_b32_e32 v54, s25, v4
	v_xor_b32_e32 v4, s24, v4
	v_and_b32_e32 v53, v53, v4
	v_lshlrev_b32_e32 v4, 29, v5
	v_cmp_gt_i64_e64 s[24:25], 0, v[3:4]
	v_not_b32_e32 v4, v4
	v_and_b32_e32 v44, exec_hi, v44
	v_ashrrev_i32_e32 v4, 31, v4
	v_and_b32_e32 v44, v44, v54
	v_xor_b32_e32 v54, s25, v4
	v_xor_b32_e32 v4, s24, v4
	v_and_b32_e32 v53, v53, v4
	v_lshlrev_b32_e32 v4, 28, v5
	v_cmp_gt_i64_e64 s[24:25], 0, v[3:4]
	v_not_b32_e32 v4, v4
	v_ashrrev_i32_e32 v4, 31, v4
	v_and_b32_e32 v44, v44, v54
	v_xor_b32_e32 v54, s25, v4
	v_xor_b32_e32 v4, s24, v4
	v_and_b32_e32 v53, v53, v4
	v_lshlrev_b32_e32 v4, 27, v5
	v_cmp_gt_i64_e64 s[24:25], 0, v[3:4]
	v_not_b32_e32 v4, v4
	v_ashrrev_i32_e32 v4, 31, v4
	v_and_b32_e32 v44, v44, v54
	v_xor_b32_e32 v54, s25, v4
	v_xor_b32_e32 v4, s24, v4
	v_and_b32_e32 v53, v53, v4
	v_lshlrev_b32_e32 v4, 26, v5
	v_cmp_gt_i64_e64 s[24:25], 0, v[3:4]
	v_not_b32_e32 v4, v4
	v_ashrrev_i32_e32 v4, 31, v4
	v_and_b32_e32 v44, v44, v54
	v_xor_b32_e32 v54, s25, v4
	v_xor_b32_e32 v4, s24, v4
	v_and_b32_e32 v53, v53, v4
	v_lshlrev_b32_e32 v4, 25, v5
	v_cmp_gt_i64_e64 s[24:25], 0, v[3:4]
	v_not_b32_e32 v4, v4
	v_ashrrev_i32_e32 v4, 31, v4
	v_and_b32_e32 v44, v44, v54
	v_xor_b32_e32 v54, s25, v4
	v_xor_b32_e32 v4, s24, v4
	v_and_b32_e32 v53, v53, v4
	v_lshlrev_b32_e32 v4, 24, v5
	v_cmp_gt_i64_e64 s[24:25], 0, v[3:4]
	v_not_b32_e32 v3, v4
	v_ashrrev_i32_e32 v3, 31, v3
	v_xor_b32_e32 v4, s25, v3
	v_xor_b32_e32 v3, s24, v3
	ds_read_b32 v52, v43 offset:16
	v_and_b32_e32 v44, v44, v54
	v_and_b32_e32 v3, v53, v3
	;; [unrolled: 1-line block ×3, first 2 shown]
	v_mbcnt_lo_u32_b32 v5, v3, 0
	v_mbcnt_hi_u32_b32 v53, v4, v5
	v_cmp_ne_u64_e64 s[24:25], 0, v[3:4]
	v_cmp_eq_u32_e64 s[26:27], 0, v53
	s_and_b64 s[26:27], s[24:25], s[26:27]
	; wave barrier
	s_and_saveexec_b64 s[24:25], s[26:27]
	s_cbranch_execz .LBB96_45
; %bb.44:
	v_bcnt_u32_b32 v3, v3, 0
	v_bcnt_u32_b32 v3, v4, v3
	s_waitcnt lgkmcnt(0)
	v_add_u32_e32 v3, v52, v3
	ds_write_b32 v43, v3 offset:16
.LBB96_45:
	s_or_b64 exec, exec, s[24:25]
	v_lshrrev_b32_e32 v3, s68, v21
	v_and_b32_e32 v5, s74, v3
	v_and_b32_e32 v4, 1, v5
	v_mul_lo_u32 v3, v5, 20
	v_add_co_u32_e64 v55, s[24:25], -1, v4
	v_addc_co_u32_e64 v56, s[24:25], 0, -1, s[24:25]
	v_cmp_ne_u32_e64 s[24:25], 0, v4
	v_xor_b32_e32 v4, s25, v56
	v_lshl_add_u32 v44, v6, 2, v3
	v_mov_b32_e32 v3, 0
	v_and_b32_e32 v56, exec_hi, v4
	v_lshlrev_b32_e32 v4, 30, v5
	v_xor_b32_e32 v55, s24, v55
	v_cmp_gt_i64_e64 s[24:25], 0, v[3:4]
	v_not_b32_e32 v4, v4
	v_ashrrev_i32_e32 v4, 31, v4
	v_and_b32_e32 v55, exec_lo, v55
	v_xor_b32_e32 v57, s25, v4
	v_xor_b32_e32 v4, s24, v4
	v_and_b32_e32 v55, v55, v4
	v_lshlrev_b32_e32 v4, 29, v5
	v_cmp_gt_i64_e64 s[24:25], 0, v[3:4]
	v_not_b32_e32 v4, v4
	v_ashrrev_i32_e32 v4, 31, v4
	v_and_b32_e32 v56, v56, v57
	v_xor_b32_e32 v57, s25, v4
	v_xor_b32_e32 v4, s24, v4
	v_and_b32_e32 v55, v55, v4
	v_lshlrev_b32_e32 v4, 28, v5
	v_cmp_gt_i64_e64 s[24:25], 0, v[3:4]
	v_not_b32_e32 v4, v4
	v_ashrrev_i32_e32 v4, 31, v4
	v_and_b32_e32 v56, v56, v57
	;; [unrolled: 8-line block ×5, first 2 shown]
	v_xor_b32_e32 v57, s25, v4
	v_xor_b32_e32 v4, s24, v4
	v_and_b32_e32 v55, v55, v4
	v_lshlrev_b32_e32 v4, 24, v5
	v_cmp_gt_i64_e64 s[24:25], 0, v[3:4]
	v_not_b32_e32 v4, v4
	v_ashrrev_i32_e32 v4, 31, v4
	v_xor_b32_e32 v5, s25, v4
	v_xor_b32_e32 v4, s24, v4
	; wave barrier
	ds_read_b32 v54, v44 offset:16
	v_and_b32_e32 v56, v56, v57
	v_and_b32_e32 v4, v55, v4
	;; [unrolled: 1-line block ×3, first 2 shown]
	v_mbcnt_lo_u32_b32 v55, v4, 0
	v_mbcnt_hi_u32_b32 v55, v5, v55
	v_cmp_ne_u64_e64 s[24:25], 0, v[4:5]
	v_cmp_eq_u32_e64 s[26:27], 0, v55
	s_and_b64 s[26:27], s[24:25], s[26:27]
	; wave barrier
	s_and_saveexec_b64 s[24:25], s[26:27]
	s_cbranch_execz .LBB96_47
; %bb.46:
	v_bcnt_u32_b32 v4, v4, 0
	v_bcnt_u32_b32 v4, v5, v4
	s_waitcnt lgkmcnt(0)
	v_add_u32_e32 v4, v54, v4
	ds_write_b32 v44, v4 offset:16
.LBB96_47:
	s_or_b64 exec, exec, s[24:25]
	v_lshrrev_b32_e32 v4, s68, v20
	v_and_b32_e32 v5, s74, v4
	v_mul_lo_u32 v4, v5, 20
	v_and_b32_e32 v58, 1, v5
	; wave barrier
	v_lshl_add_u32 v57, v6, 2, v4
	v_add_co_u32_e64 v4, s[24:25], -1, v58
	v_addc_co_u32_e64 v6, s[24:25], 0, -1, s[24:25]
	v_cmp_ne_u32_e64 s[24:25], 0, v58
	v_xor_b32_e32 v4, s24, v4
	v_and_b32_e32 v58, exec_lo, v4
	v_lshlrev_b32_e32 v4, 30, v5
	v_xor_b32_e32 v6, s25, v6
	v_cmp_gt_i64_e64 s[24:25], 0, v[3:4]
	v_not_b32_e32 v4, v4
	v_ashrrev_i32_e32 v4, 31, v4
	v_xor_b32_e32 v59, s25, v4
	v_xor_b32_e32 v4, s24, v4
	v_and_b32_e32 v58, v58, v4
	v_lshlrev_b32_e32 v4, 29, v5
	v_cmp_gt_i64_e64 s[24:25], 0, v[3:4]
	v_not_b32_e32 v4, v4
	v_and_b32_e32 v6, exec_hi, v6
	v_ashrrev_i32_e32 v4, 31, v4
	v_and_b32_e32 v6, v6, v59
	v_xor_b32_e32 v59, s25, v4
	v_xor_b32_e32 v4, s24, v4
	v_and_b32_e32 v58, v58, v4
	v_lshlrev_b32_e32 v4, 28, v5
	v_cmp_gt_i64_e64 s[24:25], 0, v[3:4]
	v_not_b32_e32 v4, v4
	v_ashrrev_i32_e32 v4, 31, v4
	v_and_b32_e32 v6, v6, v59
	v_xor_b32_e32 v59, s25, v4
	v_xor_b32_e32 v4, s24, v4
	v_and_b32_e32 v58, v58, v4
	v_lshlrev_b32_e32 v4, 27, v5
	v_cmp_gt_i64_e64 s[24:25], 0, v[3:4]
	v_not_b32_e32 v4, v4
	;; [unrolled: 8-line block ×5, first 2 shown]
	v_ashrrev_i32_e32 v3, 31, v3
	v_xor_b32_e32 v4, s25, v3
	v_xor_b32_e32 v3, s24, v3
	ds_read_b32 v56, v57 offset:16
	v_and_b32_e32 v6, v6, v59
	v_and_b32_e32 v3, v58, v3
	;; [unrolled: 1-line block ×3, first 2 shown]
	v_mbcnt_lo_u32_b32 v5, v3, 0
	v_mbcnt_hi_u32_b32 v58, v4, v5
	v_cmp_ne_u64_e64 s[24:25], 0, v[3:4]
	v_cmp_eq_u32_e64 s[26:27], 0, v58
	s_and_b64 s[26:27], s[24:25], s[26:27]
	; wave barrier
	s_and_saveexec_b64 s[24:25], s[26:27]
	s_cbranch_execz .LBB96_49
; %bb.48:
	v_bcnt_u32_b32 v3, v3, 0
	v_bcnt_u32_b32 v3, v4, v3
	s_waitcnt lgkmcnt(0)
	v_add_u32_e32 v3, v56, v3
	ds_write_b32 v57, v3 offset:16
.LBB96_49:
	s_or_b64 exec, exec, s[24:25]
	; wave barrier
	s_waitcnt lgkmcnt(0)
	s_barrier
	ds_read2_b32 v[5:6], v22 offset0:4 offset1:5
	ds_read2_b32 v[3:4], v22 offset0:6 offset1:7
	ds_read_b32 v59, v22 offset:32
	v_min_u32_e32 v19, 0xc0, v19
	v_or_b32_e32 v19, 63, v19
	s_waitcnt lgkmcnt(1)
	v_add3_u32 v60, v6, v5, v3
	s_waitcnt lgkmcnt(0)
	v_add3_u32 v59, v60, v4, v59
	v_and_b32_e32 v60, 15, v10
	v_cmp_ne_u32_e64 s[24:25], 0, v60
	v_mov_b32_dpp v61, v59 row_shr:1 row_mask:0xf bank_mask:0xf
	v_cndmask_b32_e64 v61, 0, v61, s[24:25]
	v_add_u32_e32 v59, v61, v59
	v_cmp_lt_u32_e64 s[24:25], 1, v60
	s_nop 0
	v_mov_b32_dpp v61, v59 row_shr:2 row_mask:0xf bank_mask:0xf
	v_cndmask_b32_e64 v61, 0, v61, s[24:25]
	v_add_u32_e32 v59, v59, v61
	v_cmp_lt_u32_e64 s[24:25], 3, v60
	s_nop 0
	;; [unrolled: 5-line block ×3, first 2 shown]
	v_mov_b32_dpp v61, v59 row_shr:8 row_mask:0xf bank_mask:0xf
	v_cndmask_b32_e64 v60, 0, v61, s[24:25]
	v_add_u32_e32 v59, v59, v60
	v_bfe_i32 v61, v10, 4, 1
	v_cmp_lt_u32_e64 s[24:25], 31, v10
	v_mov_b32_dpp v60, v59 row_bcast:15 row_mask:0xf bank_mask:0xf
	v_and_b32_e32 v60, v61, v60
	v_add_u32_e32 v59, v59, v60
	s_nop 1
	v_mov_b32_dpp v60, v59 row_bcast:31 row_mask:0xf bank_mask:0xf
	v_cndmask_b32_e64 v60, 0, v60, s[24:25]
	v_add_u32_e32 v59, v59, v60
	v_lshrrev_b32_e32 v60, 6, v0
	v_cmp_eq_u32_e64 s[24:25], v0, v19
	s_and_saveexec_b64 s[26:27], s[24:25]
; %bb.50:
	v_lshlrev_b32_e32 v19, 2, v60
	ds_write_b32 v19, v59
; %bb.51:
	s_or_b64 exec, exec, s[26:27]
	v_cmp_gt_u32_e64 s[24:25], 4, v0
	s_waitcnt lgkmcnt(0)
	s_barrier
	s_and_saveexec_b64 s[26:27], s[24:25]
	s_cbranch_execz .LBB96_53
; %bb.52:
	v_lshlrev_b32_e32 v19, 2, v0
	ds_read_b32 v61, v19
	v_and_b32_e32 v62, 3, v10
	v_cmp_ne_u32_e64 s[24:25], 0, v62
	s_waitcnt lgkmcnt(0)
	v_mov_b32_dpp v63, v61 row_shr:1 row_mask:0xf bank_mask:0xf
	v_cndmask_b32_e64 v63, 0, v63, s[24:25]
	v_add_u32_e32 v61, v63, v61
	v_cmp_lt_u32_e64 s[24:25], 1, v62
	s_nop 0
	v_mov_b32_dpp v63, v61 row_shr:2 row_mask:0xf bank_mask:0xf
	v_cndmask_b32_e64 v62, 0, v63, s[24:25]
	v_add_u32_e32 v61, v61, v62
	ds_write_b32 v19, v61
.LBB96_53:
	s_or_b64 exec, exec, s[26:27]
	v_cmp_lt_u32_e64 s[24:25], 63, v0
	v_mov_b32_e32 v19, 0
	s_waitcnt lgkmcnt(0)
	s_barrier
	s_and_saveexec_b64 s[26:27], s[24:25]
; %bb.54:
	v_lshl_add_u32 v19, v60, 2, -4
	ds_read_b32 v19, v19
; %bb.55:
	s_or_b64 exec, exec, s[26:27]
	v_add_u32_e32 v60, -1, v10
	v_and_b32_e32 v61, 64, v10
	v_cmp_lt_i32_e64 s[24:25], v60, v61
	v_cndmask_b32_e64 v60, v60, v10, s[24:25]
	s_waitcnt lgkmcnt(0)
	v_add_u32_e32 v59, v19, v59
	v_lshlrev_b32_e32 v60, 2, v60
	ds_bpermute_b32 v59, v60, v59
	v_cmp_eq_u32_e64 s[24:25], 0, v10
	s_waitcnt lgkmcnt(0)
	v_cndmask_b32_e64 v19, v59, v19, s[24:25]
	v_cmp_ne_u32_e64 s[24:25], 0, v0
	v_cndmask_b32_e64 v19, 0, v19, s[24:25]
	v_add_u32_e32 v5, v19, v5
	v_add_u32_e32 v6, v5, v6
	;; [unrolled: 1-line block ×4, first 2 shown]
	ds_write2_b32 v22, v19, v5 offset0:4 offset1:5
	ds_write2_b32 v22, v6, v3 offset0:6 offset1:7
	ds_write_b32 v22, v4 offset:32
	s_waitcnt lgkmcnt(0)
	s_barrier
	ds_read_b32 v4, v41 offset:16
	ds_read_b32 v5, v42 offset:16
	;; [unrolled: 1-line block ×13, first 2 shown]
	v_add_u32_e32 v22, 1, v0
	s_movk_i32 s24, 0x100
	v_cmp_ne_u32_e64 s[24:25], s24, v22
	v_mov_b32_e32 v3, 0xc00
	s_and_saveexec_b64 s[26:27], s[24:25]
; %bb.56:
	v_mul_u32_u24_e32 v3, 20, v22
	ds_read_b32 v3, v3 offset:16
; %bb.57:
	s_or_b64 exec, exec, s[26:27]
	s_waitcnt lgkmcnt(7)
	v_add_u32_e32 v44, v24, v23
	s_waitcnt lgkmcnt(6)
	v_add3_u32 v43, v27, v25, v26
	s_waitcnt lgkmcnt(3)
	v_add3_u32 v40, v37, v35, v36
	v_add3_u32 v37, v49, v48, v4
	v_lshlrev_b32_e32 v4, 2, v44
	v_add3_u32 v42, v31, v28, v41
	s_waitcnt lgkmcnt(0)
	s_barrier
	ds_write_b32 v4, v8 offset:2048
	v_lshlrev_b32_e32 v4, 2, v43
	v_add3_u32 v41, v34, v32, v33
	ds_write_b32 v4, v7 offset:2048
	v_lshlrev_b32_e32 v4, 2, v42
	ds_write_b32 v4, v12 offset:2048
	v_lshlrev_b32_e32 v4, 2, v41
	v_add3_u32 v39, v45, v38, v39
	ds_write_b32 v4, v11 offset:2048
	v_lshlrev_b32_e32 v4, 2, v40
	v_add3_u32 v38, v47, v46, v59
	ds_write_b32 v4, v14 offset:2048
	v_lshlrev_b32_e32 v4, 2, v39
	ds_write_b32 v4, v13 offset:2048
	v_lshlrev_b32_e32 v4, 2, v38
	v_add3_u32 v36, v51, v50, v5
	ds_write_b32 v4, v16 offset:2048
	v_lshlrev_b32_e32 v4, 2, v37
	v_add3_u32 v35, v53, v52, v6
	;; [unrolled: 3-line block ×4, first 2 shown]
	ds_write_b32 v4, v17 offset:2048
	v_lshlrev_b32_e32 v4, 2, v34
	ds_write_b32 v4, v21 offset:2048
	v_lshlrev_b32_e32 v4, 2, v33
	ds_write_b32 v4, v20 offset:2048
	v_sub_u32_e32 v31, v3, v30
	v_lshl_or_b32 v3, s6, 8, v0
	v_mov_b32_e32 v4, 0
	v_lshlrev_b64 v[5:6], 2, v[3:4]
	v_mov_b32_e32 v11, s73
	v_add_co_u32_e64 v5, s[24:25], s72, v5
	v_addc_co_u32_e64 v6, s[24:25], v11, v6, s[24:25]
	v_or_b32_e32 v3, 2.0, v31
	s_mov_b64 s[26:27], 0
	s_brev_b32 s34, -4
	s_mov_b32 s35, s7
	v_mov_b32_e32 v12, 0
	s_waitcnt lgkmcnt(0)
	s_barrier
	global_store_dword v[5:6], v3, off
                                        ; implicit-def: $sgpr24_sgpr25
	s_branch .LBB96_60
.LBB96_58:                              ;   in Loop: Header=BB96_60 Depth=1
	s_or_b64 exec, exec, s[30:31]
.LBB96_59:                              ;   in Loop: Header=BB96_60 Depth=1
	s_or_b64 exec, exec, s[28:29]
	v_and_b32_e32 v7, 0x3fffffff, v3
	v_add_u32_e32 v12, v7, v12
	v_cmp_gt_i32_e64 s[24:25], -2.0, v3
	s_and_b64 s[28:29], exec, s[24:25]
	s_or_b64 s[26:27], s[28:29], s[26:27]
	s_andn2_b64 exec, exec, s[26:27]
	s_cbranch_execz .LBB96_65
.LBB96_60:                              ; =>This Loop Header: Depth=1
                                        ;     Child Loop BB96_63 Depth 2
	s_or_b64 s[24:25], s[24:25], exec
	s_cmp_eq_u32 s35, 0
	s_cbranch_scc1 .LBB96_64
; %bb.61:                               ;   in Loop: Header=BB96_60 Depth=1
	s_add_i32 s35, s35, -1
	v_lshl_or_b32 v3, s35, 8, v0
	v_lshlrev_b64 v[7:8], 2, v[3:4]
	v_add_co_u32_e64 v7, s[24:25], s72, v7
	v_addc_co_u32_e64 v8, s[24:25], v11, v8, s[24:25]
	global_load_dword v3, v[7:8], off glc
	s_waitcnt vmcnt(0)
	v_cmp_gt_u32_e64 s[24:25], 2.0, v3
	s_and_saveexec_b64 s[28:29], s[24:25]
	s_cbranch_execz .LBB96_59
; %bb.62:                               ;   in Loop: Header=BB96_60 Depth=1
	s_mov_b64 s[30:31], 0
.LBB96_63:                              ;   Parent Loop BB96_60 Depth=1
                                        ; =>  This Inner Loop Header: Depth=2
	global_load_dword v3, v[7:8], off glc
	s_waitcnt vmcnt(0)
	v_cmp_lt_u32_e64 s[24:25], s34, v3
	s_or_b64 s[30:31], s[24:25], s[30:31]
	s_andn2_b64 exec, exec, s[30:31]
	s_cbranch_execnz .LBB96_63
	s_branch .LBB96_58
.LBB96_64:                              ;   in Loop: Header=BB96_60 Depth=1
                                        ; implicit-def: $sgpr35
	s_and_b64 s[28:29], exec, s[24:25]
	s_or_b64 s[26:27], s[28:29], s[26:27]
	s_andn2_b64 exec, exec, s[26:27]
	s_cbranch_execnz .LBB96_60
.LBB96_65:
	s_or_b64 exec, exec, s[26:27]
	v_add_u32_e32 v3, v12, v31
	v_or_b32_e32 v3, 0x80000000, v3
	v_lshlrev_b32_e32 v32, 3, v0
	global_store_dword v[5:6], v3, off
	global_load_dwordx2 v[3:4], v32, s[64:65]
	v_sub_co_u32_e64 v5, s[24:25], v12, v30
	v_subb_co_u32_e64 v6, s[24:25], 0, 0, s[24:25]
	s_waitcnt vmcnt(0)
	v_add_co_u32_e64 v3, s[24:25], v5, v3
	v_addc_co_u32_e64 v4, s[24:25], v6, v4, s[24:25]
	v_cmp_gt_u32_e64 s[24:25], s70, v0
	ds_write_b64 v32, v[3:4]
	s_waitcnt lgkmcnt(0)
	s_barrier
	s_and_saveexec_b64 s[28:29], s[24:25]
	s_cbranch_execz .LBB96_67
; %bb.66:
	v_lshlrev_b32_e32 v5, 2, v0
	v_sub_u32_e32 v3, v32, v5
	ds_read_b32 v6, v3 offset:2048
	v_mov_b32_e32 v7, s59
	s_waitcnt lgkmcnt(0)
	v_lshrrev_b32_e32 v3, s68, v6
	v_and_b32_e32 v3, s74, v3
	v_lshlrev_b32_e32 v3, 3, v3
	ds_read_b64 v[3:4], v3
	v_xor_b32_e32 v6, 0x80000000, v6
	s_waitcnt lgkmcnt(0)
	v_lshlrev_b64 v[3:4], 2, v[3:4]
	v_add_co_u32_e64 v3, s[26:27], s58, v3
	v_addc_co_u32_e64 v4, s[26:27], v7, v4, s[26:27]
	v_add_co_u32_e64 v3, s[26:27], v3, v5
	v_addc_co_u32_e64 v4, s[26:27], 0, v4, s[26:27]
	global_store_dword v[3:4], v6, off
.LBB96_67:
	s_or_b64 exec, exec, s[28:29]
	v_or_b32_e32 v3, 0x100, v0
	v_cmp_gt_u32_e64 s[26:27], s70, v3
	s_and_saveexec_b64 s[30:31], s[26:27]
	s_cbranch_execz .LBB96_69
; %bb.68:
	v_lshlrev_b32_e32 v5, 2, v0
	v_sub_u32_e32 v3, v32, v5
	ds_read_b32 v6, v3 offset:3072
	v_mov_b32_e32 v7, s59
	s_waitcnt lgkmcnt(0)
	v_lshrrev_b32_e32 v3, s68, v6
	v_and_b32_e32 v3, s74, v3
	v_lshlrev_b32_e32 v3, 3, v3
	ds_read_b64 v[3:4], v3
	v_xor_b32_e32 v6, 0x80000000, v6
	s_waitcnt lgkmcnt(0)
	v_lshlrev_b64 v[3:4], 2, v[3:4]
	v_add_co_u32_e64 v3, s[28:29], s58, v3
	v_addc_co_u32_e64 v4, s[28:29], v7, v4, s[28:29]
	v_add_co_u32_e64 v3, s[28:29], v3, v5
	v_addc_co_u32_e64 v4, s[28:29], 0, v4, s[28:29]
	global_store_dword v[3:4], v6, off offset:1024
.LBB96_69:
	s_or_b64 exec, exec, s[30:31]
	v_or_b32_e32 v45, 0x200, v0
	v_cmp_gt_u32_e64 s[28:29], s70, v45
	s_and_saveexec_b64 s[34:35], s[28:29]
	s_cbranch_execz .LBB96_71
; %bb.70:
	v_lshlrev_b32_e32 v5, 2, v0
	v_sub_u32_e32 v3, v32, v5
	ds_read_b32 v6, v3 offset:4096
	v_mov_b32_e32 v7, s59
	s_waitcnt lgkmcnt(0)
	v_lshrrev_b32_e32 v3, s68, v6
	v_and_b32_e32 v3, s74, v3
	v_lshlrev_b32_e32 v3, 3, v3
	ds_read_b64 v[3:4], v3
	v_xor_b32_e32 v6, 0x80000000, v6
	s_waitcnt lgkmcnt(0)
	v_lshlrev_b64 v[3:4], 2, v[3:4]
	v_add_co_u32_e64 v3, s[30:31], s58, v3
	v_addc_co_u32_e64 v4, s[30:31], v7, v4, s[30:31]
	v_add_co_u32_e64 v3, s[30:31], v3, v5
	v_addc_co_u32_e64 v4, s[30:31], 0, v4, s[30:31]
	global_store_dword v[3:4], v6, off offset:2048
.LBB96_71:
	;; [unrolled: 24-line block ×3, first 2 shown]
	s_or_b64 exec, exec, s[36:37]
	v_or_b32_e32 v47, 0x400, v0
	v_cmp_gt_u32_e64 s[34:35], s70, v47
	s_and_saveexec_b64 s[38:39], s[34:35]
	s_cbranch_execz .LBB96_75
; %bb.74:
	v_lshlrev_b32_e32 v3, 2, v0
	v_sub_u32_e32 v3, v32, v3
	ds_read_b32 v5, v3 offset:6144
	v_mov_b32_e32 v6, s59
	v_lshlrev_b32_e32 v7, 2, v47
	s_waitcnt lgkmcnt(0)
	v_lshrrev_b32_e32 v3, s68, v5
	v_and_b32_e32 v3, s74, v3
	v_lshlrev_b32_e32 v3, 3, v3
	ds_read_b64 v[3:4], v3
	v_xor_b32_e32 v5, 0x80000000, v5
	s_waitcnt lgkmcnt(0)
	v_lshlrev_b64 v[3:4], 2, v[3:4]
	v_add_co_u32_e64 v3, s[36:37], s58, v3
	v_addc_co_u32_e64 v4, s[36:37], v6, v4, s[36:37]
	v_add_co_u32_e64 v3, s[36:37], v3, v7
	v_addc_co_u32_e64 v4, s[36:37], 0, v4, s[36:37]
	global_store_dword v[3:4], v5, off
.LBB96_75:
	s_or_b64 exec, exec, s[38:39]
	v_or_b32_e32 v48, 0x500, v0
	v_cmp_gt_u32_e64 s[36:37], s70, v48
	s_and_saveexec_b64 s[40:41], s[36:37]
	s_cbranch_execz .LBB96_77
; %bb.76:
	v_lshlrev_b32_e32 v3, 2, v0
	v_sub_u32_e32 v3, v32, v3
	ds_read_b32 v5, v3 offset:7168
	v_mov_b32_e32 v6, s59
	v_lshlrev_b32_e32 v7, 2, v48
	s_waitcnt lgkmcnt(0)
	v_lshrrev_b32_e32 v3, s68, v5
	v_and_b32_e32 v3, s74, v3
	v_lshlrev_b32_e32 v3, 3, v3
	ds_read_b64 v[3:4], v3
	v_xor_b32_e32 v5, 0x80000000, v5
	s_waitcnt lgkmcnt(0)
	v_lshlrev_b64 v[3:4], 2, v[3:4]
	v_add_co_u32_e64 v3, s[38:39], s58, v3
	v_addc_co_u32_e64 v4, s[38:39], v6, v4, s[38:39]
	v_add_co_u32_e64 v3, s[38:39], v3, v7
	v_addc_co_u32_e64 v4, s[38:39], 0, v4, s[38:39]
	global_store_dword v[3:4], v5, off
.LBB96_77:
	;; [unrolled: 25-line block ×3, first 2 shown]
	s_or_b64 exec, exec, s[42:43]
	v_or_b32_e32 v50, 0x700, v0
	v_cmp_gt_u32_e64 s[40:41], s70, v50
	s_and_saveexec_b64 s[44:45], s[40:41]
	s_cbranch_execz .LBB96_81
; %bb.80:
	v_lshlrev_b32_e32 v3, 2, v0
	ds_read_b32 v5, v3 offset:9216
	v_mov_b32_e32 v6, s59
	v_lshlrev_b32_e32 v7, 2, v50
	s_waitcnt lgkmcnt(0)
	v_lshrrev_b32_e32 v3, s68, v5
	v_and_b32_e32 v3, s74, v3
	v_lshlrev_b32_e32 v3, 3, v3
	ds_read_b64 v[3:4], v3
	v_xor_b32_e32 v5, 0x80000000, v5
	s_waitcnt lgkmcnt(0)
	v_lshlrev_b64 v[3:4], 2, v[3:4]
	v_add_co_u32_e64 v3, s[42:43], s58, v3
	v_addc_co_u32_e64 v4, s[42:43], v6, v4, s[42:43]
	v_add_co_u32_e64 v3, s[42:43], v3, v7
	v_addc_co_u32_e64 v4, s[42:43], 0, v4, s[42:43]
	global_store_dword v[3:4], v5, off
.LBB96_81:
	s_or_b64 exec, exec, s[44:45]
	v_or_b32_e32 v51, 0x800, v0
	v_cmp_gt_u32_e64 s[42:43], s70, v51
	s_and_saveexec_b64 s[46:47], s[42:43]
	s_cbranch_execz .LBB96_83
; %bb.82:
	v_lshlrev_b32_e32 v3, 2, v0
	ds_read_b32 v5, v3 offset:10240
	v_mov_b32_e32 v6, s59
	v_lshlrev_b32_e32 v7, 2, v51
	s_waitcnt lgkmcnt(0)
	v_lshrrev_b32_e32 v3, s68, v5
	v_and_b32_e32 v3, s74, v3
	v_lshlrev_b32_e32 v3, 3, v3
	ds_read_b64 v[3:4], v3
	v_xor_b32_e32 v5, 0x80000000, v5
	s_waitcnt lgkmcnt(0)
	v_lshlrev_b64 v[3:4], 2, v[3:4]
	v_add_co_u32_e64 v3, s[44:45], s58, v3
	v_addc_co_u32_e64 v4, s[44:45], v6, v4, s[44:45]
	v_add_co_u32_e64 v3, s[44:45], v3, v7
	v_addc_co_u32_e64 v4, s[44:45], 0, v4, s[44:45]
	global_store_dword v[3:4], v5, off
.LBB96_83:
	;; [unrolled: 24-line block ×5, first 2 shown]
	s_or_b64 exec, exec, s[70:71]
	s_lshl_b64 s[52:53], s[54:55], 3
	s_add_u32 s52, s60, s52
	s_addc_u32 s53, s61, s53
	v_lshlrev_b32_e32 v3, 3, v10
	v_mov_b32_e32 v4, s53
	v_add_co_u32_e64 v3, s[52:53], s52, v3
	v_addc_co_u32_e64 v4, s[52:53], 0, v4, s[52:53]
	v_lshlrev_b32_e32 v5, 3, v9
	v_add_co_u32_e64 v27, s[52:53], v3, v5
	v_addc_co_u32_e64 v28, s[52:53], 0, v4, s[52:53]
                                        ; implicit-def: $vgpr3_vgpr4
	s_and_saveexec_b64 s[52:53], vcc
	s_xor_b64 s[52:53], exec, s[52:53]
	s_cbranch_execz .LBB96_101
; %bb.90:
	global_load_dwordx2 v[3:4], v[27:28], off
	s_or_b64 exec, exec, s[52:53]
                                        ; implicit-def: $vgpr5_vgpr6
	s_and_saveexec_b64 s[52:53], s[0:1]
	s_cbranch_execnz .LBB96_102
.LBB96_91:
	s_or_b64 exec, exec, s[52:53]
                                        ; implicit-def: $vgpr7_vgpr8
	s_and_saveexec_b64 s[0:1], s[2:3]
	s_cbranch_execz .LBB96_103
.LBB96_92:
	global_load_dwordx2 v[7:8], v[27:28], off offset:1024
	s_or_b64 exec, exec, s[0:1]
                                        ; implicit-def: $vgpr9_vgpr10
	s_and_saveexec_b64 s[0:1], s[50:51]
	s_cbranch_execnz .LBB96_104
.LBB96_93:
	s_or_b64 exec, exec, s[0:1]
                                        ; implicit-def: $vgpr11_vgpr12
	s_and_saveexec_b64 s[0:1], s[8:9]
	s_cbranch_execz .LBB96_105
.LBB96_94:
	global_load_dwordx2 v[11:12], v[27:28], off offset:2048
	s_or_b64 exec, exec, s[0:1]
                                        ; implicit-def: $vgpr13_vgpr14
	s_and_saveexec_b64 s[0:1], s[10:11]
	s_cbranch_execnz .LBB96_106
.LBB96_95:
	s_or_b64 exec, exec, s[0:1]
                                        ; implicit-def: $vgpr15_vgpr16
	s_and_saveexec_b64 s[0:1], s[12:13]
	s_cbranch_execz .LBB96_107
.LBB96_96:
	global_load_dwordx2 v[15:16], v[27:28], off offset:3072
	s_or_b64 exec, exec, s[0:1]
                                        ; implicit-def: $vgpr17_vgpr18
	s_and_saveexec_b64 s[0:1], s[18:19]
	s_cbranch_execnz .LBB96_108
.LBB96_97:
	s_or_b64 exec, exec, s[0:1]
                                        ; implicit-def: $vgpr19_vgpr20
	s_and_saveexec_b64 s[0:1], s[22:23]
	s_cbranch_execz .LBB96_109
.LBB96_98:
	v_add_co_u32_e32 v19, vcc, 0x1000, v27
	v_addc_co_u32_e32 v20, vcc, 0, v28, vcc
	global_load_dwordx2 v[19:20], v[19:20], off
	s_or_b64 exec, exec, s[0:1]
                                        ; implicit-def: $vgpr21_vgpr22
	s_and_saveexec_b64 s[0:1], s[20:21]
	s_cbranch_execnz .LBB96_110
.LBB96_99:
	s_or_b64 exec, exec, s[0:1]
                                        ; implicit-def: $vgpr23_vgpr24
	s_and_saveexec_b64 s[0:1], s[16:17]
	s_cbranch_execz .LBB96_111
.LBB96_100:
	v_add_co_u32_e32 v23, vcc, 0x1000, v27
	v_addc_co_u32_e32 v24, vcc, 0, v28, vcc
	global_load_dwordx2 v[23:24], v[23:24], off offset:1024
	s_or_b64 exec, exec, s[0:1]
                                        ; implicit-def: $vgpr25_vgpr26
	s_and_saveexec_b64 s[0:1], s[14:15]
	s_cbranch_execnz .LBB96_112
	s_branch .LBB96_113
.LBB96_101:
	s_or_b64 exec, exec, s[52:53]
                                        ; implicit-def: $vgpr5_vgpr6
	s_and_saveexec_b64 s[52:53], s[0:1]
	s_cbranch_execz .LBB96_91
.LBB96_102:
	global_load_dwordx2 v[5:6], v[27:28], off offset:512
	s_or_b64 exec, exec, s[52:53]
                                        ; implicit-def: $vgpr7_vgpr8
	s_and_saveexec_b64 s[0:1], s[2:3]
	s_cbranch_execnz .LBB96_92
.LBB96_103:
	s_or_b64 exec, exec, s[0:1]
                                        ; implicit-def: $vgpr9_vgpr10
	s_and_saveexec_b64 s[0:1], s[50:51]
	s_cbranch_execz .LBB96_93
.LBB96_104:
	global_load_dwordx2 v[9:10], v[27:28], off offset:1536
	s_or_b64 exec, exec, s[0:1]
                                        ; implicit-def: $vgpr11_vgpr12
	s_and_saveexec_b64 s[0:1], s[8:9]
	s_cbranch_execnz .LBB96_94
.LBB96_105:
	s_or_b64 exec, exec, s[0:1]
                                        ; implicit-def: $vgpr13_vgpr14
	s_and_saveexec_b64 s[0:1], s[10:11]
	s_cbranch_execz .LBB96_95
.LBB96_106:
	global_load_dwordx2 v[13:14], v[27:28], off offset:2560
	s_or_b64 exec, exec, s[0:1]
                                        ; implicit-def: $vgpr15_vgpr16
	s_and_saveexec_b64 s[0:1], s[12:13]
	s_cbranch_execnz .LBB96_96
.LBB96_107:
	s_or_b64 exec, exec, s[0:1]
                                        ; implicit-def: $vgpr17_vgpr18
	s_and_saveexec_b64 s[0:1], s[18:19]
	s_cbranch_execz .LBB96_97
.LBB96_108:
	global_load_dwordx2 v[17:18], v[27:28], off offset:3584
	s_or_b64 exec, exec, s[0:1]
                                        ; implicit-def: $vgpr19_vgpr20
	s_and_saveexec_b64 s[0:1], s[22:23]
	s_cbranch_execnz .LBB96_98
.LBB96_109:
	s_or_b64 exec, exec, s[0:1]
                                        ; implicit-def: $vgpr21_vgpr22
	s_and_saveexec_b64 s[0:1], s[20:21]
	s_cbranch_execz .LBB96_99
.LBB96_110:
	v_add_co_u32_e32 v21, vcc, 0x1000, v27
	v_addc_co_u32_e32 v22, vcc, 0, v28, vcc
	global_load_dwordx2 v[21:22], v[21:22], off offset:512
	s_or_b64 exec, exec, s[0:1]
                                        ; implicit-def: $vgpr23_vgpr24
	s_and_saveexec_b64 s[0:1], s[16:17]
	s_cbranch_execnz .LBB96_100
.LBB96_111:
	s_or_b64 exec, exec, s[0:1]
                                        ; implicit-def: $vgpr25_vgpr26
	s_and_saveexec_b64 s[0:1], s[14:15]
	s_cbranch_execz .LBB96_113
.LBB96_112:
	v_add_co_u32_e32 v25, vcc, 0x1000, v27
	v_addc_co_u32_e32 v26, vcc, 0, v28, vcc
	global_load_dwordx2 v[25:26], v[25:26], off offset:1536
.LBB96_113:
	s_or_b64 exec, exec, s[0:1]
	v_mov_b32_e32 v62, 0
	v_mov_b32_e32 v64, 0
	s_and_saveexec_b64 s[0:1], s[24:25]
	s_cbranch_execz .LBB96_115
; %bb.114:
	v_lshlrev_b32_e32 v27, 2, v0
	ds_read_b32 v27, v27 offset:2048
	s_waitcnt lgkmcnt(0)
	v_lshrrev_b32_e32 v27, s68, v27
	v_and_b32_e32 v64, s74, v27
.LBB96_115:
	s_or_b64 exec, exec, s[0:1]
	s_and_saveexec_b64 s[0:1], s[26:27]
	s_cbranch_execz .LBB96_117
; %bb.116:
	v_lshlrev_b32_e32 v27, 2, v0
	ds_read_b32 v27, v27 offset:3072
	s_waitcnt lgkmcnt(0)
	v_lshrrev_b32_e32 v27, s68, v27
	v_and_b32_e32 v62, s74, v27
.LBB96_117:
	s_or_b64 exec, exec, s[0:1]
	v_mov_b32_e32 v60, 0
	v_mov_b32_e32 v63, 0
	s_and_saveexec_b64 s[0:1], s[28:29]
	s_cbranch_execz .LBB96_119
; %bb.118:
	v_lshlrev_b32_e32 v27, 2, v0
	ds_read_b32 v27, v27 offset:4096
	s_waitcnt lgkmcnt(0)
	v_lshrrev_b32_e32 v27, s68, v27
	v_and_b32_e32 v63, s74, v27
.LBB96_119:
	s_or_b64 exec, exec, s[0:1]
	s_and_saveexec_b64 s[0:1], s[30:31]
	s_cbranch_execz .LBB96_121
; %bb.120:
	v_lshlrev_b32_e32 v27, 2, v0
	ds_read_b32 v27, v27 offset:5120
	s_waitcnt lgkmcnt(0)
	v_lshrrev_b32_e32 v27, s68, v27
	v_and_b32_e32 v60, s74, v27
.LBB96_121:
	s_or_b64 exec, exec, s[0:1]
	v_mov_b32_e32 v58, 0
	v_mov_b32_e32 v61, 0
	s_and_saveexec_b64 s[0:1], s[34:35]
	s_cbranch_execz .LBB96_123
; %bb.122:
	v_lshlrev_b32_e32 v27, 2, v0
	ds_read_b32 v27, v27 offset:6144
	s_waitcnt lgkmcnt(0)
	v_lshrrev_b32_e32 v27, s68, v27
	v_and_b32_e32 v61, s74, v27
.LBB96_123:
	s_or_b64 exec, exec, s[0:1]
	s_and_saveexec_b64 s[0:1], s[36:37]
	s_cbranch_execz .LBB96_125
; %bb.124:
	v_lshlrev_b32_e32 v27, 2, v0
	ds_read_b32 v27, v27 offset:7168
	s_waitcnt lgkmcnt(0)
	v_lshrrev_b32_e32 v27, s68, v27
	v_and_b32_e32 v58, s74, v27
.LBB96_125:
	s_or_b64 exec, exec, s[0:1]
	v_mov_b32_e32 v56, 0
	v_mov_b32_e32 v59, 0
	s_and_saveexec_b64 s[0:1], s[38:39]
	s_cbranch_execz .LBB96_127
; %bb.126:
	v_lshlrev_b32_e32 v27, 2, v0
	ds_read_b32 v27, v27 offset:8192
	s_waitcnt lgkmcnt(0)
	v_lshrrev_b32_e32 v27, s68, v27
	v_and_b32_e32 v59, s74, v27
.LBB96_127:
	s_or_b64 exec, exec, s[0:1]
	s_and_saveexec_b64 s[0:1], s[40:41]
	s_cbranch_execz .LBB96_129
; %bb.128:
	v_lshlrev_b32_e32 v27, 2, v0
	ds_read_b32 v27, v27 offset:9216
	s_waitcnt lgkmcnt(0)
	v_lshrrev_b32_e32 v27, s68, v27
	v_and_b32_e32 v56, s74, v27
.LBB96_129:
	s_or_b64 exec, exec, s[0:1]
	v_mov_b32_e32 v28, 0
	v_mov_b32_e32 v57, 0
	s_and_saveexec_b64 s[0:1], s[42:43]
	s_cbranch_execz .LBB96_131
; %bb.130:
	v_lshlrev_b32_e32 v27, 2, v0
	ds_read_b32 v27, v27 offset:10240
	s_waitcnt lgkmcnt(0)
	v_lshrrev_b32_e32 v27, s68, v27
	v_and_b32_e32 v57, s74, v27
.LBB96_131:
	s_or_b64 exec, exec, s[0:1]
	s_and_saveexec_b64 s[0:1], s[44:45]
	s_cbranch_execz .LBB96_133
; %bb.132:
	v_lshlrev_b32_e32 v27, 2, v0
	ds_read_b32 v27, v27 offset:11264
	s_waitcnt lgkmcnt(0)
	v_lshrrev_b32_e32 v27, s68, v27
	v_and_b32_e32 v28, s74, v27
.LBB96_133:
	s_or_b64 exec, exec, s[0:1]
	v_mov_b32_e32 v27, 0
	v_mov_b32_e32 v55, 0
	s_and_saveexec_b64 s[0:1], s[46:47]
	s_cbranch_execz .LBB96_135
; %bb.134:
	v_lshlrev_b32_e32 v55, 2, v0
	ds_read_b32 v55, v55 offset:12288
	s_waitcnt lgkmcnt(0)
	v_lshrrev_b32_e32 v55, s68, v55
	v_and_b32_e32 v55, s74, v55
.LBB96_135:
	s_or_b64 exec, exec, s[0:1]
	s_and_saveexec_b64 s[0:1], s[48:49]
	s_cbranch_execz .LBB96_137
; %bb.136:
	v_lshlrev_b32_e32 v27, 2, v0
	ds_read_b32 v27, v27 offset:13312
	s_waitcnt lgkmcnt(0)
	v_lshrrev_b32_e32 v27, s68, v27
	v_and_b32_e32 v27, s74, v27
.LBB96_137:
	s_or_b64 exec, exec, s[0:1]
	v_lshlrev_b32_e32 v44, 3, v44
	s_waitcnt vmcnt(0)
	s_barrier
	ds_write_b64 v44, v[3:4] offset:2048
	v_lshlrev_b32_e32 v3, 3, v43
	ds_write_b64 v3, v[5:6] offset:2048
	v_lshlrev_b32_e32 v3, 3, v42
	;; [unrolled: 2-line block ×11, first 2 shown]
	ds_write_b64 v3, v[25:26] offset:2048
	s_waitcnt lgkmcnt(0)
	s_barrier
	s_and_saveexec_b64 s[0:1], s[24:25]
	s_cbranch_execz .LBB96_196
; %bb.138:
	v_lshlrev_b32_e32 v3, 3, v64
	ds_read_b64 v[3:4], v3
	ds_read_b64 v[5:6], v32 offset:2048
	v_mov_b32_e32 v7, s63
	s_waitcnt lgkmcnt(1)
	v_lshlrev_b64 v[3:4], 3, v[3:4]
	v_add_co_u32_e32 v3, vcc, s62, v3
	v_addc_co_u32_e32 v4, vcc, v7, v4, vcc
	v_add_co_u32_e32 v3, vcc, v3, v32
	v_addc_co_u32_e32 v4, vcc, 0, v4, vcc
	s_waitcnt lgkmcnt(0)
	global_store_dwordx2 v[3:4], v[5:6], off
	s_or_b64 exec, exec, s[0:1]
	s_and_saveexec_b64 s[0:1], s[26:27]
	s_cbranch_execnz .LBB96_197
.LBB96_139:
	s_or_b64 exec, exec, s[0:1]
	s_and_saveexec_b64 s[0:1], s[28:29]
	s_cbranch_execz .LBB96_198
.LBB96_140:
	v_lshlrev_b32_e32 v3, 3, v63
	ds_read_b64 v[3:4], v3
	ds_read_b64 v[5:6], v32 offset:6144
	v_mov_b32_e32 v7, s63
	s_waitcnt lgkmcnt(1)
	v_lshlrev_b64 v[3:4], 3, v[3:4]
	v_add_co_u32_e32 v3, vcc, s62, v3
	v_addc_co_u32_e32 v4, vcc, v7, v4, vcc
	v_lshlrev_b32_e32 v7, 3, v45
	v_add_co_u32_e32 v3, vcc, v3, v7
	v_addc_co_u32_e32 v4, vcc, 0, v4, vcc
	s_waitcnt lgkmcnt(0)
	global_store_dwordx2 v[3:4], v[5:6], off
	s_or_b64 exec, exec, s[0:1]
	s_and_saveexec_b64 s[0:1], s[30:31]
	s_cbranch_execnz .LBB96_199
.LBB96_141:
	s_or_b64 exec, exec, s[0:1]
	s_and_saveexec_b64 s[0:1], s[34:35]
	s_cbranch_execz .LBB96_200
.LBB96_142:
	v_lshlrev_b32_e32 v3, 3, v61
	ds_read_b64 v[3:4], v3
	ds_read_b64 v[5:6], v32 offset:10240
	v_mov_b32_e32 v7, s63
	s_waitcnt lgkmcnt(1)
	v_lshlrev_b64 v[3:4], 3, v[3:4]
	v_add_co_u32_e32 v3, vcc, s62, v3
	v_addc_co_u32_e32 v4, vcc, v7, v4, vcc
	v_lshlrev_b32_e32 v7, 3, v47
	v_add_co_u32_e32 v3, vcc, v3, v7
	v_addc_co_u32_e32 v4, vcc, 0, v4, vcc
	s_waitcnt lgkmcnt(0)
	global_store_dwordx2 v[3:4], v[5:6], off
	s_or_b64 exec, exec, s[0:1]
	s_and_saveexec_b64 s[0:1], s[36:37]
	s_cbranch_execnz .LBB96_201
.LBB96_143:
	s_or_b64 exec, exec, s[0:1]
	s_and_saveexec_b64 s[0:1], s[38:39]
	s_cbranch_execz .LBB96_202
.LBB96_144:
	v_lshlrev_b32_e32 v3, 3, v59
	ds_read_b64 v[3:4], v3
	ds_read_b64 v[5:6], v32 offset:14336
	v_mov_b32_e32 v7, s63
	s_waitcnt lgkmcnt(1)
	v_lshlrev_b64 v[3:4], 3, v[3:4]
	v_add_co_u32_e32 v3, vcc, s62, v3
	v_addc_co_u32_e32 v4, vcc, v7, v4, vcc
	v_lshlrev_b32_e32 v7, 3, v49
	v_add_co_u32_e32 v3, vcc, v3, v7
	v_addc_co_u32_e32 v4, vcc, 0, v4, vcc
	s_waitcnt lgkmcnt(0)
	global_store_dwordx2 v[3:4], v[5:6], off
	s_or_b64 exec, exec, s[0:1]
	s_and_saveexec_b64 s[0:1], s[40:41]
	s_cbranch_execnz .LBB96_203
.LBB96_145:
	s_or_b64 exec, exec, s[0:1]
	s_and_saveexec_b64 s[0:1], s[42:43]
	s_cbranch_execz .LBB96_204
.LBB96_146:
	v_lshlrev_b32_e32 v3, 3, v57
	ds_read_b64 v[3:4], v3
	ds_read_b64 v[5:6], v32 offset:18432
	v_mov_b32_e32 v7, s63
	s_waitcnt lgkmcnt(1)
	v_lshlrev_b64 v[3:4], 3, v[3:4]
	v_add_co_u32_e32 v3, vcc, s62, v3
	v_addc_co_u32_e32 v4, vcc, v7, v4, vcc
	v_lshlrev_b32_e32 v7, 3, v51
	v_add_co_u32_e32 v3, vcc, v3, v7
	v_addc_co_u32_e32 v4, vcc, 0, v4, vcc
	s_waitcnt lgkmcnt(0)
	global_store_dwordx2 v[3:4], v[5:6], off
	s_or_b64 exec, exec, s[0:1]
	s_and_saveexec_b64 s[0:1], s[44:45]
	s_cbranch_execnz .LBB96_205
.LBB96_147:
	s_or_b64 exec, exec, s[0:1]
	s_and_saveexec_b64 s[0:1], s[46:47]
	s_cbranch_execz .LBB96_206
.LBB96_148:
	v_lshlrev_b32_e32 v3, 3, v55
	ds_read_b64 v[3:4], v3
	ds_read_b64 v[5:6], v32 offset:22528
	v_mov_b32_e32 v7, s63
	s_waitcnt lgkmcnt(1)
	v_lshlrev_b64 v[3:4], 3, v[3:4]
	v_add_co_u32_e32 v3, vcc, s62, v3
	v_addc_co_u32_e32 v4, vcc, v7, v4, vcc
	v_lshlrev_b32_e32 v7, 3, v53
	v_add_co_u32_e32 v3, vcc, v3, v7
	v_addc_co_u32_e32 v4, vcc, 0, v4, vcc
	s_waitcnt lgkmcnt(0)
	global_store_dwordx2 v[3:4], v[5:6], off
	s_or_b64 exec, exec, s[0:1]
	s_and_saveexec_b64 s[0:1], s[48:49]
	s_cbranch_execnz .LBB96_207
.LBB96_149:
	s_or_b64 exec, exec, s[0:1]
	s_add_i32 s33, s33, -1
	s_cmp_eq_u32 s6, s33
	s_cbranch_scc0 .LBB96_151
.LBB96_150:
	ds_read_b64 v[3:4], v32
	v_add_co_u32_e32 v5, vcc, v31, v30
	v_addc_co_u32_e64 v6, s[0:1], 0, 0, vcc
	s_waitcnt lgkmcnt(0)
	v_add_co_u32_e32 v3, vcc, v5, v3
	v_addc_co_u32_e32 v4, vcc, v6, v4, vcc
	global_store_dwordx2 v32, v[3:4], s[66:67]
.LBB96_151:
	s_mov_b64 s[0:1], 0
.LBB96_152:
	s_and_b64 vcc, exec, s[0:1]
	s_cbranch_vccz .LBB96_195
; %bb.153:
	s_mov_b32 s55, 0
	s_lshl_b64 s[0:1], s[54:55], 2
	v_mbcnt_hi_u32_b32 v8, -1, v29
	s_add_u32 s0, s56, s0
	v_lshlrev_b32_e32 v4, 2, v8
	v_add_co_u32_e32 v4, vcc, s0, v4
	s_load_dword s8, s[4:5], 0x50
	s_load_dword s0, s[4:5], 0x5c
	s_addc_u32 s1, s57, s1
	v_and_b32_e32 v9, 0xc0, v0
	v_mul_u32_u24_e32 v7, 12, v9
	v_mov_b32_e32 v5, s1
	v_addc_co_u32_e32 v5, vcc, 0, v5, vcc
	v_lshlrev_b32_e32 v6, 2, v7
	v_add_co_u32_e32 v4, vcc, v4, v6
	s_add_u32 s1, s4, 0x50
	v_addc_co_u32_e32 v5, vcc, 0, v5, vcc
	s_addc_u32 s2, s5, 0
	s_waitcnt lgkmcnt(0)
	s_lshr_b32 s3, s0, 16
	global_load_dword v10, v[4:5], off
	s_cmp_lt_u32 s6, s8
	s_cselect_b32 s0, 12, 18
	s_add_u32 s0, s1, s0
	v_mov_b32_e32 v3, 0
	s_addc_u32 s1, s2, 0
	global_load_ushort v12, v3, s[0:1]
	v_mul_u32_u24_e32 v6, 20, v0
	ds_write2_b32 v6, v3, v3 offset0:4 offset1:5
	ds_write2_b32 v6, v3, v3 offset0:6 offset1:7
	ds_write_b32 v6, v3 offset:32
	global_load_dword v11, v[4:5], off offset:256
	global_load_dword v15, v[4:5], off offset:512
	;; [unrolled: 1-line block ×11, first 2 shown]
	s_lshl_b32 s0, -1, s69
	v_mad_u32_u24 v1, v2, s3, v1
	s_not_b32 s9, s0
	s_waitcnt vmcnt(0) lgkmcnt(0)
	s_barrier
	; wave barrier
	v_xor_b32_e32 v5, 0x80000000, v10
	v_lshrrev_b32_e32 v2, s68, v5
	v_and_b32_e32 v13, s9, v2
	v_and_b32_e32 v10, 1, v13
	v_lshlrev_b32_e32 v4, 30, v13
	v_mad_u64_u32 v[1:2], s[0:1], v1, v12, v[0:1]
	v_add_co_u32_e32 v12, vcc, -1, v10
	v_addc_co_u32_e64 v14, s[0:1], 0, -1, vcc
	v_mul_lo_u32 v2, v13, 20
	v_cmp_ne_u32_e32 vcc, 0, v10
	v_cmp_gt_i64_e64 s[0:1], 0, v[3:4]
	v_not_b32_e32 v10, v4
	v_lshlrev_b32_e32 v4, 29, v13
	v_xor_b32_e32 v14, vcc_hi, v14
	v_xor_b32_e32 v12, vcc_lo, v12
	v_ashrrev_i32_e32 v10, 31, v10
	v_cmp_gt_i64_e32 vcc, 0, v[3:4]
	v_not_b32_e32 v16, v4
	v_lshlrev_b32_e32 v4, 28, v13
	v_and_b32_e32 v14, exec_hi, v14
	v_and_b32_e32 v12, exec_lo, v12
	v_xor_b32_e32 v18, s1, v10
	v_xor_b32_e32 v10, s0, v10
	v_ashrrev_i32_e32 v16, 31, v16
	v_cmp_gt_i64_e64 s[0:1], 0, v[3:4]
	v_not_b32_e32 v19, v4
	v_lshlrev_b32_e32 v4, 27, v13
	v_lshrrev_b32_e32 v20, 6, v1
	v_and_b32_e32 v1, v14, v18
	v_and_b32_e32 v12, v12, v10
	v_xor_b32_e32 v14, vcc_hi, v16
	v_xor_b32_e32 v16, vcc_lo, v16
	v_ashrrev_i32_e32 v18, 31, v19
	v_cmp_gt_i64_e32 vcc, 0, v[3:4]
	v_not_b32_e32 v4, v4
	v_lshl_add_u32 v10, v20, 2, v2
	v_and_b32_e32 v1, v1, v14
	v_and_b32_e32 v2, v12, v16
	v_xor_b32_e32 v12, s1, v18
	v_xor_b32_e32 v14, s0, v18
	v_ashrrev_i32_e32 v4, 31, v4
	v_and_b32_e32 v1, v1, v12
	v_and_b32_e32 v2, v2, v14
	v_xor_b32_e32 v12, vcc_hi, v4
	v_xor_b32_e32 v4, vcc_lo, v4
	v_and_b32_e32 v2, v2, v4
	v_lshlrev_b32_e32 v4, 26, v13
	v_cmp_gt_i64_e32 vcc, 0, v[3:4]
	v_not_b32_e32 v4, v4
	v_ashrrev_i32_e32 v4, 31, v4
	v_and_b32_e32 v1, v1, v12
	v_xor_b32_e32 v12, vcc_hi, v4
	v_xor_b32_e32 v4, vcc_lo, v4
	v_and_b32_e32 v2, v2, v4
	v_lshlrev_b32_e32 v4, 25, v13
	v_cmp_gt_i64_e32 vcc, 0, v[3:4]
	v_not_b32_e32 v4, v4
	v_ashrrev_i32_e32 v4, 31, v4
	v_and_b32_e32 v1, v1, v12
	v_xor_b32_e32 v12, vcc_hi, v4
	v_xor_b32_e32 v4, vcc_lo, v4
	v_and_b32_e32 v1, v1, v12
	v_and_b32_e32 v12, v2, v4
	v_lshlrev_b32_e32 v4, 24, v13
	v_cmp_gt_i64_e32 vcc, 0, v[3:4]
	v_not_b32_e32 v2, v4
	v_ashrrev_i32_e32 v2, 31, v2
	v_xor_b32_e32 v4, vcc_hi, v2
	v_xor_b32_e32 v13, vcc_lo, v2
	v_and_b32_e32 v2, v1, v4
	v_and_b32_e32 v1, v12, v13
	v_mbcnt_lo_u32_b32 v4, v1, 0
	v_mbcnt_hi_u32_b32 v12, v2, v4
	v_cmp_ne_u64_e32 vcc, 0, v[1:2]
	v_cmp_eq_u32_e64 s[0:1], 0, v12
	s_and_b64 s[2:3], vcc, s[0:1]
	s_and_saveexec_b64 s[0:1], s[2:3]
; %bb.154:
	v_bcnt_u32_b32 v1, v1, 0
	v_bcnt_u32_b32 v1, v2, v1
	ds_write_b32 v10, v1 offset:16
; %bb.155:
	s_or_b64 exec, exec, s[0:1]
	v_xor_b32_e32 v11, 0x80000000, v11
	v_lshrrev_b32_e32 v1, s68, v11
	v_and_b32_e32 v1, s9, v1
	v_mul_lo_u32 v2, v1, 20
	v_and_b32_e32 v4, 1, v1
	; wave barrier
	v_lshl_add_u32 v14, v20, 2, v2
	v_add_co_u32_e32 v2, vcc, -1, v4
	v_addc_co_u32_e64 v16, s[0:1], 0, -1, vcc
	v_cmp_ne_u32_e32 vcc, 0, v4
	v_xor_b32_e32 v4, vcc_hi, v16
	v_and_b32_e32 v16, exec_hi, v4
	v_lshlrev_b32_e32 v4, 30, v1
	v_xor_b32_e32 v2, vcc_lo, v2
	v_cmp_gt_i64_e32 vcc, 0, v[3:4]
	v_not_b32_e32 v4, v4
	v_ashrrev_i32_e32 v4, 31, v4
	v_and_b32_e32 v2, exec_lo, v2
	v_xor_b32_e32 v18, vcc_hi, v4
	v_xor_b32_e32 v4, vcc_lo, v4
	v_and_b32_e32 v2, v2, v4
	v_lshlrev_b32_e32 v4, 29, v1
	v_cmp_gt_i64_e32 vcc, 0, v[3:4]
	v_not_b32_e32 v4, v4
	v_ashrrev_i32_e32 v4, 31, v4
	v_and_b32_e32 v16, v16, v18
	v_xor_b32_e32 v18, vcc_hi, v4
	v_xor_b32_e32 v4, vcc_lo, v4
	v_and_b32_e32 v2, v2, v4
	v_lshlrev_b32_e32 v4, 28, v1
	v_cmp_gt_i64_e32 vcc, 0, v[3:4]
	v_not_b32_e32 v4, v4
	v_ashrrev_i32_e32 v4, 31, v4
	v_and_b32_e32 v16, v16, v18
	;; [unrolled: 8-line block ×5, first 2 shown]
	v_xor_b32_e32 v18, vcc_hi, v4
	v_xor_b32_e32 v4, vcc_lo, v4
	v_and_b32_e32 v16, v16, v18
	v_and_b32_e32 v18, v2, v4
	v_lshlrev_b32_e32 v4, 24, v1
	v_cmp_gt_i64_e32 vcc, 0, v[3:4]
	v_not_b32_e32 v1, v4
	v_ashrrev_i32_e32 v1, 31, v1
	v_xor_b32_e32 v2, vcc_hi, v1
	v_xor_b32_e32 v1, vcc_lo, v1
	ds_read_b32 v13, v14 offset:16
	v_and_b32_e32 v1, v18, v1
	v_and_b32_e32 v2, v16, v2
	v_mbcnt_lo_u32_b32 v3, v1, 0
	v_mbcnt_hi_u32_b32 v16, v2, v3
	v_cmp_ne_u64_e32 vcc, 0, v[1:2]
	v_cmp_eq_u32_e64 s[0:1], 0, v16
	s_and_b64 s[2:3], vcc, s[0:1]
	; wave barrier
	s_and_saveexec_b64 s[0:1], s[2:3]
	s_cbranch_execz .LBB96_157
; %bb.156:
	v_bcnt_u32_b32 v1, v1, 0
	v_bcnt_u32_b32 v1, v2, v1
	s_waitcnt lgkmcnt(0)
	v_add_u32_e32 v1, v13, v1
	ds_write_b32 v14, v1 offset:16
.LBB96_157:
	s_or_b64 exec, exec, s[0:1]
	v_xor_b32_e32 v15, 0x80000000, v15
	v_lshrrev_b32_e32 v1, s68, v15
	v_and_b32_e32 v3, s9, v1
	v_mul_lo_u32 v1, v3, 20
	v_and_b32_e32 v2, 1, v3
	v_add_co_u32_e32 v4, vcc, -1, v2
	v_addc_co_u32_e64 v22, s[0:1], 0, -1, vcc
	v_cmp_ne_u32_e32 vcc, 0, v2
	v_xor_b32_e32 v2, vcc_hi, v22
	v_lshl_add_u32 v19, v20, 2, v1
	v_mov_b32_e32 v1, 0
	v_and_b32_e32 v22, exec_hi, v2
	v_lshlrev_b32_e32 v2, 30, v3
	v_xor_b32_e32 v4, vcc_lo, v4
	v_cmp_gt_i64_e32 vcc, 0, v[1:2]
	v_not_b32_e32 v2, v2
	v_ashrrev_i32_e32 v2, 31, v2
	v_and_b32_e32 v4, exec_lo, v4
	v_xor_b32_e32 v24, vcc_hi, v2
	v_xor_b32_e32 v2, vcc_lo, v2
	v_and_b32_e32 v4, v4, v2
	v_lshlrev_b32_e32 v2, 29, v3
	v_cmp_gt_i64_e32 vcc, 0, v[1:2]
	v_not_b32_e32 v2, v2
	v_ashrrev_i32_e32 v2, 31, v2
	v_and_b32_e32 v22, v22, v24
	v_xor_b32_e32 v24, vcc_hi, v2
	v_xor_b32_e32 v2, vcc_lo, v2
	v_and_b32_e32 v4, v4, v2
	v_lshlrev_b32_e32 v2, 28, v3
	v_cmp_gt_i64_e32 vcc, 0, v[1:2]
	v_not_b32_e32 v2, v2
	v_ashrrev_i32_e32 v2, 31, v2
	v_and_b32_e32 v22, v22, v24
	;; [unrolled: 8-line block ×5, first 2 shown]
	v_xor_b32_e32 v24, vcc_hi, v2
	v_xor_b32_e32 v2, vcc_lo, v2
	v_and_b32_e32 v4, v4, v2
	v_lshlrev_b32_e32 v2, 24, v3
	v_cmp_gt_i64_e32 vcc, 0, v[1:2]
	v_not_b32_e32 v2, v2
	v_ashrrev_i32_e32 v2, 31, v2
	v_xor_b32_e32 v3, vcc_hi, v2
	v_xor_b32_e32 v2, vcc_lo, v2
	; wave barrier
	ds_read_b32 v18, v19 offset:16
	v_and_b32_e32 v22, v22, v24
	v_and_b32_e32 v2, v4, v2
	;; [unrolled: 1-line block ×3, first 2 shown]
	v_mbcnt_lo_u32_b32 v4, v2, 0
	v_mbcnt_hi_u32_b32 v22, v3, v4
	v_cmp_ne_u64_e32 vcc, 0, v[2:3]
	v_cmp_eq_u32_e64 s[0:1], 0, v22
	s_and_b64 s[2:3], vcc, s[0:1]
	; wave barrier
	s_and_saveexec_b64 s[0:1], s[2:3]
	s_cbranch_execz .LBB96_159
; %bb.158:
	v_bcnt_u32_b32 v2, v2, 0
	v_bcnt_u32_b32 v2, v3, v2
	s_waitcnt lgkmcnt(0)
	v_add_u32_e32 v2, v18, v2
	ds_write_b32 v19, v2 offset:16
.LBB96_159:
	s_or_b64 exec, exec, s[0:1]
	v_xor_b32_e32 v21, 0x80000000, v21
	v_lshrrev_b32_e32 v2, s68, v21
	v_and_b32_e32 v3, s9, v2
	v_mul_lo_u32 v2, v3, 20
	v_and_b32_e32 v4, 1, v3
	; wave barrier
	v_lshl_add_u32 v25, v20, 2, v2
	v_add_co_u32_e32 v2, vcc, -1, v4
	v_addc_co_u32_e64 v27, s[0:1], 0, -1, vcc
	v_cmp_ne_u32_e32 vcc, 0, v4
	v_xor_b32_e32 v2, vcc_lo, v2
	v_xor_b32_e32 v4, vcc_hi, v27
	v_and_b32_e32 v27, exec_lo, v2
	v_lshlrev_b32_e32 v2, 30, v3
	v_cmp_gt_i64_e32 vcc, 0, v[1:2]
	v_not_b32_e32 v2, v2
	v_ashrrev_i32_e32 v2, 31, v2
	v_xor_b32_e32 v29, vcc_hi, v2
	v_xor_b32_e32 v2, vcc_lo, v2
	v_and_b32_e32 v27, v27, v2
	v_lshlrev_b32_e32 v2, 29, v3
	v_cmp_gt_i64_e32 vcc, 0, v[1:2]
	v_not_b32_e32 v2, v2
	v_and_b32_e32 v4, exec_hi, v4
	v_ashrrev_i32_e32 v2, 31, v2
	v_and_b32_e32 v4, v4, v29
	v_xor_b32_e32 v29, vcc_hi, v2
	v_xor_b32_e32 v2, vcc_lo, v2
	v_and_b32_e32 v27, v27, v2
	v_lshlrev_b32_e32 v2, 28, v3
	v_cmp_gt_i64_e32 vcc, 0, v[1:2]
	v_not_b32_e32 v2, v2
	v_ashrrev_i32_e32 v2, 31, v2
	v_and_b32_e32 v4, v4, v29
	v_xor_b32_e32 v29, vcc_hi, v2
	v_xor_b32_e32 v2, vcc_lo, v2
	v_and_b32_e32 v27, v27, v2
	v_lshlrev_b32_e32 v2, 27, v3
	v_cmp_gt_i64_e32 vcc, 0, v[1:2]
	v_not_b32_e32 v2, v2
	;; [unrolled: 8-line block ×5, first 2 shown]
	v_ashrrev_i32_e32 v1, 31, v1
	v_xor_b32_e32 v2, vcc_hi, v1
	v_xor_b32_e32 v1, vcc_lo, v1
	ds_read_b32 v24, v25 offset:16
	v_and_b32_e32 v4, v4, v29
	v_and_b32_e32 v1, v27, v1
	;; [unrolled: 1-line block ×3, first 2 shown]
	v_mbcnt_lo_u32_b32 v3, v1, 0
	v_mbcnt_hi_u32_b32 v27, v2, v3
	v_cmp_ne_u64_e32 vcc, 0, v[1:2]
	v_cmp_eq_u32_e64 s[0:1], 0, v27
	s_and_b64 s[2:3], vcc, s[0:1]
	; wave barrier
	s_and_saveexec_b64 s[0:1], s[2:3]
	s_cbranch_execz .LBB96_161
; %bb.160:
	v_bcnt_u32_b32 v1, v1, 0
	v_bcnt_u32_b32 v1, v2, v1
	s_waitcnt lgkmcnt(0)
	v_add_u32_e32 v1, v24, v1
	ds_write_b32 v25, v1 offset:16
.LBB96_161:
	s_or_b64 exec, exec, s[0:1]
	v_xor_b32_e32 v26, 0x80000000, v26
	v_lshrrev_b32_e32 v1, s68, v26
	v_and_b32_e32 v3, s9, v1
	v_mul_lo_u32 v1, v3, 20
	v_and_b32_e32 v2, 1, v3
	v_add_co_u32_e32 v4, vcc, -1, v2
	v_addc_co_u32_e64 v32, s[0:1], 0, -1, vcc
	v_cmp_ne_u32_e32 vcc, 0, v2
	v_xor_b32_e32 v2, vcc_hi, v32
	v_lshl_add_u32 v30, v20, 2, v1
	v_mov_b32_e32 v1, 0
	v_and_b32_e32 v32, exec_hi, v2
	v_lshlrev_b32_e32 v2, 30, v3
	v_xor_b32_e32 v4, vcc_lo, v4
	v_cmp_gt_i64_e32 vcc, 0, v[1:2]
	v_not_b32_e32 v2, v2
	v_ashrrev_i32_e32 v2, 31, v2
	v_and_b32_e32 v4, exec_lo, v4
	v_xor_b32_e32 v34, vcc_hi, v2
	v_xor_b32_e32 v2, vcc_lo, v2
	v_and_b32_e32 v4, v4, v2
	v_lshlrev_b32_e32 v2, 29, v3
	v_cmp_gt_i64_e32 vcc, 0, v[1:2]
	v_not_b32_e32 v2, v2
	v_ashrrev_i32_e32 v2, 31, v2
	v_and_b32_e32 v32, v32, v34
	v_xor_b32_e32 v34, vcc_hi, v2
	v_xor_b32_e32 v2, vcc_lo, v2
	v_and_b32_e32 v4, v4, v2
	v_lshlrev_b32_e32 v2, 28, v3
	v_cmp_gt_i64_e32 vcc, 0, v[1:2]
	v_not_b32_e32 v2, v2
	v_ashrrev_i32_e32 v2, 31, v2
	v_and_b32_e32 v32, v32, v34
	;; [unrolled: 8-line block ×5, first 2 shown]
	v_xor_b32_e32 v34, vcc_hi, v2
	v_xor_b32_e32 v2, vcc_lo, v2
	v_and_b32_e32 v4, v4, v2
	v_lshlrev_b32_e32 v2, 24, v3
	v_cmp_gt_i64_e32 vcc, 0, v[1:2]
	v_not_b32_e32 v2, v2
	v_ashrrev_i32_e32 v2, 31, v2
	v_xor_b32_e32 v3, vcc_hi, v2
	v_xor_b32_e32 v2, vcc_lo, v2
	; wave barrier
	ds_read_b32 v29, v30 offset:16
	v_and_b32_e32 v32, v32, v34
	v_and_b32_e32 v2, v4, v2
	;; [unrolled: 1-line block ×3, first 2 shown]
	v_mbcnt_lo_u32_b32 v4, v2, 0
	v_mbcnt_hi_u32_b32 v32, v3, v4
	v_cmp_ne_u64_e32 vcc, 0, v[2:3]
	v_cmp_eq_u32_e64 s[0:1], 0, v32
	s_and_b64 s[2:3], vcc, s[0:1]
	; wave barrier
	s_and_saveexec_b64 s[0:1], s[2:3]
	s_cbranch_execz .LBB96_163
; %bb.162:
	v_bcnt_u32_b32 v2, v2, 0
	v_bcnt_u32_b32 v2, v3, v2
	s_waitcnt lgkmcnt(0)
	v_add_u32_e32 v2, v29, v2
	ds_write_b32 v30, v2 offset:16
.LBB96_163:
	s_or_b64 exec, exec, s[0:1]
	v_xor_b32_e32 v31, 0x80000000, v31
	v_lshrrev_b32_e32 v2, s68, v31
	v_and_b32_e32 v3, s9, v2
	v_mul_lo_u32 v2, v3, 20
	v_and_b32_e32 v4, 1, v3
	; wave barrier
	v_lshl_add_u32 v35, v20, 2, v2
	v_add_co_u32_e32 v2, vcc, -1, v4
	v_addc_co_u32_e64 v37, s[0:1], 0, -1, vcc
	v_cmp_ne_u32_e32 vcc, 0, v4
	v_xor_b32_e32 v2, vcc_lo, v2
	v_xor_b32_e32 v4, vcc_hi, v37
	v_and_b32_e32 v37, exec_lo, v2
	v_lshlrev_b32_e32 v2, 30, v3
	v_cmp_gt_i64_e32 vcc, 0, v[1:2]
	v_not_b32_e32 v2, v2
	v_ashrrev_i32_e32 v2, 31, v2
	v_xor_b32_e32 v39, vcc_hi, v2
	v_xor_b32_e32 v2, vcc_lo, v2
	v_and_b32_e32 v37, v37, v2
	v_lshlrev_b32_e32 v2, 29, v3
	v_cmp_gt_i64_e32 vcc, 0, v[1:2]
	v_not_b32_e32 v2, v2
	v_and_b32_e32 v4, exec_hi, v4
	v_ashrrev_i32_e32 v2, 31, v2
	v_and_b32_e32 v4, v4, v39
	v_xor_b32_e32 v39, vcc_hi, v2
	v_xor_b32_e32 v2, vcc_lo, v2
	v_and_b32_e32 v37, v37, v2
	v_lshlrev_b32_e32 v2, 28, v3
	v_cmp_gt_i64_e32 vcc, 0, v[1:2]
	v_not_b32_e32 v2, v2
	v_ashrrev_i32_e32 v2, 31, v2
	v_and_b32_e32 v4, v4, v39
	v_xor_b32_e32 v39, vcc_hi, v2
	v_xor_b32_e32 v2, vcc_lo, v2
	v_and_b32_e32 v37, v37, v2
	v_lshlrev_b32_e32 v2, 27, v3
	v_cmp_gt_i64_e32 vcc, 0, v[1:2]
	v_not_b32_e32 v2, v2
	;; [unrolled: 8-line block ×5, first 2 shown]
	v_ashrrev_i32_e32 v1, 31, v1
	v_xor_b32_e32 v2, vcc_hi, v1
	v_xor_b32_e32 v1, vcc_lo, v1
	ds_read_b32 v34, v35 offset:16
	v_and_b32_e32 v4, v4, v39
	v_and_b32_e32 v1, v37, v1
	v_and_b32_e32 v2, v4, v2
	v_mbcnt_lo_u32_b32 v3, v1, 0
	v_mbcnt_hi_u32_b32 v37, v2, v3
	v_cmp_ne_u64_e32 vcc, 0, v[1:2]
	v_cmp_eq_u32_e64 s[0:1], 0, v37
	s_and_b64 s[2:3], vcc, s[0:1]
	; wave barrier
	s_and_saveexec_b64 s[0:1], s[2:3]
	s_cbranch_execz .LBB96_165
; %bb.164:
	v_bcnt_u32_b32 v1, v1, 0
	v_bcnt_u32_b32 v1, v2, v1
	s_waitcnt lgkmcnt(0)
	v_add_u32_e32 v1, v34, v1
	ds_write_b32 v35, v1 offset:16
.LBB96_165:
	s_or_b64 exec, exec, s[0:1]
	v_xor_b32_e32 v36, 0x80000000, v36
	v_lshrrev_b32_e32 v1, s68, v36
	v_and_b32_e32 v3, s9, v1
	v_mul_lo_u32 v1, v3, 20
	v_and_b32_e32 v2, 1, v3
	v_add_co_u32_e32 v4, vcc, -1, v2
	v_addc_co_u32_e64 v41, s[0:1], 0, -1, vcc
	v_cmp_ne_u32_e32 vcc, 0, v2
	v_xor_b32_e32 v2, vcc_hi, v41
	v_lshl_add_u32 v40, v20, 2, v1
	v_mov_b32_e32 v1, 0
	v_and_b32_e32 v41, exec_hi, v2
	v_lshlrev_b32_e32 v2, 30, v3
	v_xor_b32_e32 v4, vcc_lo, v4
	v_cmp_gt_i64_e32 vcc, 0, v[1:2]
	v_not_b32_e32 v2, v2
	v_ashrrev_i32_e32 v2, 31, v2
	v_and_b32_e32 v4, exec_lo, v4
	v_xor_b32_e32 v42, vcc_hi, v2
	v_xor_b32_e32 v2, vcc_lo, v2
	v_and_b32_e32 v4, v4, v2
	v_lshlrev_b32_e32 v2, 29, v3
	v_cmp_gt_i64_e32 vcc, 0, v[1:2]
	v_not_b32_e32 v2, v2
	v_ashrrev_i32_e32 v2, 31, v2
	v_and_b32_e32 v41, v41, v42
	v_xor_b32_e32 v42, vcc_hi, v2
	v_xor_b32_e32 v2, vcc_lo, v2
	v_and_b32_e32 v4, v4, v2
	v_lshlrev_b32_e32 v2, 28, v3
	v_cmp_gt_i64_e32 vcc, 0, v[1:2]
	v_not_b32_e32 v2, v2
	v_ashrrev_i32_e32 v2, 31, v2
	v_and_b32_e32 v41, v41, v42
	;; [unrolled: 8-line block ×5, first 2 shown]
	v_xor_b32_e32 v42, vcc_hi, v2
	v_xor_b32_e32 v2, vcc_lo, v2
	v_and_b32_e32 v4, v4, v2
	v_lshlrev_b32_e32 v2, 24, v3
	v_cmp_gt_i64_e32 vcc, 0, v[1:2]
	v_not_b32_e32 v2, v2
	v_ashrrev_i32_e32 v2, 31, v2
	v_xor_b32_e32 v3, vcc_hi, v2
	v_xor_b32_e32 v2, vcc_lo, v2
	; wave barrier
	ds_read_b32 v39, v40 offset:16
	v_and_b32_e32 v41, v41, v42
	v_and_b32_e32 v2, v4, v2
	;; [unrolled: 1-line block ×3, first 2 shown]
	v_mbcnt_lo_u32_b32 v4, v2, 0
	v_mbcnt_hi_u32_b32 v41, v3, v4
	v_cmp_ne_u64_e32 vcc, 0, v[2:3]
	v_cmp_eq_u32_e64 s[0:1], 0, v41
	s_and_b64 s[2:3], vcc, s[0:1]
	; wave barrier
	s_and_saveexec_b64 s[0:1], s[2:3]
	s_cbranch_execz .LBB96_167
; %bb.166:
	v_bcnt_u32_b32 v2, v2, 0
	v_bcnt_u32_b32 v2, v3, v2
	s_waitcnt lgkmcnt(0)
	v_add_u32_e32 v2, v39, v2
	ds_write_b32 v40, v2 offset:16
.LBB96_167:
	s_or_b64 exec, exec, s[0:1]
	v_xor_b32_e32 v38, 0x80000000, v38
	v_lshrrev_b32_e32 v2, s68, v38
	v_and_b32_e32 v3, s9, v2
	v_mul_lo_u32 v2, v3, 20
	v_and_b32_e32 v4, 1, v3
	; wave barrier
	v_lshl_add_u32 v43, v20, 2, v2
	v_add_co_u32_e32 v2, vcc, -1, v4
	v_addc_co_u32_e64 v44, s[0:1], 0, -1, vcc
	v_cmp_ne_u32_e32 vcc, 0, v4
	v_xor_b32_e32 v2, vcc_lo, v2
	v_xor_b32_e32 v4, vcc_hi, v44
	v_and_b32_e32 v44, exec_lo, v2
	v_lshlrev_b32_e32 v2, 30, v3
	v_cmp_gt_i64_e32 vcc, 0, v[1:2]
	v_not_b32_e32 v2, v2
	v_ashrrev_i32_e32 v2, 31, v2
	v_xor_b32_e32 v45, vcc_hi, v2
	v_xor_b32_e32 v2, vcc_lo, v2
	v_and_b32_e32 v44, v44, v2
	v_lshlrev_b32_e32 v2, 29, v3
	v_cmp_gt_i64_e32 vcc, 0, v[1:2]
	v_not_b32_e32 v2, v2
	v_and_b32_e32 v4, exec_hi, v4
	v_ashrrev_i32_e32 v2, 31, v2
	v_and_b32_e32 v4, v4, v45
	v_xor_b32_e32 v45, vcc_hi, v2
	v_xor_b32_e32 v2, vcc_lo, v2
	v_and_b32_e32 v44, v44, v2
	v_lshlrev_b32_e32 v2, 28, v3
	v_cmp_gt_i64_e32 vcc, 0, v[1:2]
	v_not_b32_e32 v2, v2
	v_ashrrev_i32_e32 v2, 31, v2
	v_and_b32_e32 v4, v4, v45
	v_xor_b32_e32 v45, vcc_hi, v2
	v_xor_b32_e32 v2, vcc_lo, v2
	v_and_b32_e32 v44, v44, v2
	v_lshlrev_b32_e32 v2, 27, v3
	v_cmp_gt_i64_e32 vcc, 0, v[1:2]
	v_not_b32_e32 v2, v2
	v_ashrrev_i32_e32 v2, 31, v2
	v_and_b32_e32 v4, v4, v45
	v_xor_b32_e32 v45, vcc_hi, v2
	v_xor_b32_e32 v2, vcc_lo, v2
	v_and_b32_e32 v44, v44, v2
	v_lshlrev_b32_e32 v2, 26, v3
	v_cmp_gt_i64_e32 vcc, 0, v[1:2]
	v_not_b32_e32 v2, v2
	v_ashrrev_i32_e32 v2, 31, v2
	v_and_b32_e32 v4, v4, v45
	v_xor_b32_e32 v45, vcc_hi, v2
	v_xor_b32_e32 v2, vcc_lo, v2
	v_and_b32_e32 v44, v44, v2
	v_lshlrev_b32_e32 v2, 25, v3
	v_cmp_gt_i64_e32 vcc, 0, v[1:2]
	v_not_b32_e32 v2, v2
	v_ashrrev_i32_e32 v2, 31, v2
	v_and_b32_e32 v4, v4, v45
	v_xor_b32_e32 v45, vcc_hi, v2
	v_xor_b32_e32 v2, vcc_lo, v2
	v_and_b32_e32 v44, v44, v2
	v_lshlrev_b32_e32 v2, 24, v3
	v_cmp_gt_i64_e32 vcc, 0, v[1:2]
	v_not_b32_e32 v1, v2
	v_ashrrev_i32_e32 v1, 31, v1
	v_xor_b32_e32 v2, vcc_hi, v1
	v_xor_b32_e32 v1, vcc_lo, v1
	ds_read_b32 v42, v43 offset:16
	v_and_b32_e32 v4, v4, v45
	v_and_b32_e32 v1, v44, v1
	;; [unrolled: 1-line block ×3, first 2 shown]
	v_mbcnt_lo_u32_b32 v3, v1, 0
	v_mbcnt_hi_u32_b32 v44, v2, v3
	v_cmp_ne_u64_e32 vcc, 0, v[1:2]
	v_cmp_eq_u32_e64 s[0:1], 0, v44
	s_and_b64 s[2:3], vcc, s[0:1]
	; wave barrier
	s_and_saveexec_b64 s[0:1], s[2:3]
	s_cbranch_execz .LBB96_169
; %bb.168:
	v_bcnt_u32_b32 v1, v1, 0
	v_bcnt_u32_b32 v1, v2, v1
	s_waitcnt lgkmcnt(0)
	v_add_u32_e32 v1, v42, v1
	ds_write_b32 v43, v1 offset:16
.LBB96_169:
	s_or_b64 exec, exec, s[0:1]
	v_xor_b32_e32 v33, 0x80000000, v33
	v_lshrrev_b32_e32 v1, s68, v33
	v_and_b32_e32 v3, s9, v1
	v_mul_lo_u32 v1, v3, 20
	v_and_b32_e32 v2, 1, v3
	v_add_co_u32_e32 v4, vcc, -1, v2
	v_addc_co_u32_e64 v47, s[0:1], 0, -1, vcc
	v_cmp_ne_u32_e32 vcc, 0, v2
	v_xor_b32_e32 v2, vcc_hi, v47
	v_lshl_add_u32 v46, v20, 2, v1
	v_mov_b32_e32 v1, 0
	v_and_b32_e32 v47, exec_hi, v2
	v_lshlrev_b32_e32 v2, 30, v3
	v_xor_b32_e32 v4, vcc_lo, v4
	v_cmp_gt_i64_e32 vcc, 0, v[1:2]
	v_not_b32_e32 v2, v2
	v_ashrrev_i32_e32 v2, 31, v2
	v_and_b32_e32 v4, exec_lo, v4
	v_xor_b32_e32 v48, vcc_hi, v2
	v_xor_b32_e32 v2, vcc_lo, v2
	v_and_b32_e32 v4, v4, v2
	v_lshlrev_b32_e32 v2, 29, v3
	v_cmp_gt_i64_e32 vcc, 0, v[1:2]
	v_not_b32_e32 v2, v2
	v_ashrrev_i32_e32 v2, 31, v2
	v_and_b32_e32 v47, v47, v48
	v_xor_b32_e32 v48, vcc_hi, v2
	v_xor_b32_e32 v2, vcc_lo, v2
	v_and_b32_e32 v4, v4, v2
	v_lshlrev_b32_e32 v2, 28, v3
	v_cmp_gt_i64_e32 vcc, 0, v[1:2]
	v_not_b32_e32 v2, v2
	v_ashrrev_i32_e32 v2, 31, v2
	v_and_b32_e32 v47, v47, v48
	;; [unrolled: 8-line block ×5, first 2 shown]
	v_xor_b32_e32 v48, vcc_hi, v2
	v_xor_b32_e32 v2, vcc_lo, v2
	v_and_b32_e32 v4, v4, v2
	v_lshlrev_b32_e32 v2, 24, v3
	v_cmp_gt_i64_e32 vcc, 0, v[1:2]
	v_not_b32_e32 v2, v2
	v_ashrrev_i32_e32 v2, 31, v2
	v_xor_b32_e32 v3, vcc_hi, v2
	v_xor_b32_e32 v2, vcc_lo, v2
	; wave barrier
	ds_read_b32 v45, v46 offset:16
	v_and_b32_e32 v47, v47, v48
	v_and_b32_e32 v2, v4, v2
	;; [unrolled: 1-line block ×3, first 2 shown]
	v_mbcnt_lo_u32_b32 v4, v2, 0
	v_mbcnt_hi_u32_b32 v47, v3, v4
	v_cmp_ne_u64_e32 vcc, 0, v[2:3]
	v_cmp_eq_u32_e64 s[0:1], 0, v47
	s_and_b64 s[2:3], vcc, s[0:1]
	; wave barrier
	s_and_saveexec_b64 s[0:1], s[2:3]
	s_cbranch_execz .LBB96_171
; %bb.170:
	v_bcnt_u32_b32 v2, v2, 0
	v_bcnt_u32_b32 v2, v3, v2
	s_waitcnt lgkmcnt(0)
	v_add_u32_e32 v2, v45, v2
	ds_write_b32 v46, v2 offset:16
.LBB96_171:
	s_or_b64 exec, exec, s[0:1]
	v_xor_b32_e32 v28, 0x80000000, v28
	v_lshrrev_b32_e32 v2, s68, v28
	v_and_b32_e32 v3, s9, v2
	v_mul_lo_u32 v2, v3, 20
	v_and_b32_e32 v4, 1, v3
	; wave barrier
	v_lshl_add_u32 v49, v20, 2, v2
	v_add_co_u32_e32 v2, vcc, -1, v4
	v_addc_co_u32_e64 v50, s[0:1], 0, -1, vcc
	v_cmp_ne_u32_e32 vcc, 0, v4
	v_xor_b32_e32 v2, vcc_lo, v2
	v_xor_b32_e32 v4, vcc_hi, v50
	v_and_b32_e32 v50, exec_lo, v2
	v_lshlrev_b32_e32 v2, 30, v3
	v_cmp_gt_i64_e32 vcc, 0, v[1:2]
	v_not_b32_e32 v2, v2
	v_ashrrev_i32_e32 v2, 31, v2
	v_xor_b32_e32 v51, vcc_hi, v2
	v_xor_b32_e32 v2, vcc_lo, v2
	v_and_b32_e32 v50, v50, v2
	v_lshlrev_b32_e32 v2, 29, v3
	v_cmp_gt_i64_e32 vcc, 0, v[1:2]
	v_not_b32_e32 v2, v2
	v_and_b32_e32 v4, exec_hi, v4
	v_ashrrev_i32_e32 v2, 31, v2
	v_and_b32_e32 v4, v4, v51
	v_xor_b32_e32 v51, vcc_hi, v2
	v_xor_b32_e32 v2, vcc_lo, v2
	v_and_b32_e32 v50, v50, v2
	v_lshlrev_b32_e32 v2, 28, v3
	v_cmp_gt_i64_e32 vcc, 0, v[1:2]
	v_not_b32_e32 v2, v2
	v_ashrrev_i32_e32 v2, 31, v2
	v_and_b32_e32 v4, v4, v51
	v_xor_b32_e32 v51, vcc_hi, v2
	v_xor_b32_e32 v2, vcc_lo, v2
	v_and_b32_e32 v50, v50, v2
	v_lshlrev_b32_e32 v2, 27, v3
	v_cmp_gt_i64_e32 vcc, 0, v[1:2]
	v_not_b32_e32 v2, v2
	;; [unrolled: 8-line block ×5, first 2 shown]
	v_ashrrev_i32_e32 v1, 31, v1
	v_xor_b32_e32 v2, vcc_hi, v1
	v_xor_b32_e32 v1, vcc_lo, v1
	ds_read_b32 v48, v49 offset:16
	v_and_b32_e32 v4, v4, v51
	v_and_b32_e32 v1, v50, v1
	;; [unrolled: 1-line block ×3, first 2 shown]
	v_mbcnt_lo_u32_b32 v3, v1, 0
	v_mbcnt_hi_u32_b32 v52, v2, v3
	v_cmp_ne_u64_e32 vcc, 0, v[1:2]
	v_cmp_eq_u32_e64 s[0:1], 0, v52
	s_and_b64 s[2:3], vcc, s[0:1]
	; wave barrier
	s_and_saveexec_b64 s[0:1], s[2:3]
	s_cbranch_execz .LBB96_173
; %bb.172:
	v_bcnt_u32_b32 v1, v1, 0
	v_bcnt_u32_b32 v1, v2, v1
	s_waitcnt lgkmcnt(0)
	v_add_u32_e32 v1, v48, v1
	ds_write_b32 v49, v1 offset:16
.LBB96_173:
	s_or_b64 exec, exec, s[0:1]
	v_xor_b32_e32 v51, 0x80000000, v23
	v_lshrrev_b32_e32 v1, s68, v51
	v_and_b32_e32 v3, s9, v1
	v_mul_lo_u32 v1, v3, 20
	v_and_b32_e32 v2, 1, v3
	v_add_co_u32_e32 v4, vcc, -1, v2
	v_addc_co_u32_e64 v50, s[0:1], 0, -1, vcc
	v_cmp_ne_u32_e32 vcc, 0, v2
	v_xor_b32_e32 v2, vcc_hi, v50
	v_lshl_add_u32 v23, v20, 2, v1
	v_mov_b32_e32 v1, 0
	v_and_b32_e32 v50, exec_hi, v2
	v_lshlrev_b32_e32 v2, 30, v3
	v_xor_b32_e32 v4, vcc_lo, v4
	v_cmp_gt_i64_e32 vcc, 0, v[1:2]
	v_not_b32_e32 v2, v2
	v_ashrrev_i32_e32 v2, 31, v2
	v_and_b32_e32 v4, exec_lo, v4
	v_xor_b32_e32 v54, vcc_hi, v2
	v_xor_b32_e32 v2, vcc_lo, v2
	v_and_b32_e32 v4, v4, v2
	v_lshlrev_b32_e32 v2, 29, v3
	v_cmp_gt_i64_e32 vcc, 0, v[1:2]
	v_not_b32_e32 v2, v2
	v_ashrrev_i32_e32 v2, 31, v2
	v_and_b32_e32 v50, v50, v54
	v_xor_b32_e32 v54, vcc_hi, v2
	v_xor_b32_e32 v2, vcc_lo, v2
	v_and_b32_e32 v4, v4, v2
	v_lshlrev_b32_e32 v2, 28, v3
	v_cmp_gt_i64_e32 vcc, 0, v[1:2]
	v_not_b32_e32 v2, v2
	v_ashrrev_i32_e32 v2, 31, v2
	v_and_b32_e32 v50, v50, v54
	;; [unrolled: 8-line block ×5, first 2 shown]
	v_xor_b32_e32 v54, vcc_hi, v2
	v_xor_b32_e32 v2, vcc_lo, v2
	v_and_b32_e32 v4, v4, v2
	v_lshlrev_b32_e32 v2, 24, v3
	v_cmp_gt_i64_e32 vcc, 0, v[1:2]
	v_not_b32_e32 v2, v2
	v_ashrrev_i32_e32 v2, 31, v2
	v_xor_b32_e32 v3, vcc_hi, v2
	v_xor_b32_e32 v2, vcc_lo, v2
	; wave barrier
	ds_read_b32 v53, v23 offset:16
	v_and_b32_e32 v50, v50, v54
	v_and_b32_e32 v2, v4, v2
	;; [unrolled: 1-line block ×3, first 2 shown]
	v_mbcnt_lo_u32_b32 v4, v2, 0
	v_mbcnt_hi_u32_b32 v55, v3, v4
	v_cmp_ne_u64_e32 vcc, 0, v[2:3]
	v_cmp_eq_u32_e64 s[0:1], 0, v55
	s_and_b64 s[2:3], vcc, s[0:1]
	; wave barrier
	s_and_saveexec_b64 s[0:1], s[2:3]
	s_cbranch_execz .LBB96_175
; %bb.174:
	v_bcnt_u32_b32 v2, v2, 0
	v_bcnt_u32_b32 v2, v3, v2
	s_waitcnt lgkmcnt(0)
	v_add_u32_e32 v2, v53, v2
	ds_write_b32 v23, v2 offset:16
.LBB96_175:
	s_or_b64 exec, exec, s[0:1]
	v_xor_b32_e32 v54, 0x80000000, v17
	v_lshrrev_b32_e32 v2, s68, v54
	v_and_b32_e32 v3, s9, v2
	v_mul_lo_u32 v2, v3, 20
	v_and_b32_e32 v4, 1, v3
	; wave barrier
	v_lshl_add_u32 v17, v20, 2, v2
	v_add_co_u32_e32 v2, vcc, -1, v4
	v_addc_co_u32_e64 v20, s[0:1], 0, -1, vcc
	v_cmp_ne_u32_e32 vcc, 0, v4
	v_xor_b32_e32 v2, vcc_lo, v2
	v_xor_b32_e32 v4, vcc_hi, v20
	v_and_b32_e32 v20, exec_lo, v2
	v_lshlrev_b32_e32 v2, 30, v3
	v_cmp_gt_i64_e32 vcc, 0, v[1:2]
	v_not_b32_e32 v2, v2
	v_ashrrev_i32_e32 v2, 31, v2
	v_xor_b32_e32 v50, vcc_hi, v2
	v_xor_b32_e32 v2, vcc_lo, v2
	v_and_b32_e32 v20, v20, v2
	v_lshlrev_b32_e32 v2, 29, v3
	v_cmp_gt_i64_e32 vcc, 0, v[1:2]
	v_not_b32_e32 v2, v2
	v_and_b32_e32 v4, exec_hi, v4
	v_ashrrev_i32_e32 v2, 31, v2
	v_and_b32_e32 v4, v4, v50
	v_xor_b32_e32 v50, vcc_hi, v2
	v_xor_b32_e32 v2, vcc_lo, v2
	v_and_b32_e32 v20, v20, v2
	v_lshlrev_b32_e32 v2, 28, v3
	v_cmp_gt_i64_e32 vcc, 0, v[1:2]
	v_not_b32_e32 v2, v2
	v_ashrrev_i32_e32 v2, 31, v2
	v_and_b32_e32 v4, v4, v50
	v_xor_b32_e32 v50, vcc_hi, v2
	v_xor_b32_e32 v2, vcc_lo, v2
	v_and_b32_e32 v20, v20, v2
	v_lshlrev_b32_e32 v2, 27, v3
	v_cmp_gt_i64_e32 vcc, 0, v[1:2]
	v_not_b32_e32 v2, v2
	;; [unrolled: 8-line block ×5, first 2 shown]
	v_ashrrev_i32_e32 v1, 31, v1
	v_xor_b32_e32 v2, vcc_hi, v1
	v_xor_b32_e32 v1, vcc_lo, v1
	ds_read_b32 v56, v17 offset:16
	v_and_b32_e32 v4, v4, v50
	v_and_b32_e32 v1, v20, v1
	;; [unrolled: 1-line block ×3, first 2 shown]
	v_mbcnt_lo_u32_b32 v3, v1, 0
	v_mbcnt_hi_u32_b32 v57, v2, v3
	v_cmp_ne_u64_e32 vcc, 0, v[1:2]
	v_cmp_eq_u32_e64 s[0:1], 0, v57
	s_and_b64 s[2:3], vcc, s[0:1]
	; wave barrier
	s_and_saveexec_b64 s[0:1], s[2:3]
	s_cbranch_execz .LBB96_177
; %bb.176:
	v_bcnt_u32_b32 v1, v1, 0
	v_bcnt_u32_b32 v1, v2, v1
	s_waitcnt lgkmcnt(0)
	v_add_u32_e32 v1, v56, v1
	ds_write_b32 v17, v1 offset:16
.LBB96_177:
	s_or_b64 exec, exec, s[0:1]
	; wave barrier
	s_waitcnt lgkmcnt(0)
	s_barrier
	ds_read2_b32 v[3:4], v6 offset0:4 offset1:5
	ds_read2_b32 v[1:2], v6 offset0:6 offset1:7
	ds_read_b32 v20, v6 offset:32
	v_min_u32_e32 v9, 0xc0, v9
	v_or_b32_e32 v9, 63, v9
	s_waitcnt lgkmcnt(1)
	v_add3_u32 v50, v4, v3, v1
	s_waitcnt lgkmcnt(0)
	v_add3_u32 v20, v50, v2, v20
	v_and_b32_e32 v50, 15, v8
	v_cmp_ne_u32_e32 vcc, 0, v50
	v_mov_b32_dpp v58, v20 row_shr:1 row_mask:0xf bank_mask:0xf
	v_cndmask_b32_e32 v58, 0, v58, vcc
	v_add_u32_e32 v20, v58, v20
	v_cmp_lt_u32_e32 vcc, 1, v50
	s_nop 0
	v_mov_b32_dpp v58, v20 row_shr:2 row_mask:0xf bank_mask:0xf
	v_cndmask_b32_e32 v58, 0, v58, vcc
	v_add_u32_e32 v20, v20, v58
	v_cmp_lt_u32_e32 vcc, 3, v50
	s_nop 0
	v_mov_b32_dpp v58, v20 row_shr:4 row_mask:0xf bank_mask:0xf
	v_cndmask_b32_e32 v58, 0, v58, vcc
	v_add_u32_e32 v20, v20, v58
	v_cmp_lt_u32_e32 vcc, 7, v50
	s_nop 0
	v_mov_b32_dpp v58, v20 row_shr:8 row_mask:0xf bank_mask:0xf
	v_cndmask_b32_e32 v50, 0, v58, vcc
	v_add_u32_e32 v20, v20, v50
	v_bfe_i32 v58, v8, 4, 1
	v_cmp_lt_u32_e32 vcc, 31, v8
	v_mov_b32_dpp v50, v20 row_bcast:15 row_mask:0xf bank_mask:0xf
	v_and_b32_e32 v50, v58, v50
	v_add_u32_e32 v20, v20, v50
	v_lshrrev_b32_e32 v58, 6, v0
	s_nop 0
	v_mov_b32_dpp v50, v20 row_bcast:31 row_mask:0xf bank_mask:0xf
	v_cndmask_b32_e32 v50, 0, v50, vcc
	v_add_u32_e32 v20, v20, v50
	v_cmp_eq_u32_e32 vcc, v0, v9
	s_and_saveexec_b64 s[0:1], vcc
; %bb.178:
	v_lshlrev_b32_e32 v9, 2, v58
	ds_write_b32 v9, v20
; %bb.179:
	s_or_b64 exec, exec, s[0:1]
	v_cmp_gt_u32_e32 vcc, 4, v0
	v_lshlrev_b32_e32 v50, 2, v0
	s_waitcnt lgkmcnt(0)
	s_barrier
	s_and_saveexec_b64 s[0:1], vcc
	s_cbranch_execz .LBB96_181
; %bb.180:
	ds_read_b32 v9, v50
	v_and_b32_e32 v59, 3, v8
	v_cmp_ne_u32_e32 vcc, 0, v59
	s_waitcnt lgkmcnt(0)
	v_mov_b32_dpp v60, v9 row_shr:1 row_mask:0xf bank_mask:0xf
	v_cndmask_b32_e32 v60, 0, v60, vcc
	v_add_u32_e32 v9, v60, v9
	v_cmp_lt_u32_e32 vcc, 1, v59
	s_nop 0
	v_mov_b32_dpp v60, v9 row_shr:2 row_mask:0xf bank_mask:0xf
	v_cndmask_b32_e32 v59, 0, v60, vcc
	v_add_u32_e32 v9, v9, v59
	ds_write_b32 v50, v9
.LBB96_181:
	s_or_b64 exec, exec, s[0:1]
	v_cmp_lt_u32_e32 vcc, 63, v0
	v_mov_b32_e32 v9, 0
	s_waitcnt lgkmcnt(0)
	s_barrier
	s_and_saveexec_b64 s[0:1], vcc
; %bb.182:
	v_lshl_add_u32 v9, v58, 2, -4
	ds_read_b32 v9, v9
; %bb.183:
	s_or_b64 exec, exec, s[0:1]
	v_add_u32_e32 v58, -1, v8
	v_and_b32_e32 v59, 64, v8
	v_cmp_lt_i32_e32 vcc, v58, v59
	v_cndmask_b32_e32 v58, v58, v8, vcc
	s_waitcnt lgkmcnt(0)
	v_add_u32_e32 v20, v9, v20
	v_lshlrev_b32_e32 v58, 2, v58
	ds_bpermute_b32 v20, v58, v20
	v_cmp_eq_u32_e32 vcc, 0, v8
	s_movk_i32 s0, 0x100
	s_waitcnt lgkmcnt(0)
	v_cndmask_b32_e32 v9, v20, v9, vcc
	v_cmp_ne_u32_e32 vcc, 0, v0
	v_cndmask_b32_e32 v9, 0, v9, vcc
	v_add_u32_e32 v3, v9, v3
	v_add_u32_e32 v4, v3, v4
	;; [unrolled: 1-line block ×4, first 2 shown]
	ds_write2_b32 v6, v9, v3 offset0:4 offset1:5
	ds_write2_b32 v6, v4, v1 offset0:6 offset1:7
	ds_write_b32 v6, v2 offset:32
	s_waitcnt lgkmcnt(0)
	s_barrier
	ds_read_b32 v2, v43 offset:16
	ds_read_b32 v3, v46 offset:16
	;; [unrolled: 1-line block ×13, first 2 shown]
	v_add_u32_e32 v6, 1, v0
	v_cmp_ne_u32_e32 vcc, s0, v6
	v_mov_b32_e32 v1, 0xc00
	s_and_saveexec_b64 s[0:1], vcc
; %bb.184:
	v_mul_u32_u24_e32 v1, 20, v6
	ds_read_b32 v1, v1 offset:16
; %bb.185:
	s_or_b64 exec, exec, s[0:1]
	s_waitcnt lgkmcnt(7)
	v_add_u32_e32 v30, v10, v12
	s_waitcnt lgkmcnt(6)
	v_add3_u32 v25, v16, v13, v14
	s_waitcnt lgkmcnt(5)
	v_add3_u32 v23, v22, v18, v17
	v_add3_u32 v17, v44, v42, v2
	v_lshlrev_b32_e32 v2, 2, v30
	s_waitcnt lgkmcnt(0)
	s_barrier
	ds_write_b32 v2, v5 offset:2048
	v_lshlrev_b32_e32 v2, 2, v25
	v_add3_u32 v22, v27, v24, v19
	ds_write_b32 v2, v11 offset:2048
	v_lshlrev_b32_e32 v2, 2, v23
	v_add3_u32 v20, v32, v29, v20
	;; [unrolled: 3-line block ×4, first 2 shown]
	ds_write_b32 v2, v26 offset:2048
	v_lshlrev_b32_e32 v2, 2, v19
	ds_write_b32 v2, v31 offset:2048
	v_lshlrev_b32_e32 v2, 2, v18
	v_add3_u32 v16, v47, v45, v3
	ds_write_b32 v2, v36 offset:2048
	v_lshlrev_b32_e32 v2, 2, v17
	v_add3_u32 v14, v52, v48, v4
	ds_write_b32 v2, v38 offset:2048
	v_lshlrev_b32_e32 v2, 2, v16
	v_add3_u32 v13, v55, v53, v43
	ds_write_b32 v2, v33 offset:2048
	v_lshlrev_b32_e32 v2, 2, v14
	v_add3_u32 v12, v57, v56, v46
	ds_write_b32 v2, v28 offset:2048
	v_lshlrev_b32_e32 v2, 2, v13
	ds_write_b32 v2, v51 offset:2048
	v_lshlrev_b32_e32 v2, 2, v12
	ds_write_b32 v2, v54 offset:2048
	v_sub_u32_e32 v10, v1, v9
	v_lshl_or_b32 v1, s6, 8, v0
	v_mov_b32_e32 v2, 0
	v_lshlrev_b64 v[3:4], 2, v[1:2]
	v_mov_b32_e32 v11, s73
	v_add_co_u32_e32 v3, vcc, s72, v3
	v_addc_co_u32_e32 v4, vcc, v11, v4, vcc
	v_or_b32_e32 v1, 2.0, v10
	s_mov_b64 s[0:1], 0
	s_brev_b32 s10, -4
	v_mov_b32_e32 v15, 0
	s_waitcnt lgkmcnt(0)
	s_barrier
	global_store_dword v[3:4], v1, off
                                        ; implicit-def: $sgpr2_sgpr3
	s_branch .LBB96_188
.LBB96_186:                             ;   in Loop: Header=BB96_188 Depth=1
	s_or_b64 exec, exec, s[4:5]
.LBB96_187:                             ;   in Loop: Header=BB96_188 Depth=1
	s_or_b64 exec, exec, s[2:3]
	v_and_b32_e32 v5, 0x3fffffff, v1
	v_add_u32_e32 v15, v5, v15
	v_cmp_gt_i32_e64 s[2:3], -2.0, v1
	s_and_b64 s[4:5], exec, s[2:3]
	s_or_b64 s[0:1], s[4:5], s[0:1]
	s_andn2_b64 exec, exec, s[0:1]
	s_cbranch_execz .LBB96_193
.LBB96_188:                             ; =>This Loop Header: Depth=1
                                        ;     Child Loop BB96_191 Depth 2
	s_or_b64 s[2:3], s[2:3], exec
	s_cmp_eq_u32 s7, 0
	s_cbranch_scc1 .LBB96_192
; %bb.189:                              ;   in Loop: Header=BB96_188 Depth=1
	s_add_i32 s7, s7, -1
	v_lshl_or_b32 v1, s7, 8, v0
	v_lshlrev_b64 v[5:6], 2, v[1:2]
	v_add_co_u32_e32 v5, vcc, s72, v5
	v_addc_co_u32_e32 v6, vcc, v11, v6, vcc
	global_load_dword v1, v[5:6], off glc
	s_waitcnt vmcnt(0)
	v_cmp_gt_u32_e32 vcc, 2.0, v1
	s_and_saveexec_b64 s[2:3], vcc
	s_cbranch_execz .LBB96_187
; %bb.190:                              ;   in Loop: Header=BB96_188 Depth=1
	s_mov_b64 s[4:5], 0
.LBB96_191:                             ;   Parent Loop BB96_188 Depth=1
                                        ; =>  This Inner Loop Header: Depth=2
	global_load_dword v1, v[5:6], off glc
	s_waitcnt vmcnt(0)
	v_cmp_lt_u32_e32 vcc, s10, v1
	s_or_b64 s[4:5], vcc, s[4:5]
	s_andn2_b64 exec, exec, s[4:5]
	s_cbranch_execnz .LBB96_191
	s_branch .LBB96_186
.LBB96_192:                             ;   in Loop: Header=BB96_188 Depth=1
                                        ; implicit-def: $sgpr7
	s_and_b64 s[4:5], exec, s[2:3]
	s_or_b64 s[0:1], s[4:5], s[0:1]
	s_andn2_b64 exec, exec, s[0:1]
	s_cbranch_execnz .LBB96_188
.LBB96_193:
	s_or_b64 exec, exec, s[0:1]
	v_add_u32_e32 v2, v15, v10
	v_or_b32_e32 v2, 0x80000000, v2
	v_lshlrev_b32_e32 v1, 3, v0
	global_store_dword v[3:4], v2, off
	global_load_dwordx2 v[2:3], v1, s[64:65]
	v_sub_co_u32_e32 v4, vcc, v15, v9
	v_subb_co_u32_e64 v5, s[0:1], 0, 0, vcc
	v_sub_u32_e32 v24, v1, v50
	v_mov_b32_e32 v6, s59
	v_mov_b32_e32 v11, s59
	;; [unrolled: 1-line block ×4, first 2 shown]
	v_or_b32_e32 v57, 0x400, v0
	v_or_b32_e32 v66, 0x600, v0
	;; [unrolled: 1-line block ×3, first 2 shown]
	s_lshl_b64 s[0:1], s[54:55], 3
	s_add_u32 s0, s60, s0
	s_addc_u32 s1, s61, s1
	v_lshlrev_b32_e32 v7, 3, v7
	v_or_b32_e32 v68, 0x800, v0
	s_add_i32 s8, s8, -1
	s_cmp_lg_u32 s6, s8
	s_waitcnt vmcnt(0)
	v_add_co_u32_e32 v2, vcc, v4, v2
	v_addc_co_u32_e32 v3, vcc, v5, v3, vcc
	ds_write_b64 v1, v[2:3]
	s_waitcnt lgkmcnt(0)
	s_barrier
	ds_read2st64_b32 v[2:3], v24 offset0:8 offset1:12
	ds_read2st64_b32 v[4:5], v24 offset0:16 offset1:20
	;; [unrolled: 1-line block ×4, first 2 shown]
	s_waitcnt lgkmcnt(2)
	v_xor_b32_e32 v39, 0x80000000, v4
	v_lshrrev_b32_e32 v31, s68, v2
	v_xor_b32_e32 v37, 0x80000000, v2
	v_lshrrev_b32_e32 v2, s68, v3
	;; [unrolled: 2-line block ×3, first 2 shown]
	v_lshrrev_b32_e32 v4, s68, v5
	v_xor_b32_e32 v40, 0x80000000, v5
	s_waitcnt lgkmcnt(1)
	v_lshrrev_b32_e32 v5, s68, v26
	v_lshrrev_b32_e32 v32, s68, v27
	s_waitcnt lgkmcnt(0)
	v_lshrrev_b32_e32 v33, s68, v28
	v_lshrrev_b32_e32 v34, s68, v29
	v_and_b32_e32 v31, s9, v31
	v_and_b32_e32 v2, s9, v2
	;; [unrolled: 1-line block ×8, first 2 shown]
	v_lshlrev_b32_e32 v58, 3, v31
	v_lshlrev_b32_e32 v59, 3, v2
	;; [unrolled: 1-line block ×8, first 2 shown]
	ds_read_b64 v[2:3], v58
	ds_read_b64 v[4:5], v59
	;; [unrolled: 1-line block ×5, first 2 shown]
	s_waitcnt lgkmcnt(4)
	v_lshlrev_b64 v[2:3], 2, v[2:3]
	s_waitcnt lgkmcnt(3)
	v_lshlrev_b64 v[4:5], 2, v[4:5]
	v_add_co_u32_e32 v2, vcc, s58, v2
	v_addc_co_u32_e32 v3, vcc, v6, v3, vcc
	s_waitcnt lgkmcnt(2)
	v_lshlrev_b64 v[31:32], 2, v[31:32]
	v_add_co_u32_e32 v4, vcc, s58, v4
	v_addc_co_u32_e32 v5, vcc, v11, v5, vcc
	;; [unrolled: 4-line block ×3, first 2 shown]
	v_add_co_u32_e32 v15, vcc, s58, v33
	v_addc_co_u32_e32 v21, vcc, v21, v34, vcc
	v_add_co_u32_e32 v2, vcc, v2, v50
	v_addc_co_u32_e32 v3, vcc, 0, v3, vcc
	;; [unrolled: 2-line block ×5, first 2 shown]
	global_store_dword v[2:3], v37, off
	global_store_dword v[4:5], v38, off offset:1024
	global_store_dword v[31:32], v39, off offset:2048
	;; [unrolled: 1-line block ×3, first 2 shown]
	s_waitcnt lgkmcnt(0)
	v_lshlrev_b64 v[33:34], 2, v[35:36]
	ds_read_b64 v[2:3], v63
	ds_read_b64 v[4:5], v64
	;; [unrolled: 1-line block ×3, first 2 shown]
	v_mov_b32_e32 v6, s59
	v_add_co_u32_e32 v11, vcc, s58, v33
	v_addc_co_u32_e32 v6, vcc, v6, v34, vcc
	v_lshlrev_b32_e32 v15, 2, v57
	v_add_co_u32_e32 v33, vcc, v11, v15
	s_waitcnt lgkmcnt(2)
	v_lshlrev_b64 v[2:3], 2, v[2:3]
	v_addc_co_u32_e32 v34, vcc, 0, v6, vcc
	v_or_b32_e32 v21, 0x500, v0
	v_mov_b32_e32 v11, s59
	v_add_co_u32_e32 v2, vcc, s58, v2
	v_addc_co_u32_e32 v3, vcc, v11, v3, vcc
	v_lshlrev_b32_e32 v11, 2, v21
	v_add_co_u32_e32 v2, vcc, v2, v11
	v_xor_b32_e32 v26, 0x80000000, v26
	v_xor_b32_e32 v6, 0x80000000, v27
	v_addc_co_u32_e32 v3, vcc, 0, v3, vcc
	global_store_dword v[33:34], v26, off
	global_store_dword v[2:3], v6, off
	s_waitcnt lgkmcnt(1)
	v_lshlrev_b64 v[2:3], 2, v[4:5]
	v_mov_b32_e32 v4, s59
	v_add_co_u32_e32 v2, vcc, s58, v2
	v_addc_co_u32_e32 v3, vcc, v4, v3, vcc
	v_lshlrev_b32_e32 v4, 2, v66
	v_add_co_u32_e32 v2, vcc, v2, v4
	v_xor_b32_e32 v6, 0x80000000, v28
	v_addc_co_u32_e32 v3, vcc, 0, v3, vcc
	global_store_dword v[2:3], v6, off
	s_waitcnt lgkmcnt(0)
	v_lshlrev_b64 v[2:3], 2, v[31:32]
	v_mov_b32_e32 v4, s59
	v_add_co_u32_e32 v5, vcc, s58, v2
	v_addc_co_u32_e32 v11, vcc, v4, v3, vcc
	ds_read2st64_b32 v[2:3], v24 offset0:40 offset1:44
	v_lshlrev_b32_e32 v4, 2, v67
	v_add_co_u32_e32 v4, vcc, v5, v4
	v_xor_b32_e32 v6, 0x80000000, v29
	v_addc_co_u32_e32 v5, vcc, 0, v11, vcc
	global_store_dword v[4:5], v6, off
	s_waitcnt lgkmcnt(0)
	v_lshrrev_b32_e32 v4, s68, v2
	v_and_b32_e32 v6, s9, v4
	ds_read2st64_b32 v[4:5], v24 offset0:48 offset1:52
	v_lshlrev_b32_e32 v24, 3, v6
	v_lshrrev_b32_e32 v6, s68, v3
	v_and_b32_e32 v6, s9, v6
	v_lshlrev_b32_e32 v69, 3, v6
	s_waitcnt lgkmcnt(0)
	v_lshrrev_b32_e32 v6, s68, v4
	v_and_b32_e32 v6, s9, v6
	v_lshlrev_b32_e32 v70, 3, v6
	v_lshrrev_b32_e32 v6, s68, v5
	v_and_b32_e32 v11, s9, v6
	v_lshlrev_b32_e32 v6, 3, v8
	v_mov_b32_e32 v8, s1
	v_add_co_u32_e32 v6, vcc, s0, v6
	v_addc_co_u32_e32 v8, vcc, 0, v8, vcc
	v_add_co_u32_e32 v6, vcc, v6, v7
	v_addc_co_u32_e32 v7, vcc, 0, v8, vcc
	global_load_dwordx2 v[26:27], v[6:7], off
	s_movk_i32 s0, 0x1000
	global_load_dwordx2 v[28:29], v[6:7], off offset:512
	global_load_dwordx2 v[31:32], v[6:7], off offset:1024
	;; [unrolled: 1-line block ×7, first 2 shown]
	v_add_co_u32_e32 v6, vcc, s0, v6
	v_addc_co_u32_e32 v7, vcc, 0, v7, vcc
	global_load_dwordx2 v[43:44], v[6:7], off
	global_load_dwordx2 v[45:46], v[6:7], off offset:512
	v_lshlrev_b32_e32 v8, 3, v11
	ds_read_b64 v[47:48], v24
	ds_read_b64 v[49:50], v69
	;; [unrolled: 1-line block ×4, first 2 shown]
	global_load_dwordx2 v[55:56], v[6:7], off offset:1024
	s_waitcnt lgkmcnt(3)
	v_lshlrev_b64 v[47:48], 2, v[47:48]
	global_load_dwordx2 v[6:7], v[6:7], off offset:1536
	v_mov_b32_e32 v11, s59
	v_add_co_u32_e32 v15, vcc, s58, v47
	v_addc_co_u32_e32 v11, vcc, v11, v48, vcc
	v_lshlrev_b32_e32 v47, 2, v68
	v_add_co_u32_e32 v47, vcc, v15, v47
	v_xor_b32_e32 v2, 0x80000000, v2
	v_addc_co_u32_e32 v48, vcc, 0, v11, vcc
	global_store_dword v[47:48], v2, off
	v_xor_b32_e32 v11, 0x80000000, v3
	s_waitcnt lgkmcnt(2)
	v_lshlrev_b64 v[2:3], 2, v[49:50]
	v_or_b32_e32 v47, 0x900, v0
	v_mov_b32_e32 v15, s59
	v_add_co_u32_e32 v2, vcc, s58, v2
	v_addc_co_u32_e32 v3, vcc, v15, v3, vcc
	v_lshlrev_b32_e32 v15, 2, v47
	v_add_co_u32_e32 v2, vcc, v2, v15
	v_addc_co_u32_e32 v3, vcc, 0, v3, vcc
	global_store_dword v[2:3], v11, off
	s_waitcnt lgkmcnt(1)
	v_lshlrev_b64 v[2:3], 2, v[51:52]
	v_or_b32_e32 v48, 0xa00, v0
	v_mov_b32_e32 v11, s59
	v_add_co_u32_e32 v2, vcc, s58, v2
	v_addc_co_u32_e32 v3, vcc, v11, v3, vcc
	v_lshlrev_b32_e32 v11, 2, v48
	v_add_co_u32_e32 v2, vcc, v2, v11
	v_xor_b32_e32 v4, 0x80000000, v4
	v_addc_co_u32_e32 v3, vcc, 0, v3, vcc
	global_store_dword v[2:3], v4, off
	s_waitcnt lgkmcnt(0)
	v_lshlrev_b64 v[2:3], 2, v[53:54]
	v_or_b32_e32 v0, 0xb00, v0
	v_xor_b32_e32 v4, 0x80000000, v5
	v_mov_b32_e32 v5, s59
	v_add_co_u32_e32 v2, vcc, s58, v2
	v_addc_co_u32_e32 v3, vcc, v5, v3, vcc
	v_lshlrev_b32_e32 v5, 2, v0
	v_add_co_u32_e32 v2, vcc, v2, v5
	v_addc_co_u32_e32 v3, vcc, 0, v3, vcc
	global_store_dword v[2:3], v4, off
	v_lshlrev_b32_e32 v2, 3, v30
	s_waitcnt vmcnt(0)
	s_barrier
	v_lshlrev_b32_e32 v0, 3, v0
	ds_write_b64 v2, v[26:27] offset:2048
	v_lshlrev_b32_e32 v2, 3, v25
	ds_write_b64 v2, v[28:29] offset:2048
	;; [unrolled: 2-line block ×12, first 2 shown]
	s_waitcnt lgkmcnt(0)
	s_barrier
	ds_read_b64 v[6:7], v58
	ds_read2st64_b64 v[2:5], v1 offset0:4 offset1:8
	ds_read_b64 v[11:12], v59
	ds_read_b64 v[13:14], v60
	ds_read_b64 v[15:16], v61
	s_waitcnt lgkmcnt(4)
	v_lshlrev_b64 v[6:7], 3, v[6:7]
	v_mov_b32_e32 v17, s63
	v_add_co_u32_e32 v6, vcc, s62, v6
	v_addc_co_u32_e32 v7, vcc, v17, v7, vcc
	v_add_co_u32_e32 v6, vcc, v6, v1
	v_addc_co_u32_e32 v7, vcc, 0, v7, vcc
	s_waitcnt lgkmcnt(3)
	global_store_dwordx2 v[6:7], v[2:3], off
	s_waitcnt lgkmcnt(2)
	v_lshlrev_b64 v[2:3], 3, v[11:12]
	v_mov_b32_e32 v6, s63
	v_add_co_u32_e32 v2, vcc, s62, v2
	v_addc_co_u32_e32 v3, vcc, v6, v3, vcc
	v_add_co_u32_e32 v2, vcc, v2, v1
	v_addc_co_u32_e32 v3, vcc, 0, v3, vcc
	s_waitcnt lgkmcnt(1)
	v_lshlrev_b64 v[6:7], 3, v[13:14]
	global_store_dwordx2 v[2:3], v[4:5], off offset:2048
	ds_read2st64_b64 v[2:5], v1 offset0:12 offset1:16
	v_mov_b32_e32 v11, s63
	v_add_co_u32_e32 v6, vcc, s62, v6
	v_addc_co_u32_e32 v7, vcc, v11, v7, vcc
	v_or_b32_e32 v11, 0x1000, v1
	v_add_co_u32_e32 v6, vcc, v6, v11
	v_addc_co_u32_e32 v7, vcc, 0, v7, vcc
	s_waitcnt lgkmcnt(0)
	global_store_dwordx2 v[6:7], v[2:3], off
	v_lshlrev_b64 v[2:3], 3, v[15:16]
	v_mov_b32_e32 v6, s63
	v_add_co_u32_e32 v2, vcc, s62, v2
	v_addc_co_u32_e32 v3, vcc, v6, v3, vcc
	v_or_b32_e32 v6, 0x1800, v1
	v_add_co_u32_e32 v2, vcc, v2, v6
	v_addc_co_u32_e32 v3, vcc, 0, v3, vcc
	global_store_dwordx2 v[2:3], v[4:5], off
	ds_read_b64 v[6:7], v62
	ds_read2st64_b64 v[2:5], v1 offset0:20 offset1:24
	ds_read_b64 v[11:12], v63
	ds_read_b64 v[13:14], v64
	;; [unrolled: 1-line block ×3, first 2 shown]
	s_waitcnt lgkmcnt(4)
	v_lshlrev_b64 v[6:7], 3, v[6:7]
	v_add_co_u32_e32 v6, vcc, s62, v6
	v_addc_co_u32_e32 v7, vcc, v17, v7, vcc
	v_lshlrev_b32_e32 v17, 3, v57
	v_add_co_u32_e32 v6, vcc, v6, v17
	v_addc_co_u32_e32 v7, vcc, 0, v7, vcc
	s_waitcnt lgkmcnt(3)
	global_store_dwordx2 v[6:7], v[2:3], off
	s_waitcnt lgkmcnt(2)
	v_lshlrev_b64 v[2:3], 3, v[11:12]
	v_mov_b32_e32 v6, s63
	v_add_co_u32_e32 v2, vcc, s62, v2
	v_addc_co_u32_e32 v3, vcc, v6, v3, vcc
	v_lshlrev_b32_e32 v6, 3, v21
	v_add_co_u32_e32 v2, vcc, v2, v6
	v_addc_co_u32_e32 v3, vcc, 0, v3, vcc
	s_waitcnt lgkmcnt(1)
	v_lshlrev_b64 v[6:7], 3, v[13:14]
	global_store_dwordx2 v[2:3], v[4:5], off
	ds_read2st64_b64 v[2:5], v1 offset0:28 offset1:32
	v_mov_b32_e32 v11, s63
	v_add_co_u32_e32 v6, vcc, s62, v6
	v_addc_co_u32_e32 v7, vcc, v11, v7, vcc
	v_lshlrev_b32_e32 v11, 3, v66
	v_add_co_u32_e32 v6, vcc, v6, v11
	v_addc_co_u32_e32 v7, vcc, 0, v7, vcc
	s_waitcnt lgkmcnt(0)
	global_store_dwordx2 v[6:7], v[2:3], off
	v_lshlrev_b64 v[2:3], 3, v[15:16]
	v_mov_b32_e32 v6, s63
	v_add_co_u32_e32 v2, vcc, s62, v2
	v_addc_co_u32_e32 v3, vcc, v6, v3, vcc
	v_lshlrev_b32_e32 v6, 3, v67
	v_add_co_u32_e32 v2, vcc, v2, v6
	v_addc_co_u32_e32 v3, vcc, 0, v3, vcc
	global_store_dwordx2 v[2:3], v[4:5], off
	ds_read_b64 v[6:7], v24
	ds_read2st64_b64 v[2:5], v1 offset0:36 offset1:40
	ds_read_b64 v[11:12], v69
	ds_read_b64 v[13:14], v70
	;; [unrolled: 1-line block ×3, first 2 shown]
	s_waitcnt lgkmcnt(4)
	v_lshlrev_b64 v[6:7], 3, v[6:7]
	v_mov_b32_e32 v8, s63
	v_add_co_u32_e32 v6, vcc, s62, v6
	v_addc_co_u32_e32 v7, vcc, v8, v7, vcc
	v_lshlrev_b32_e32 v8, 3, v68
	v_add_co_u32_e32 v6, vcc, v6, v8
	v_addc_co_u32_e32 v7, vcc, 0, v7, vcc
	s_waitcnt lgkmcnt(3)
	global_store_dwordx2 v[6:7], v[2:3], off
	s_waitcnt lgkmcnt(2)
	v_lshlrev_b64 v[2:3], 3, v[11:12]
	v_mov_b32_e32 v6, s63
	v_add_co_u32_e32 v2, vcc, s62, v2
	v_addc_co_u32_e32 v3, vcc, v6, v3, vcc
	v_lshlrev_b32_e32 v6, 3, v47
	v_add_co_u32_e32 v2, vcc, v2, v6
	v_addc_co_u32_e32 v3, vcc, 0, v3, vcc
	s_waitcnt lgkmcnt(1)
	v_lshlrev_b64 v[6:7], 3, v[13:14]
	global_store_dwordx2 v[2:3], v[4:5], off
	ds_read2st64_b64 v[2:5], v1 offset0:44 offset1:48
	v_mov_b32_e32 v8, s63
	v_add_co_u32_e32 v6, vcc, s62, v6
	v_addc_co_u32_e32 v7, vcc, v8, v7, vcc
	v_lshlrev_b32_e32 v8, 3, v48
	v_add_co_u32_e32 v6, vcc, v6, v8
	v_addc_co_u32_e32 v7, vcc, 0, v7, vcc
	s_waitcnt lgkmcnt(0)
	global_store_dwordx2 v[6:7], v[2:3], off
	v_lshlrev_b64 v[2:3], 3, v[15:16]
	v_mov_b32_e32 v6, s63
	v_add_co_u32_e32 v2, vcc, s62, v2
	v_addc_co_u32_e32 v3, vcc, v6, v3, vcc
	v_add_co_u32_e32 v2, vcc, v2, v0
	v_addc_co_u32_e32 v3, vcc, 0, v3, vcc
	global_store_dwordx2 v[2:3], v[4:5], off
	s_cbranch_scc1 .LBB96_195
; %bb.194:
	ds_read_b64 v[2:3], v1
	v_add_co_u32_e32 v0, vcc, v10, v9
	v_addc_co_u32_e64 v4, s[0:1], 0, 0, vcc
	s_waitcnt lgkmcnt(0)
	v_add_co_u32_e32 v2, vcc, v0, v2
	v_addc_co_u32_e32 v3, vcc, v4, v3, vcc
	global_store_dwordx2 v1, v[2:3], s[66:67]
.LBB96_195:
	s_endpgm
.LBB96_196:
	s_or_b64 exec, exec, s[0:1]
	s_and_saveexec_b64 s[0:1], s[26:27]
	s_cbranch_execz .LBB96_139
.LBB96_197:
	v_lshlrev_b32_e32 v3, 3, v62
	ds_read_b64 v[3:4], v3
	ds_read_b64 v[5:6], v32 offset:4096
	v_mov_b32_e32 v7, s63
	s_waitcnt lgkmcnt(1)
	v_lshlrev_b64 v[3:4], 3, v[3:4]
	v_add_co_u32_e32 v3, vcc, s62, v3
	v_addc_co_u32_e32 v4, vcc, v7, v4, vcc
	v_add_co_u32_e32 v3, vcc, v3, v32
	v_addc_co_u32_e32 v4, vcc, 0, v4, vcc
	s_waitcnt lgkmcnt(0)
	global_store_dwordx2 v[3:4], v[5:6], off offset:2048
	s_or_b64 exec, exec, s[0:1]
	s_and_saveexec_b64 s[0:1], s[28:29]
	s_cbranch_execnz .LBB96_140
.LBB96_198:
	s_or_b64 exec, exec, s[0:1]
	s_and_saveexec_b64 s[0:1], s[30:31]
	s_cbranch_execz .LBB96_141
.LBB96_199:
	v_lshlrev_b32_e32 v3, 3, v60
	ds_read_b64 v[3:4], v3
	ds_read_b64 v[5:6], v32 offset:8192
	v_mov_b32_e32 v7, s63
	s_waitcnt lgkmcnt(1)
	v_lshlrev_b64 v[3:4], 3, v[3:4]
	v_add_co_u32_e32 v3, vcc, s62, v3
	v_addc_co_u32_e32 v4, vcc, v7, v4, vcc
	v_lshlrev_b32_e32 v7, 3, v46
	v_add_co_u32_e32 v3, vcc, v3, v7
	v_addc_co_u32_e32 v4, vcc, 0, v4, vcc
	s_waitcnt lgkmcnt(0)
	global_store_dwordx2 v[3:4], v[5:6], off
	s_or_b64 exec, exec, s[0:1]
	s_and_saveexec_b64 s[0:1], s[34:35]
	s_cbranch_execnz .LBB96_142
.LBB96_200:
	s_or_b64 exec, exec, s[0:1]
	s_and_saveexec_b64 s[0:1], s[36:37]
	s_cbranch_execz .LBB96_143
.LBB96_201:
	v_lshlrev_b32_e32 v3, 3, v58
	ds_read_b64 v[3:4], v3
	ds_read_b64 v[5:6], v32 offset:12288
	v_mov_b32_e32 v7, s63
	s_waitcnt lgkmcnt(1)
	v_lshlrev_b64 v[3:4], 3, v[3:4]
	v_add_co_u32_e32 v3, vcc, s62, v3
	v_addc_co_u32_e32 v4, vcc, v7, v4, vcc
	v_lshlrev_b32_e32 v7, 3, v48
	v_add_co_u32_e32 v3, vcc, v3, v7
	v_addc_co_u32_e32 v4, vcc, 0, v4, vcc
	s_waitcnt lgkmcnt(0)
	global_store_dwordx2 v[3:4], v[5:6], off
	s_or_b64 exec, exec, s[0:1]
	s_and_saveexec_b64 s[0:1], s[38:39]
	s_cbranch_execnz .LBB96_144
.LBB96_202:
	s_or_b64 exec, exec, s[0:1]
	s_and_saveexec_b64 s[0:1], s[40:41]
	s_cbranch_execz .LBB96_145
.LBB96_203:
	v_lshlrev_b32_e32 v3, 3, v56
	ds_read_b64 v[3:4], v3
	ds_read_b64 v[5:6], v32 offset:16384
	v_mov_b32_e32 v7, s63
	s_waitcnt lgkmcnt(1)
	v_lshlrev_b64 v[3:4], 3, v[3:4]
	v_add_co_u32_e32 v3, vcc, s62, v3
	v_addc_co_u32_e32 v4, vcc, v7, v4, vcc
	v_lshlrev_b32_e32 v7, 3, v50
	v_add_co_u32_e32 v3, vcc, v3, v7
	v_addc_co_u32_e32 v4, vcc, 0, v4, vcc
	s_waitcnt lgkmcnt(0)
	global_store_dwordx2 v[3:4], v[5:6], off
	s_or_b64 exec, exec, s[0:1]
	s_and_saveexec_b64 s[0:1], s[42:43]
	s_cbranch_execnz .LBB96_146
.LBB96_204:
	s_or_b64 exec, exec, s[0:1]
	s_and_saveexec_b64 s[0:1], s[44:45]
	s_cbranch_execz .LBB96_147
.LBB96_205:
	v_lshlrev_b32_e32 v3, 3, v28
	ds_read_b64 v[3:4], v3
	ds_read_b64 v[5:6], v32 offset:20480
	v_mov_b32_e32 v7, s63
	s_waitcnt lgkmcnt(1)
	v_lshlrev_b64 v[3:4], 3, v[3:4]
	v_add_co_u32_e32 v3, vcc, s62, v3
	v_addc_co_u32_e32 v4, vcc, v7, v4, vcc
	v_lshlrev_b32_e32 v7, 3, v52
	v_add_co_u32_e32 v3, vcc, v3, v7
	v_addc_co_u32_e32 v4, vcc, 0, v4, vcc
	s_waitcnt lgkmcnt(0)
	global_store_dwordx2 v[3:4], v[5:6], off
	s_or_b64 exec, exec, s[0:1]
	s_and_saveexec_b64 s[0:1], s[46:47]
	s_cbranch_execnz .LBB96_148
.LBB96_206:
	s_or_b64 exec, exec, s[0:1]
	s_and_saveexec_b64 s[0:1], s[48:49]
	s_cbranch_execz .LBB96_149
.LBB96_207:
	v_lshlrev_b32_e32 v3, 3, v27
	ds_read_b64 v[3:4], v3
	ds_read_b64 v[5:6], v32 offset:24576
	v_mov_b32_e32 v7, s63
	s_waitcnt lgkmcnt(1)
	v_lshlrev_b64 v[3:4], 3, v[3:4]
	v_add_co_u32_e32 v3, vcc, s62, v3
	v_addc_co_u32_e32 v4, vcc, v7, v4, vcc
	v_lshlrev_b32_e32 v7, 3, v54
	v_add_co_u32_e32 v3, vcc, v3, v7
	v_addc_co_u32_e32 v4, vcc, 0, v4, vcc
	s_waitcnt lgkmcnt(0)
	global_store_dwordx2 v[3:4], v[5:6], off
	s_or_b64 exec, exec, s[0:1]
	s_add_i32 s33, s33, -1
	s_cmp_eq_u32 s6, s33
	s_cbranch_scc1 .LBB96_150
	s_branch .LBB96_151
	.section	.rodata,"a",@progbits
	.p2align	6, 0x0
	.amdhsa_kernel _ZN7rocprim17ROCPRIM_304000_NS6detail25onesweep_iteration_kernelINS1_34wrapped_radix_sort_onesweep_configINS0_14default_configEiN2at4cuda3cub6detail10OpaqueTypeILi8EEEEELb0EPKiPiPKSA_PSA_mNS0_19identity_decomposerEEEvT1_T2_T3_T4_jPT5_SO_PNS1_23onesweep_lookback_stateET6_jjj
		.amdhsa_group_segment_fixed_size 26624
		.amdhsa_private_segment_fixed_size 0
		.amdhsa_kernarg_size 336
		.amdhsa_user_sgpr_count 6
		.amdhsa_user_sgpr_private_segment_buffer 1
		.amdhsa_user_sgpr_dispatch_ptr 0
		.amdhsa_user_sgpr_queue_ptr 0
		.amdhsa_user_sgpr_kernarg_segment_ptr 1
		.amdhsa_user_sgpr_dispatch_id 0
		.amdhsa_user_sgpr_flat_scratch_init 0
		.amdhsa_user_sgpr_private_segment_size 0
		.amdhsa_uses_dynamic_stack 0
		.amdhsa_system_sgpr_private_segment_wavefront_offset 0
		.amdhsa_system_sgpr_workgroup_id_x 1
		.amdhsa_system_sgpr_workgroup_id_y 0
		.amdhsa_system_sgpr_workgroup_id_z 0
		.amdhsa_system_sgpr_workgroup_info 0
		.amdhsa_system_vgpr_workitem_id 2
		.amdhsa_next_free_vgpr 85
		.amdhsa_next_free_sgpr 98
		.amdhsa_reserve_vcc 1
		.amdhsa_reserve_flat_scratch 0
		.amdhsa_float_round_mode_32 0
		.amdhsa_float_round_mode_16_64 0
		.amdhsa_float_denorm_mode_32 3
		.amdhsa_float_denorm_mode_16_64 3
		.amdhsa_dx10_clamp 1
		.amdhsa_ieee_mode 1
		.amdhsa_fp16_overflow 0
		.amdhsa_exception_fp_ieee_invalid_op 0
		.amdhsa_exception_fp_denorm_src 0
		.amdhsa_exception_fp_ieee_div_zero 0
		.amdhsa_exception_fp_ieee_overflow 0
		.amdhsa_exception_fp_ieee_underflow 0
		.amdhsa_exception_fp_ieee_inexact 0
		.amdhsa_exception_int_div_zero 0
	.end_amdhsa_kernel
	.section	.text._ZN7rocprim17ROCPRIM_304000_NS6detail25onesweep_iteration_kernelINS1_34wrapped_radix_sort_onesweep_configINS0_14default_configEiN2at4cuda3cub6detail10OpaqueTypeILi8EEEEELb0EPKiPiPKSA_PSA_mNS0_19identity_decomposerEEEvT1_T2_T3_T4_jPT5_SO_PNS1_23onesweep_lookback_stateET6_jjj,"axG",@progbits,_ZN7rocprim17ROCPRIM_304000_NS6detail25onesweep_iteration_kernelINS1_34wrapped_radix_sort_onesweep_configINS0_14default_configEiN2at4cuda3cub6detail10OpaqueTypeILi8EEEEELb0EPKiPiPKSA_PSA_mNS0_19identity_decomposerEEEvT1_T2_T3_T4_jPT5_SO_PNS1_23onesweep_lookback_stateET6_jjj,comdat
.Lfunc_end96:
	.size	_ZN7rocprim17ROCPRIM_304000_NS6detail25onesweep_iteration_kernelINS1_34wrapped_radix_sort_onesweep_configINS0_14default_configEiN2at4cuda3cub6detail10OpaqueTypeILi8EEEEELb0EPKiPiPKSA_PSA_mNS0_19identity_decomposerEEEvT1_T2_T3_T4_jPT5_SO_PNS1_23onesweep_lookback_stateET6_jjj, .Lfunc_end96-_ZN7rocprim17ROCPRIM_304000_NS6detail25onesweep_iteration_kernelINS1_34wrapped_radix_sort_onesweep_configINS0_14default_configEiN2at4cuda3cub6detail10OpaqueTypeILi8EEEEELb0EPKiPiPKSA_PSA_mNS0_19identity_decomposerEEEvT1_T2_T3_T4_jPT5_SO_PNS1_23onesweep_lookback_stateET6_jjj
                                        ; -- End function
	.set _ZN7rocprim17ROCPRIM_304000_NS6detail25onesweep_iteration_kernelINS1_34wrapped_radix_sort_onesweep_configINS0_14default_configEiN2at4cuda3cub6detail10OpaqueTypeILi8EEEEELb0EPKiPiPKSA_PSA_mNS0_19identity_decomposerEEEvT1_T2_T3_T4_jPT5_SO_PNS1_23onesweep_lookback_stateET6_jjj.num_vgpr, 71
	.set _ZN7rocprim17ROCPRIM_304000_NS6detail25onesweep_iteration_kernelINS1_34wrapped_radix_sort_onesweep_configINS0_14default_configEiN2at4cuda3cub6detail10OpaqueTypeILi8EEEEELb0EPKiPiPKSA_PSA_mNS0_19identity_decomposerEEEvT1_T2_T3_T4_jPT5_SO_PNS1_23onesweep_lookback_stateET6_jjj.num_agpr, 0
	.set _ZN7rocprim17ROCPRIM_304000_NS6detail25onesweep_iteration_kernelINS1_34wrapped_radix_sort_onesweep_configINS0_14default_configEiN2at4cuda3cub6detail10OpaqueTypeILi8EEEEELb0EPKiPiPKSA_PSA_mNS0_19identity_decomposerEEEvT1_T2_T3_T4_jPT5_SO_PNS1_23onesweep_lookback_stateET6_jjj.numbered_sgpr, 75
	.set _ZN7rocprim17ROCPRIM_304000_NS6detail25onesweep_iteration_kernelINS1_34wrapped_radix_sort_onesweep_configINS0_14default_configEiN2at4cuda3cub6detail10OpaqueTypeILi8EEEEELb0EPKiPiPKSA_PSA_mNS0_19identity_decomposerEEEvT1_T2_T3_T4_jPT5_SO_PNS1_23onesweep_lookback_stateET6_jjj.num_named_barrier, 0
	.set _ZN7rocprim17ROCPRIM_304000_NS6detail25onesweep_iteration_kernelINS1_34wrapped_radix_sort_onesweep_configINS0_14default_configEiN2at4cuda3cub6detail10OpaqueTypeILi8EEEEELb0EPKiPiPKSA_PSA_mNS0_19identity_decomposerEEEvT1_T2_T3_T4_jPT5_SO_PNS1_23onesweep_lookback_stateET6_jjj.private_seg_size, 0
	.set _ZN7rocprim17ROCPRIM_304000_NS6detail25onesweep_iteration_kernelINS1_34wrapped_radix_sort_onesweep_configINS0_14default_configEiN2at4cuda3cub6detail10OpaqueTypeILi8EEEEELb0EPKiPiPKSA_PSA_mNS0_19identity_decomposerEEEvT1_T2_T3_T4_jPT5_SO_PNS1_23onesweep_lookback_stateET6_jjj.uses_vcc, 1
	.set _ZN7rocprim17ROCPRIM_304000_NS6detail25onesweep_iteration_kernelINS1_34wrapped_radix_sort_onesweep_configINS0_14default_configEiN2at4cuda3cub6detail10OpaqueTypeILi8EEEEELb0EPKiPiPKSA_PSA_mNS0_19identity_decomposerEEEvT1_T2_T3_T4_jPT5_SO_PNS1_23onesweep_lookback_stateET6_jjj.uses_flat_scratch, 0
	.set _ZN7rocprim17ROCPRIM_304000_NS6detail25onesweep_iteration_kernelINS1_34wrapped_radix_sort_onesweep_configINS0_14default_configEiN2at4cuda3cub6detail10OpaqueTypeILi8EEEEELb0EPKiPiPKSA_PSA_mNS0_19identity_decomposerEEEvT1_T2_T3_T4_jPT5_SO_PNS1_23onesweep_lookback_stateET6_jjj.has_dyn_sized_stack, 0
	.set _ZN7rocprim17ROCPRIM_304000_NS6detail25onesweep_iteration_kernelINS1_34wrapped_radix_sort_onesweep_configINS0_14default_configEiN2at4cuda3cub6detail10OpaqueTypeILi8EEEEELb0EPKiPiPKSA_PSA_mNS0_19identity_decomposerEEEvT1_T2_T3_T4_jPT5_SO_PNS1_23onesweep_lookback_stateET6_jjj.has_recursion, 0
	.set _ZN7rocprim17ROCPRIM_304000_NS6detail25onesweep_iteration_kernelINS1_34wrapped_radix_sort_onesweep_configINS0_14default_configEiN2at4cuda3cub6detail10OpaqueTypeILi8EEEEELb0EPKiPiPKSA_PSA_mNS0_19identity_decomposerEEEvT1_T2_T3_T4_jPT5_SO_PNS1_23onesweep_lookback_stateET6_jjj.has_indirect_call, 0
	.section	.AMDGPU.csdata,"",@progbits
; Kernel info:
; codeLenInByte = 19016
; TotalNumSgprs: 79
; NumVgprs: 71
; ScratchSize: 0
; MemoryBound: 0
; FloatMode: 240
; IeeeMode: 1
; LDSByteSize: 26624 bytes/workgroup (compile time only)
; SGPRBlocks: 12
; VGPRBlocks: 21
; NumSGPRsForWavesPerEU: 102
; NumVGPRsForWavesPerEU: 85
; Occupancy: 2
; WaveLimiterHint : 1
; COMPUTE_PGM_RSRC2:SCRATCH_EN: 0
; COMPUTE_PGM_RSRC2:USER_SGPR: 6
; COMPUTE_PGM_RSRC2:TRAP_HANDLER: 0
; COMPUTE_PGM_RSRC2:TGID_X_EN: 1
; COMPUTE_PGM_RSRC2:TGID_Y_EN: 0
; COMPUTE_PGM_RSRC2:TGID_Z_EN: 0
; COMPUTE_PGM_RSRC2:TIDIG_COMP_CNT: 2
	.section	.text._ZN7rocprim17ROCPRIM_304000_NS6detail25onesweep_iteration_kernelINS1_34wrapped_radix_sort_onesweep_configINS0_14default_configEiN2at4cuda3cub6detail10OpaqueTypeILi8EEEEELb0EPiSC_PSA_SD_mNS0_19identity_decomposerEEEvT1_T2_T3_T4_jPT5_SK_PNS1_23onesweep_lookback_stateET6_jjj,"axG",@progbits,_ZN7rocprim17ROCPRIM_304000_NS6detail25onesweep_iteration_kernelINS1_34wrapped_radix_sort_onesweep_configINS0_14default_configEiN2at4cuda3cub6detail10OpaqueTypeILi8EEEEELb0EPiSC_PSA_SD_mNS0_19identity_decomposerEEEvT1_T2_T3_T4_jPT5_SK_PNS1_23onesweep_lookback_stateET6_jjj,comdat
	.protected	_ZN7rocprim17ROCPRIM_304000_NS6detail25onesweep_iteration_kernelINS1_34wrapped_radix_sort_onesweep_configINS0_14default_configEiN2at4cuda3cub6detail10OpaqueTypeILi8EEEEELb0EPiSC_PSA_SD_mNS0_19identity_decomposerEEEvT1_T2_T3_T4_jPT5_SK_PNS1_23onesweep_lookback_stateET6_jjj ; -- Begin function _ZN7rocprim17ROCPRIM_304000_NS6detail25onesweep_iteration_kernelINS1_34wrapped_radix_sort_onesweep_configINS0_14default_configEiN2at4cuda3cub6detail10OpaqueTypeILi8EEEEELb0EPiSC_PSA_SD_mNS0_19identity_decomposerEEEvT1_T2_T3_T4_jPT5_SK_PNS1_23onesweep_lookback_stateET6_jjj
	.globl	_ZN7rocprim17ROCPRIM_304000_NS6detail25onesweep_iteration_kernelINS1_34wrapped_radix_sort_onesweep_configINS0_14default_configEiN2at4cuda3cub6detail10OpaqueTypeILi8EEEEELb0EPiSC_PSA_SD_mNS0_19identity_decomposerEEEvT1_T2_T3_T4_jPT5_SK_PNS1_23onesweep_lookback_stateET6_jjj
	.p2align	8
	.type	_ZN7rocprim17ROCPRIM_304000_NS6detail25onesweep_iteration_kernelINS1_34wrapped_radix_sort_onesweep_configINS0_14default_configEiN2at4cuda3cub6detail10OpaqueTypeILi8EEEEELb0EPiSC_PSA_SD_mNS0_19identity_decomposerEEEvT1_T2_T3_T4_jPT5_SK_PNS1_23onesweep_lookback_stateET6_jjj,@function
_ZN7rocprim17ROCPRIM_304000_NS6detail25onesweep_iteration_kernelINS1_34wrapped_radix_sort_onesweep_configINS0_14default_configEiN2at4cuda3cub6detail10OpaqueTypeILi8EEEEELb0EPiSC_PSA_SD_mNS0_19identity_decomposerEEEvT1_T2_T3_T4_jPT5_SK_PNS1_23onesweep_lookback_stateET6_jjj: ; @_ZN7rocprim17ROCPRIM_304000_NS6detail25onesweep_iteration_kernelINS1_34wrapped_radix_sort_onesweep_configINS0_14default_configEiN2at4cuda3cub6detail10OpaqueTypeILi8EEEEELb0EPiSC_PSA_SD_mNS0_19identity_decomposerEEEvT1_T2_T3_T4_jPT5_SK_PNS1_23onesweep_lookback_stateET6_jjj
; %bb.0:
	s_load_dwordx8 s[56:63], s[4:5], 0x0
	s_load_dwordx4 s[68:71], s[4:5], 0x44
	s_load_dwordx4 s[64:67], s[4:5], 0x28
	s_load_dwordx2 s[72:73], s[4:5], 0x38
	s_mov_b32 s7, s6
	s_mov_b64 s[0:1], -1
	s_waitcnt lgkmcnt(0)
	s_cmp_ge_u32 s6, s70
	s_mul_i32 s54, s6, 0xc00
	v_mbcnt_lo_u32_b32 v29, -1, 0
	s_cbranch_scc0 .LBB97_152
; %bb.1:
	s_load_dword s2, s[4:5], 0x20
	s_mulk_i32 s70, 0xf400
	s_mov_b32 s55, 0
	s_lshl_b64 s[0:1], s[54:55], 2
	v_mbcnt_hi_u32_b32 v10, -1, v29
	s_waitcnt lgkmcnt(0)
	s_add_i32 s70, s70, s2
	s_add_u32 s0, s56, s0
	s_addc_u32 s1, s57, s1
	v_and_b32_e32 v19, 0xc0, v0
	v_lshlrev_b32_e32 v3, 2, v10
	v_mul_u32_u24_e32 v9, 12, v19
	v_mov_b32_e32 v4, s1
	v_add_co_u32_e32 v3, vcc, s0, v3
	v_addc_co_u32_e32 v4, vcc, 0, v4, vcc
	v_lshlrev_b32_e32 v5, 2, v9
	v_add_co_u32_e32 v3, vcc, v3, v5
	v_addc_co_u32_e32 v4, vcc, 0, v4, vcc
	v_or_b32_e32 v5, v10, v9
	v_mov_b32_e32 v7, -1
	v_cmp_gt_u32_e32 vcc, s70, v5
	v_mov_b32_e32 v8, -1
	s_and_saveexec_b64 s[0:1], vcc
	s_cbranch_execz .LBB97_3
; %bb.2:
	global_load_dword v6, v[3:4], off
	s_waitcnt vmcnt(0)
	v_xor_b32_e32 v8, 0x80000000, v6
.LBB97_3:
	s_or_b64 exec, exec, s[0:1]
	v_add_u32_e32 v6, 64, v5
	v_cmp_gt_u32_e64 s[0:1], s70, v6
	s_and_saveexec_b64 s[2:3], s[0:1]
	s_cbranch_execz .LBB97_5
; %bb.4:
	global_load_dword v6, v[3:4], off offset:256
	s_waitcnt vmcnt(0)
	v_xor_b32_e32 v7, 0x80000000, v6
.LBB97_5:
	s_or_b64 exec, exec, s[2:3]
	v_add_u32_e32 v6, 0x80, v5
	v_cmp_gt_u32_e64 s[2:3], s70, v6
	v_mov_b32_e32 v11, -1
	v_mov_b32_e32 v12, -1
	s_and_saveexec_b64 s[8:9], s[2:3]
	s_cbranch_execz .LBB97_7
; %bb.6:
	global_load_dword v6, v[3:4], off offset:512
	s_waitcnt vmcnt(0)
	v_xor_b32_e32 v12, 0x80000000, v6
.LBB97_7:
	s_or_b64 exec, exec, s[8:9]
	v_add_u32_e32 v6, 0xc0, v5
	v_cmp_gt_u32_e64 s[50:51], s70, v6
	s_and_saveexec_b64 s[8:9], s[50:51]
	s_cbranch_execz .LBB97_9
; %bb.8:
	global_load_dword v6, v[3:4], off offset:768
	s_waitcnt vmcnt(0)
	v_xor_b32_e32 v11, 0x80000000, v6
.LBB97_9:
	s_or_b64 exec, exec, s[8:9]
	v_add_u32_e32 v6, 0x100, v5
	v_cmp_gt_u32_e64 s[8:9], s70, v6
	v_mov_b32_e32 v13, -1
	v_mov_b32_e32 v14, -1
	s_and_saveexec_b64 s[10:11], s[8:9]
	s_cbranch_execz .LBB97_11
; %bb.10:
	global_load_dword v6, v[3:4], off offset:1024
	s_waitcnt vmcnt(0)
	v_xor_b32_e32 v14, 0x80000000, v6
.LBB97_11:
	;; [unrolled: 22-line block ×5, first 2 shown]
	s_or_b64 exec, exec, s[14:15]
	v_add_u32_e32 v5, 0x2c0, v5
	v_cmp_gt_u32_e64 s[14:15], s70, v5
	s_and_saveexec_b64 s[24:25], s[14:15]
	s_cbranch_execz .LBB97_25
; %bb.24:
	global_load_dword v3, v[3:4], off offset:2816
	s_waitcnt vmcnt(0)
	v_xor_b32_e32 v20, 0x80000000, v3
.LBB97_25:
	s_or_b64 exec, exec, s[24:25]
	s_load_dword s24, s[4:5], 0x5c
	s_load_dword s33, s[4:5], 0x50
	s_add_u32 s25, s4, 0x50
	s_addc_u32 s26, s5, 0
	v_mov_b32_e32 v3, 0
	s_waitcnt lgkmcnt(0)
	s_lshr_b32 s27, s24, 16
	s_cmp_lt_u32 s6, s33
	s_cselect_b32 s24, 12, 18
	s_add_u32 s24, s25, s24
	s_addc_u32 s25, s26, 0
	global_load_ushort v5, v3, s[24:25]
	s_lshl_b32 s24, -1, s69
	v_lshrrev_b32_e32 v4, s68, v8
	s_not_b32 s74, s24
	v_and_b32_e32 v23, s74, v4
	v_and_b32_e32 v24, 1, v23
	v_add_co_u32_e64 v26, s[24:25], -1, v24
	v_lshlrev_b32_e32 v4, 30, v23
	v_addc_co_u32_e64 v27, s[24:25], 0, -1, s[24:25]
	v_mad_u32_u24 v6, v2, s27, v1
	v_cmp_ne_u32_e64 s[24:25], 0, v24
	v_cmp_gt_i64_e64 s[26:27], 0, v[3:4]
	v_not_b32_e32 v24, v4
	v_lshlrev_b32_e32 v4, 29, v23
	v_xor_b32_e32 v27, s25, v27
	v_xor_b32_e32 v26, s24, v26
	v_ashrrev_i32_e32 v24, 31, v24
	v_cmp_gt_i64_e64 s[24:25], 0, v[3:4]
	v_not_b32_e32 v28, v4
	v_lshlrev_b32_e32 v4, 28, v23
	v_and_b32_e32 v27, exec_hi, v27
	v_and_b32_e32 v26, exec_lo, v26
	v_xor_b32_e32 v30, s27, v24
	v_xor_b32_e32 v24, s26, v24
	v_ashrrev_i32_e32 v28, 31, v28
	v_cmp_gt_i64_e64 s[26:27], 0, v[3:4]
	v_not_b32_e32 v31, v4
	v_lshlrev_b32_e32 v4, 27, v23
	v_and_b32_e32 v27, v27, v30
	v_and_b32_e32 v24, v26, v24
	v_xor_b32_e32 v26, s25, v28
	v_xor_b32_e32 v28, s24, v28
	v_ashrrev_i32_e32 v30, 31, v31
	v_cmp_gt_i64_e64 s[24:25], 0, v[3:4]
	v_not_b32_e32 v31, v4
	v_lshlrev_b32_e32 v4, 26, v23
	v_and_b32_e32 v26, v27, v26
	v_and_b32_e32 v24, v24, v28
	;; [unrolled: 8-line block ×3, first 2 shown]
	v_xor_b32_e32 v27, s25, v30
	v_xor_b32_e32 v28, s24, v30
	v_ashrrev_i32_e32 v30, 31, v31
	v_cmp_gt_i64_e64 s[24:25], 0, v[3:4]
	v_not_b32_e32 v31, v4
	v_mul_lo_u32 v25, v23, 20
	v_lshlrev_b32_e32 v4, 24, v23
	v_and_b32_e32 v23, v26, v27
	v_and_b32_e32 v24, v24, v28
	v_xor_b32_e32 v26, s27, v30
	v_xor_b32_e32 v27, s26, v30
	v_ashrrev_i32_e32 v28, 31, v31
	v_and_b32_e32 v23, v23, v26
	v_and_b32_e32 v24, v24, v27
	v_xor_b32_e32 v26, s25, v28
	v_xor_b32_e32 v27, s24, v28
	v_cmp_gt_i64_e64 s[26:27], 0, v[3:4]
	v_not_b32_e32 v4, v4
	v_and_b32_e32 v26, v23, v26
	v_and_b32_e32 v27, v24, v27
	v_ashrrev_i32_e32 v4, 31, v4
	v_xor_b32_e32 v28, s27, v4
	v_xor_b32_e32 v4, s26, v4
	v_and_b32_e32 v4, v27, v4
	v_mul_u32_u24_e32 v22, 20, v0
	ds_write2_b32 v22, v3, v3 offset0:4 offset1:5
	ds_write2_b32 v22, v3, v3 offset0:6 offset1:7
	ds_write_b32 v22, v3 offset:32
	s_waitcnt vmcnt(0) lgkmcnt(0)
	s_barrier
	; wave barrier
	v_mad_u64_u32 v[23:24], s[24:25], v6, v5, v[0:1]
	v_and_b32_e32 v5, v26, v28
	v_cmp_ne_u64_e64 s[24:25], 0, v[4:5]
	v_lshrrev_b32_e32 v6, 6, v23
	v_mbcnt_lo_u32_b32 v23, v4, 0
	v_mbcnt_hi_u32_b32 v23, v5, v23
	v_cmp_eq_u32_e64 s[26:27], 0, v23
	v_lshl_add_u32 v24, v6, 2, v25
	s_and_b64 s[26:27], s[24:25], s[26:27]
	s_and_saveexec_b64 s[24:25], s[26:27]
; %bb.26:
	v_bcnt_u32_b32 v4, v4, 0
	v_bcnt_u32_b32 v4, v5, v4
	ds_write_b32 v24, v4 offset:16
; %bb.27:
	s_or_b64 exec, exec, s[24:25]
	v_lshrrev_b32_e32 v4, s68, v7
	v_and_b32_e32 v5, s74, v4
	v_mul_lo_u32 v4, v5, 20
	v_and_b32_e32 v27, 1, v5
	; wave barrier
	v_lshl_add_u32 v26, v6, 2, v4
	v_add_co_u32_e64 v4, s[24:25], -1, v27
	v_addc_co_u32_e64 v28, s[24:25], 0, -1, s[24:25]
	v_cmp_ne_u32_e64 s[24:25], 0, v27
	v_xor_b32_e32 v4, s24, v4
	v_xor_b32_e32 v27, s25, v28
	v_and_b32_e32 v28, exec_lo, v4
	v_lshlrev_b32_e32 v4, 30, v5
	v_cmp_gt_i64_e64 s[24:25], 0, v[3:4]
	v_not_b32_e32 v4, v4
	v_ashrrev_i32_e32 v4, 31, v4
	v_xor_b32_e32 v30, s25, v4
	v_xor_b32_e32 v4, s24, v4
	v_and_b32_e32 v28, v28, v4
	v_lshlrev_b32_e32 v4, 29, v5
	v_cmp_gt_i64_e64 s[24:25], 0, v[3:4]
	v_not_b32_e32 v4, v4
	v_and_b32_e32 v27, exec_hi, v27
	v_ashrrev_i32_e32 v4, 31, v4
	v_and_b32_e32 v27, v27, v30
	v_xor_b32_e32 v30, s25, v4
	v_xor_b32_e32 v4, s24, v4
	v_and_b32_e32 v28, v28, v4
	v_lshlrev_b32_e32 v4, 28, v5
	v_cmp_gt_i64_e64 s[24:25], 0, v[3:4]
	v_not_b32_e32 v4, v4
	v_ashrrev_i32_e32 v4, 31, v4
	v_and_b32_e32 v27, v27, v30
	v_xor_b32_e32 v30, s25, v4
	v_xor_b32_e32 v4, s24, v4
	v_and_b32_e32 v28, v28, v4
	v_lshlrev_b32_e32 v4, 27, v5
	v_cmp_gt_i64_e64 s[24:25], 0, v[3:4]
	v_not_b32_e32 v4, v4
	;; [unrolled: 8-line block ×5, first 2 shown]
	v_ashrrev_i32_e32 v3, 31, v3
	v_xor_b32_e32 v4, s25, v3
	v_xor_b32_e32 v3, s24, v3
	ds_read_b32 v25, v26 offset:16
	v_and_b32_e32 v27, v27, v30
	v_and_b32_e32 v3, v28, v3
	;; [unrolled: 1-line block ×3, first 2 shown]
	v_mbcnt_lo_u32_b32 v5, v3, 0
	v_mbcnt_hi_u32_b32 v27, v4, v5
	v_cmp_ne_u64_e64 s[24:25], 0, v[3:4]
	v_cmp_eq_u32_e64 s[26:27], 0, v27
	s_and_b64 s[26:27], s[24:25], s[26:27]
	; wave barrier
	s_and_saveexec_b64 s[24:25], s[26:27]
	s_cbranch_execz .LBB97_29
; %bb.28:
	v_bcnt_u32_b32 v3, v3, 0
	v_bcnt_u32_b32 v3, v4, v3
	s_waitcnt lgkmcnt(0)
	v_add_u32_e32 v3, v25, v3
	ds_write_b32 v26, v3 offset:16
.LBB97_29:
	s_or_b64 exec, exec, s[24:25]
	v_lshrrev_b32_e32 v3, s68, v12
	v_and_b32_e32 v5, s74, v3
	v_and_b32_e32 v4, 1, v5
	v_mul_lo_u32 v3, v5, 20
	v_add_co_u32_e64 v31, s[24:25], -1, v4
	v_addc_co_u32_e64 v32, s[24:25], 0, -1, s[24:25]
	v_cmp_ne_u32_e64 s[24:25], 0, v4
	v_xor_b32_e32 v4, s25, v32
	v_lshl_add_u32 v30, v6, 2, v3
	v_mov_b32_e32 v3, 0
	v_and_b32_e32 v32, exec_hi, v4
	v_lshlrev_b32_e32 v4, 30, v5
	v_xor_b32_e32 v31, s24, v31
	v_cmp_gt_i64_e64 s[24:25], 0, v[3:4]
	v_not_b32_e32 v4, v4
	v_ashrrev_i32_e32 v4, 31, v4
	v_and_b32_e32 v31, exec_lo, v31
	v_xor_b32_e32 v33, s25, v4
	v_xor_b32_e32 v4, s24, v4
	v_and_b32_e32 v31, v31, v4
	v_lshlrev_b32_e32 v4, 29, v5
	v_cmp_gt_i64_e64 s[24:25], 0, v[3:4]
	v_not_b32_e32 v4, v4
	v_ashrrev_i32_e32 v4, 31, v4
	v_and_b32_e32 v32, v32, v33
	v_xor_b32_e32 v33, s25, v4
	v_xor_b32_e32 v4, s24, v4
	v_and_b32_e32 v31, v31, v4
	v_lshlrev_b32_e32 v4, 28, v5
	v_cmp_gt_i64_e64 s[24:25], 0, v[3:4]
	v_not_b32_e32 v4, v4
	v_ashrrev_i32_e32 v4, 31, v4
	v_and_b32_e32 v32, v32, v33
	v_xor_b32_e32 v33, s25, v4
	v_xor_b32_e32 v4, s24, v4
	v_and_b32_e32 v31, v31, v4
	v_lshlrev_b32_e32 v4, 27, v5
	v_cmp_gt_i64_e64 s[24:25], 0, v[3:4]
	v_not_b32_e32 v4, v4
	v_ashrrev_i32_e32 v4, 31, v4
	v_and_b32_e32 v32, v32, v33
	v_xor_b32_e32 v33, s25, v4
	v_xor_b32_e32 v4, s24, v4
	v_and_b32_e32 v31, v31, v4
	v_lshlrev_b32_e32 v4, 26, v5
	v_cmp_gt_i64_e64 s[24:25], 0, v[3:4]
	v_not_b32_e32 v4, v4
	v_ashrrev_i32_e32 v4, 31, v4
	v_and_b32_e32 v32, v32, v33
	v_xor_b32_e32 v33, s25, v4
	v_xor_b32_e32 v4, s24, v4
	v_and_b32_e32 v31, v31, v4
	v_lshlrev_b32_e32 v4, 25, v5
	v_cmp_gt_i64_e64 s[24:25], 0, v[3:4]
	v_not_b32_e32 v4, v4
	v_ashrrev_i32_e32 v4, 31, v4
	v_and_b32_e32 v32, v32, v33
	v_xor_b32_e32 v33, s25, v4
	v_xor_b32_e32 v4, s24, v4
	v_and_b32_e32 v31, v31, v4
	v_lshlrev_b32_e32 v4, 24, v5
	v_cmp_gt_i64_e64 s[24:25], 0, v[3:4]
	v_not_b32_e32 v4, v4
	v_ashrrev_i32_e32 v4, 31, v4
	v_xor_b32_e32 v5, s25, v4
	v_xor_b32_e32 v4, s24, v4
	; wave barrier
	ds_read_b32 v28, v30 offset:16
	v_and_b32_e32 v32, v32, v33
	v_and_b32_e32 v4, v31, v4
	;; [unrolled: 1-line block ×3, first 2 shown]
	v_mbcnt_lo_u32_b32 v31, v4, 0
	v_mbcnt_hi_u32_b32 v31, v5, v31
	v_cmp_ne_u64_e64 s[24:25], 0, v[4:5]
	v_cmp_eq_u32_e64 s[26:27], 0, v31
	s_and_b64 s[26:27], s[24:25], s[26:27]
	; wave barrier
	s_and_saveexec_b64 s[24:25], s[26:27]
	s_cbranch_execz .LBB97_31
; %bb.30:
	v_bcnt_u32_b32 v4, v4, 0
	v_bcnt_u32_b32 v4, v5, v4
	s_waitcnt lgkmcnt(0)
	v_add_u32_e32 v4, v28, v4
	ds_write_b32 v30, v4 offset:16
.LBB97_31:
	s_or_b64 exec, exec, s[24:25]
	v_lshrrev_b32_e32 v4, s68, v11
	v_and_b32_e32 v5, s74, v4
	v_mul_lo_u32 v4, v5, 20
	v_and_b32_e32 v34, 1, v5
	; wave barrier
	v_lshl_add_u32 v33, v6, 2, v4
	v_add_co_u32_e64 v4, s[24:25], -1, v34
	v_addc_co_u32_e64 v35, s[24:25], 0, -1, s[24:25]
	v_cmp_ne_u32_e64 s[24:25], 0, v34
	v_xor_b32_e32 v4, s24, v4
	v_xor_b32_e32 v34, s25, v35
	v_and_b32_e32 v35, exec_lo, v4
	v_lshlrev_b32_e32 v4, 30, v5
	v_cmp_gt_i64_e64 s[24:25], 0, v[3:4]
	v_not_b32_e32 v4, v4
	v_ashrrev_i32_e32 v4, 31, v4
	v_xor_b32_e32 v36, s25, v4
	v_xor_b32_e32 v4, s24, v4
	v_and_b32_e32 v35, v35, v4
	v_lshlrev_b32_e32 v4, 29, v5
	v_cmp_gt_i64_e64 s[24:25], 0, v[3:4]
	v_not_b32_e32 v4, v4
	v_and_b32_e32 v34, exec_hi, v34
	v_ashrrev_i32_e32 v4, 31, v4
	v_and_b32_e32 v34, v34, v36
	v_xor_b32_e32 v36, s25, v4
	v_xor_b32_e32 v4, s24, v4
	v_and_b32_e32 v35, v35, v4
	v_lshlrev_b32_e32 v4, 28, v5
	v_cmp_gt_i64_e64 s[24:25], 0, v[3:4]
	v_not_b32_e32 v4, v4
	v_ashrrev_i32_e32 v4, 31, v4
	v_and_b32_e32 v34, v34, v36
	v_xor_b32_e32 v36, s25, v4
	v_xor_b32_e32 v4, s24, v4
	v_and_b32_e32 v35, v35, v4
	v_lshlrev_b32_e32 v4, 27, v5
	v_cmp_gt_i64_e64 s[24:25], 0, v[3:4]
	v_not_b32_e32 v4, v4
	;; [unrolled: 8-line block ×5, first 2 shown]
	v_ashrrev_i32_e32 v3, 31, v3
	v_xor_b32_e32 v4, s25, v3
	v_xor_b32_e32 v3, s24, v3
	ds_read_b32 v32, v33 offset:16
	v_and_b32_e32 v34, v34, v36
	v_and_b32_e32 v3, v35, v3
	;; [unrolled: 1-line block ×3, first 2 shown]
	v_mbcnt_lo_u32_b32 v5, v3, 0
	v_mbcnt_hi_u32_b32 v34, v4, v5
	v_cmp_ne_u64_e64 s[24:25], 0, v[3:4]
	v_cmp_eq_u32_e64 s[26:27], 0, v34
	s_and_b64 s[26:27], s[24:25], s[26:27]
	; wave barrier
	s_and_saveexec_b64 s[24:25], s[26:27]
	s_cbranch_execz .LBB97_33
; %bb.32:
	v_bcnt_u32_b32 v3, v3, 0
	v_bcnt_u32_b32 v3, v4, v3
	s_waitcnt lgkmcnt(0)
	v_add_u32_e32 v3, v32, v3
	ds_write_b32 v33, v3 offset:16
.LBB97_33:
	s_or_b64 exec, exec, s[24:25]
	v_lshrrev_b32_e32 v3, s68, v14
	v_and_b32_e32 v5, s74, v3
	v_and_b32_e32 v4, 1, v5
	v_mul_lo_u32 v3, v5, 20
	v_add_co_u32_e64 v37, s[24:25], -1, v4
	v_addc_co_u32_e64 v38, s[24:25], 0, -1, s[24:25]
	v_cmp_ne_u32_e64 s[24:25], 0, v4
	v_xor_b32_e32 v4, s25, v38
	v_lshl_add_u32 v36, v6, 2, v3
	v_mov_b32_e32 v3, 0
	v_and_b32_e32 v38, exec_hi, v4
	v_lshlrev_b32_e32 v4, 30, v5
	v_xor_b32_e32 v37, s24, v37
	v_cmp_gt_i64_e64 s[24:25], 0, v[3:4]
	v_not_b32_e32 v4, v4
	v_ashrrev_i32_e32 v4, 31, v4
	v_and_b32_e32 v37, exec_lo, v37
	v_xor_b32_e32 v39, s25, v4
	v_xor_b32_e32 v4, s24, v4
	v_and_b32_e32 v37, v37, v4
	v_lshlrev_b32_e32 v4, 29, v5
	v_cmp_gt_i64_e64 s[24:25], 0, v[3:4]
	v_not_b32_e32 v4, v4
	v_ashrrev_i32_e32 v4, 31, v4
	v_and_b32_e32 v38, v38, v39
	v_xor_b32_e32 v39, s25, v4
	v_xor_b32_e32 v4, s24, v4
	v_and_b32_e32 v37, v37, v4
	v_lshlrev_b32_e32 v4, 28, v5
	v_cmp_gt_i64_e64 s[24:25], 0, v[3:4]
	v_not_b32_e32 v4, v4
	v_ashrrev_i32_e32 v4, 31, v4
	v_and_b32_e32 v38, v38, v39
	;; [unrolled: 8-line block ×5, first 2 shown]
	v_xor_b32_e32 v39, s25, v4
	v_xor_b32_e32 v4, s24, v4
	v_and_b32_e32 v37, v37, v4
	v_lshlrev_b32_e32 v4, 24, v5
	v_cmp_gt_i64_e64 s[24:25], 0, v[3:4]
	v_not_b32_e32 v4, v4
	v_ashrrev_i32_e32 v4, 31, v4
	v_xor_b32_e32 v5, s25, v4
	v_xor_b32_e32 v4, s24, v4
	; wave barrier
	ds_read_b32 v35, v36 offset:16
	v_and_b32_e32 v38, v38, v39
	v_and_b32_e32 v4, v37, v4
	;; [unrolled: 1-line block ×3, first 2 shown]
	v_mbcnt_lo_u32_b32 v37, v4, 0
	v_mbcnt_hi_u32_b32 v37, v5, v37
	v_cmp_ne_u64_e64 s[24:25], 0, v[4:5]
	v_cmp_eq_u32_e64 s[26:27], 0, v37
	s_and_b64 s[26:27], s[24:25], s[26:27]
	; wave barrier
	s_and_saveexec_b64 s[24:25], s[26:27]
	s_cbranch_execz .LBB97_35
; %bb.34:
	v_bcnt_u32_b32 v4, v4, 0
	v_bcnt_u32_b32 v4, v5, v4
	s_waitcnt lgkmcnt(0)
	v_add_u32_e32 v4, v35, v4
	ds_write_b32 v36, v4 offset:16
.LBB97_35:
	s_or_b64 exec, exec, s[24:25]
	v_lshrrev_b32_e32 v4, s68, v13
	v_and_b32_e32 v5, s74, v4
	v_mul_lo_u32 v4, v5, 20
	v_and_b32_e32 v40, 1, v5
	; wave barrier
	v_lshl_add_u32 v39, v6, 2, v4
	v_add_co_u32_e64 v4, s[24:25], -1, v40
	v_addc_co_u32_e64 v41, s[24:25], 0, -1, s[24:25]
	v_cmp_ne_u32_e64 s[24:25], 0, v40
	v_xor_b32_e32 v4, s24, v4
	v_xor_b32_e32 v40, s25, v41
	v_and_b32_e32 v41, exec_lo, v4
	v_lshlrev_b32_e32 v4, 30, v5
	v_cmp_gt_i64_e64 s[24:25], 0, v[3:4]
	v_not_b32_e32 v4, v4
	v_ashrrev_i32_e32 v4, 31, v4
	v_xor_b32_e32 v42, s25, v4
	v_xor_b32_e32 v4, s24, v4
	v_and_b32_e32 v41, v41, v4
	v_lshlrev_b32_e32 v4, 29, v5
	v_cmp_gt_i64_e64 s[24:25], 0, v[3:4]
	v_not_b32_e32 v4, v4
	v_and_b32_e32 v40, exec_hi, v40
	v_ashrrev_i32_e32 v4, 31, v4
	v_and_b32_e32 v40, v40, v42
	v_xor_b32_e32 v42, s25, v4
	v_xor_b32_e32 v4, s24, v4
	v_and_b32_e32 v41, v41, v4
	v_lshlrev_b32_e32 v4, 28, v5
	v_cmp_gt_i64_e64 s[24:25], 0, v[3:4]
	v_not_b32_e32 v4, v4
	v_ashrrev_i32_e32 v4, 31, v4
	v_and_b32_e32 v40, v40, v42
	v_xor_b32_e32 v42, s25, v4
	v_xor_b32_e32 v4, s24, v4
	v_and_b32_e32 v41, v41, v4
	v_lshlrev_b32_e32 v4, 27, v5
	v_cmp_gt_i64_e64 s[24:25], 0, v[3:4]
	v_not_b32_e32 v4, v4
	;; [unrolled: 8-line block ×5, first 2 shown]
	v_ashrrev_i32_e32 v3, 31, v3
	v_xor_b32_e32 v4, s25, v3
	v_xor_b32_e32 v3, s24, v3
	ds_read_b32 v38, v39 offset:16
	v_and_b32_e32 v40, v40, v42
	v_and_b32_e32 v3, v41, v3
	;; [unrolled: 1-line block ×3, first 2 shown]
	v_mbcnt_lo_u32_b32 v5, v3, 0
	v_mbcnt_hi_u32_b32 v45, v4, v5
	v_cmp_ne_u64_e64 s[24:25], 0, v[3:4]
	v_cmp_eq_u32_e64 s[26:27], 0, v45
	s_and_b64 s[26:27], s[24:25], s[26:27]
	; wave barrier
	s_and_saveexec_b64 s[24:25], s[26:27]
	s_cbranch_execz .LBB97_37
; %bb.36:
	v_bcnt_u32_b32 v3, v3, 0
	v_bcnt_u32_b32 v3, v4, v3
	s_waitcnt lgkmcnt(0)
	v_add_u32_e32 v3, v38, v3
	ds_write_b32 v39, v3 offset:16
.LBB97_37:
	s_or_b64 exec, exec, s[24:25]
	v_lshrrev_b32_e32 v3, s68, v16
	v_and_b32_e32 v5, s74, v3
	v_and_b32_e32 v4, 1, v5
	v_mul_lo_u32 v3, v5, 20
	v_add_co_u32_e64 v41, s[24:25], -1, v4
	v_addc_co_u32_e64 v42, s[24:25], 0, -1, s[24:25]
	v_cmp_ne_u32_e64 s[24:25], 0, v4
	v_xor_b32_e32 v4, s25, v42
	v_lshl_add_u32 v40, v6, 2, v3
	v_mov_b32_e32 v3, 0
	v_and_b32_e32 v42, exec_hi, v4
	v_lshlrev_b32_e32 v4, 30, v5
	v_xor_b32_e32 v41, s24, v41
	v_cmp_gt_i64_e64 s[24:25], 0, v[3:4]
	v_not_b32_e32 v4, v4
	v_ashrrev_i32_e32 v4, 31, v4
	v_and_b32_e32 v41, exec_lo, v41
	v_xor_b32_e32 v43, s25, v4
	v_xor_b32_e32 v4, s24, v4
	v_and_b32_e32 v41, v41, v4
	v_lshlrev_b32_e32 v4, 29, v5
	v_cmp_gt_i64_e64 s[24:25], 0, v[3:4]
	v_not_b32_e32 v4, v4
	v_ashrrev_i32_e32 v4, 31, v4
	v_and_b32_e32 v42, v42, v43
	v_xor_b32_e32 v43, s25, v4
	v_xor_b32_e32 v4, s24, v4
	v_and_b32_e32 v41, v41, v4
	v_lshlrev_b32_e32 v4, 28, v5
	v_cmp_gt_i64_e64 s[24:25], 0, v[3:4]
	v_not_b32_e32 v4, v4
	v_ashrrev_i32_e32 v4, 31, v4
	v_and_b32_e32 v42, v42, v43
	;; [unrolled: 8-line block ×5, first 2 shown]
	v_xor_b32_e32 v43, s25, v4
	v_xor_b32_e32 v4, s24, v4
	v_and_b32_e32 v41, v41, v4
	v_lshlrev_b32_e32 v4, 24, v5
	v_cmp_gt_i64_e64 s[24:25], 0, v[3:4]
	v_not_b32_e32 v4, v4
	v_ashrrev_i32_e32 v4, 31, v4
	v_xor_b32_e32 v5, s25, v4
	v_xor_b32_e32 v4, s24, v4
	; wave barrier
	ds_read_b32 v46, v40 offset:16
	v_and_b32_e32 v42, v42, v43
	v_and_b32_e32 v4, v41, v4
	;; [unrolled: 1-line block ×3, first 2 shown]
	v_mbcnt_lo_u32_b32 v41, v4, 0
	v_mbcnt_hi_u32_b32 v47, v5, v41
	v_cmp_ne_u64_e64 s[24:25], 0, v[4:5]
	v_cmp_eq_u32_e64 s[26:27], 0, v47
	s_and_b64 s[26:27], s[24:25], s[26:27]
	; wave barrier
	s_and_saveexec_b64 s[24:25], s[26:27]
	s_cbranch_execz .LBB97_39
; %bb.38:
	v_bcnt_u32_b32 v4, v4, 0
	v_bcnt_u32_b32 v4, v5, v4
	s_waitcnt lgkmcnt(0)
	v_add_u32_e32 v4, v46, v4
	ds_write_b32 v40, v4 offset:16
.LBB97_39:
	s_or_b64 exec, exec, s[24:25]
	v_lshrrev_b32_e32 v4, s68, v15
	v_and_b32_e32 v5, s74, v4
	v_mul_lo_u32 v4, v5, 20
	v_and_b32_e32 v42, 1, v5
	; wave barrier
	v_lshl_add_u32 v41, v6, 2, v4
	v_add_co_u32_e64 v4, s[24:25], -1, v42
	v_addc_co_u32_e64 v43, s[24:25], 0, -1, s[24:25]
	v_cmp_ne_u32_e64 s[24:25], 0, v42
	v_xor_b32_e32 v4, s24, v4
	v_xor_b32_e32 v42, s25, v43
	v_and_b32_e32 v43, exec_lo, v4
	v_lshlrev_b32_e32 v4, 30, v5
	v_cmp_gt_i64_e64 s[24:25], 0, v[3:4]
	v_not_b32_e32 v4, v4
	v_ashrrev_i32_e32 v4, 31, v4
	v_xor_b32_e32 v44, s25, v4
	v_xor_b32_e32 v4, s24, v4
	v_and_b32_e32 v43, v43, v4
	v_lshlrev_b32_e32 v4, 29, v5
	v_cmp_gt_i64_e64 s[24:25], 0, v[3:4]
	v_not_b32_e32 v4, v4
	v_and_b32_e32 v42, exec_hi, v42
	v_ashrrev_i32_e32 v4, 31, v4
	v_and_b32_e32 v42, v42, v44
	v_xor_b32_e32 v44, s25, v4
	v_xor_b32_e32 v4, s24, v4
	v_and_b32_e32 v43, v43, v4
	v_lshlrev_b32_e32 v4, 28, v5
	v_cmp_gt_i64_e64 s[24:25], 0, v[3:4]
	v_not_b32_e32 v4, v4
	v_ashrrev_i32_e32 v4, 31, v4
	v_and_b32_e32 v42, v42, v44
	v_xor_b32_e32 v44, s25, v4
	v_xor_b32_e32 v4, s24, v4
	v_and_b32_e32 v43, v43, v4
	v_lshlrev_b32_e32 v4, 27, v5
	v_cmp_gt_i64_e64 s[24:25], 0, v[3:4]
	v_not_b32_e32 v4, v4
	;; [unrolled: 8-line block ×5, first 2 shown]
	v_ashrrev_i32_e32 v3, 31, v3
	v_xor_b32_e32 v4, s25, v3
	v_xor_b32_e32 v3, s24, v3
	ds_read_b32 v48, v41 offset:16
	v_and_b32_e32 v42, v42, v44
	v_and_b32_e32 v3, v43, v3
	;; [unrolled: 1-line block ×3, first 2 shown]
	v_mbcnt_lo_u32_b32 v5, v3, 0
	v_mbcnt_hi_u32_b32 v49, v4, v5
	v_cmp_ne_u64_e64 s[24:25], 0, v[3:4]
	v_cmp_eq_u32_e64 s[26:27], 0, v49
	s_and_b64 s[26:27], s[24:25], s[26:27]
	; wave barrier
	s_and_saveexec_b64 s[24:25], s[26:27]
	s_cbranch_execz .LBB97_41
; %bb.40:
	v_bcnt_u32_b32 v3, v3, 0
	v_bcnt_u32_b32 v3, v4, v3
	s_waitcnt lgkmcnt(0)
	v_add_u32_e32 v3, v48, v3
	ds_write_b32 v41, v3 offset:16
.LBB97_41:
	s_or_b64 exec, exec, s[24:25]
	v_lshrrev_b32_e32 v3, s68, v18
	v_and_b32_e32 v5, s74, v3
	v_and_b32_e32 v4, 1, v5
	v_mul_lo_u32 v3, v5, 20
	v_add_co_u32_e64 v43, s[24:25], -1, v4
	v_addc_co_u32_e64 v44, s[24:25], 0, -1, s[24:25]
	v_cmp_ne_u32_e64 s[24:25], 0, v4
	v_xor_b32_e32 v4, s25, v44
	v_lshl_add_u32 v42, v6, 2, v3
	v_mov_b32_e32 v3, 0
	v_and_b32_e32 v44, exec_hi, v4
	v_lshlrev_b32_e32 v4, 30, v5
	v_xor_b32_e32 v43, s24, v43
	v_cmp_gt_i64_e64 s[24:25], 0, v[3:4]
	v_not_b32_e32 v4, v4
	v_ashrrev_i32_e32 v4, 31, v4
	v_and_b32_e32 v43, exec_lo, v43
	v_xor_b32_e32 v51, s25, v4
	v_xor_b32_e32 v4, s24, v4
	v_and_b32_e32 v43, v43, v4
	v_lshlrev_b32_e32 v4, 29, v5
	v_cmp_gt_i64_e64 s[24:25], 0, v[3:4]
	v_not_b32_e32 v4, v4
	v_ashrrev_i32_e32 v4, 31, v4
	v_and_b32_e32 v44, v44, v51
	v_xor_b32_e32 v51, s25, v4
	v_xor_b32_e32 v4, s24, v4
	v_and_b32_e32 v43, v43, v4
	v_lshlrev_b32_e32 v4, 28, v5
	v_cmp_gt_i64_e64 s[24:25], 0, v[3:4]
	v_not_b32_e32 v4, v4
	v_ashrrev_i32_e32 v4, 31, v4
	v_and_b32_e32 v44, v44, v51
	;; [unrolled: 8-line block ×5, first 2 shown]
	v_xor_b32_e32 v51, s25, v4
	v_xor_b32_e32 v4, s24, v4
	v_and_b32_e32 v43, v43, v4
	v_lshlrev_b32_e32 v4, 24, v5
	v_cmp_gt_i64_e64 s[24:25], 0, v[3:4]
	v_not_b32_e32 v4, v4
	v_ashrrev_i32_e32 v4, 31, v4
	v_xor_b32_e32 v5, s25, v4
	v_xor_b32_e32 v4, s24, v4
	; wave barrier
	ds_read_b32 v50, v42 offset:16
	v_and_b32_e32 v44, v44, v51
	v_and_b32_e32 v4, v43, v4
	;; [unrolled: 1-line block ×3, first 2 shown]
	v_mbcnt_lo_u32_b32 v43, v4, 0
	v_mbcnt_hi_u32_b32 v51, v5, v43
	v_cmp_ne_u64_e64 s[24:25], 0, v[4:5]
	v_cmp_eq_u32_e64 s[26:27], 0, v51
	s_and_b64 s[26:27], s[24:25], s[26:27]
	; wave barrier
	s_and_saveexec_b64 s[24:25], s[26:27]
	s_cbranch_execz .LBB97_43
; %bb.42:
	v_bcnt_u32_b32 v4, v4, 0
	v_bcnt_u32_b32 v4, v5, v4
	s_waitcnt lgkmcnt(0)
	v_add_u32_e32 v4, v50, v4
	ds_write_b32 v42, v4 offset:16
.LBB97_43:
	s_or_b64 exec, exec, s[24:25]
	v_lshrrev_b32_e32 v4, s68, v17
	v_and_b32_e32 v5, s74, v4
	v_mul_lo_u32 v4, v5, 20
	v_and_b32_e32 v44, 1, v5
	; wave barrier
	v_lshl_add_u32 v43, v6, 2, v4
	v_add_co_u32_e64 v4, s[24:25], -1, v44
	v_addc_co_u32_e64 v53, s[24:25], 0, -1, s[24:25]
	v_cmp_ne_u32_e64 s[24:25], 0, v44
	v_xor_b32_e32 v4, s24, v4
	v_xor_b32_e32 v44, s25, v53
	v_and_b32_e32 v53, exec_lo, v4
	v_lshlrev_b32_e32 v4, 30, v5
	v_cmp_gt_i64_e64 s[24:25], 0, v[3:4]
	v_not_b32_e32 v4, v4
	v_ashrrev_i32_e32 v4, 31, v4
	v_xor_b32_e32 v54, s25, v4
	v_xor_b32_e32 v4, s24, v4
	v_and_b32_e32 v53, v53, v4
	v_lshlrev_b32_e32 v4, 29, v5
	v_cmp_gt_i64_e64 s[24:25], 0, v[3:4]
	v_not_b32_e32 v4, v4
	v_and_b32_e32 v44, exec_hi, v44
	v_ashrrev_i32_e32 v4, 31, v4
	v_and_b32_e32 v44, v44, v54
	v_xor_b32_e32 v54, s25, v4
	v_xor_b32_e32 v4, s24, v4
	v_and_b32_e32 v53, v53, v4
	v_lshlrev_b32_e32 v4, 28, v5
	v_cmp_gt_i64_e64 s[24:25], 0, v[3:4]
	v_not_b32_e32 v4, v4
	v_ashrrev_i32_e32 v4, 31, v4
	v_and_b32_e32 v44, v44, v54
	v_xor_b32_e32 v54, s25, v4
	v_xor_b32_e32 v4, s24, v4
	v_and_b32_e32 v53, v53, v4
	v_lshlrev_b32_e32 v4, 27, v5
	v_cmp_gt_i64_e64 s[24:25], 0, v[3:4]
	v_not_b32_e32 v4, v4
	;; [unrolled: 8-line block ×5, first 2 shown]
	v_ashrrev_i32_e32 v3, 31, v3
	v_xor_b32_e32 v4, s25, v3
	v_xor_b32_e32 v3, s24, v3
	ds_read_b32 v52, v43 offset:16
	v_and_b32_e32 v44, v44, v54
	v_and_b32_e32 v3, v53, v3
	;; [unrolled: 1-line block ×3, first 2 shown]
	v_mbcnt_lo_u32_b32 v5, v3, 0
	v_mbcnt_hi_u32_b32 v53, v4, v5
	v_cmp_ne_u64_e64 s[24:25], 0, v[3:4]
	v_cmp_eq_u32_e64 s[26:27], 0, v53
	s_and_b64 s[26:27], s[24:25], s[26:27]
	; wave barrier
	s_and_saveexec_b64 s[24:25], s[26:27]
	s_cbranch_execz .LBB97_45
; %bb.44:
	v_bcnt_u32_b32 v3, v3, 0
	v_bcnt_u32_b32 v3, v4, v3
	s_waitcnt lgkmcnt(0)
	v_add_u32_e32 v3, v52, v3
	ds_write_b32 v43, v3 offset:16
.LBB97_45:
	s_or_b64 exec, exec, s[24:25]
	v_lshrrev_b32_e32 v3, s68, v21
	v_and_b32_e32 v5, s74, v3
	v_and_b32_e32 v4, 1, v5
	v_mul_lo_u32 v3, v5, 20
	v_add_co_u32_e64 v55, s[24:25], -1, v4
	v_addc_co_u32_e64 v56, s[24:25], 0, -1, s[24:25]
	v_cmp_ne_u32_e64 s[24:25], 0, v4
	v_xor_b32_e32 v4, s25, v56
	v_lshl_add_u32 v44, v6, 2, v3
	v_mov_b32_e32 v3, 0
	v_and_b32_e32 v56, exec_hi, v4
	v_lshlrev_b32_e32 v4, 30, v5
	v_xor_b32_e32 v55, s24, v55
	v_cmp_gt_i64_e64 s[24:25], 0, v[3:4]
	v_not_b32_e32 v4, v4
	v_ashrrev_i32_e32 v4, 31, v4
	v_and_b32_e32 v55, exec_lo, v55
	v_xor_b32_e32 v57, s25, v4
	v_xor_b32_e32 v4, s24, v4
	v_and_b32_e32 v55, v55, v4
	v_lshlrev_b32_e32 v4, 29, v5
	v_cmp_gt_i64_e64 s[24:25], 0, v[3:4]
	v_not_b32_e32 v4, v4
	v_ashrrev_i32_e32 v4, 31, v4
	v_and_b32_e32 v56, v56, v57
	v_xor_b32_e32 v57, s25, v4
	v_xor_b32_e32 v4, s24, v4
	v_and_b32_e32 v55, v55, v4
	v_lshlrev_b32_e32 v4, 28, v5
	v_cmp_gt_i64_e64 s[24:25], 0, v[3:4]
	v_not_b32_e32 v4, v4
	v_ashrrev_i32_e32 v4, 31, v4
	v_and_b32_e32 v56, v56, v57
	;; [unrolled: 8-line block ×5, first 2 shown]
	v_xor_b32_e32 v57, s25, v4
	v_xor_b32_e32 v4, s24, v4
	v_and_b32_e32 v55, v55, v4
	v_lshlrev_b32_e32 v4, 24, v5
	v_cmp_gt_i64_e64 s[24:25], 0, v[3:4]
	v_not_b32_e32 v4, v4
	v_ashrrev_i32_e32 v4, 31, v4
	v_xor_b32_e32 v5, s25, v4
	v_xor_b32_e32 v4, s24, v4
	; wave barrier
	ds_read_b32 v54, v44 offset:16
	v_and_b32_e32 v56, v56, v57
	v_and_b32_e32 v4, v55, v4
	;; [unrolled: 1-line block ×3, first 2 shown]
	v_mbcnt_lo_u32_b32 v55, v4, 0
	v_mbcnt_hi_u32_b32 v55, v5, v55
	v_cmp_ne_u64_e64 s[24:25], 0, v[4:5]
	v_cmp_eq_u32_e64 s[26:27], 0, v55
	s_and_b64 s[26:27], s[24:25], s[26:27]
	; wave barrier
	s_and_saveexec_b64 s[24:25], s[26:27]
	s_cbranch_execz .LBB97_47
; %bb.46:
	v_bcnt_u32_b32 v4, v4, 0
	v_bcnt_u32_b32 v4, v5, v4
	s_waitcnt lgkmcnt(0)
	v_add_u32_e32 v4, v54, v4
	ds_write_b32 v44, v4 offset:16
.LBB97_47:
	s_or_b64 exec, exec, s[24:25]
	v_lshrrev_b32_e32 v4, s68, v20
	v_and_b32_e32 v5, s74, v4
	v_mul_lo_u32 v4, v5, 20
	v_and_b32_e32 v58, 1, v5
	; wave barrier
	v_lshl_add_u32 v57, v6, 2, v4
	v_add_co_u32_e64 v4, s[24:25], -1, v58
	v_addc_co_u32_e64 v6, s[24:25], 0, -1, s[24:25]
	v_cmp_ne_u32_e64 s[24:25], 0, v58
	v_xor_b32_e32 v4, s24, v4
	v_and_b32_e32 v58, exec_lo, v4
	v_lshlrev_b32_e32 v4, 30, v5
	v_xor_b32_e32 v6, s25, v6
	v_cmp_gt_i64_e64 s[24:25], 0, v[3:4]
	v_not_b32_e32 v4, v4
	v_ashrrev_i32_e32 v4, 31, v4
	v_xor_b32_e32 v59, s25, v4
	v_xor_b32_e32 v4, s24, v4
	v_and_b32_e32 v58, v58, v4
	v_lshlrev_b32_e32 v4, 29, v5
	v_cmp_gt_i64_e64 s[24:25], 0, v[3:4]
	v_not_b32_e32 v4, v4
	v_and_b32_e32 v6, exec_hi, v6
	v_ashrrev_i32_e32 v4, 31, v4
	v_and_b32_e32 v6, v6, v59
	v_xor_b32_e32 v59, s25, v4
	v_xor_b32_e32 v4, s24, v4
	v_and_b32_e32 v58, v58, v4
	v_lshlrev_b32_e32 v4, 28, v5
	v_cmp_gt_i64_e64 s[24:25], 0, v[3:4]
	v_not_b32_e32 v4, v4
	v_ashrrev_i32_e32 v4, 31, v4
	v_and_b32_e32 v6, v6, v59
	v_xor_b32_e32 v59, s25, v4
	v_xor_b32_e32 v4, s24, v4
	v_and_b32_e32 v58, v58, v4
	v_lshlrev_b32_e32 v4, 27, v5
	v_cmp_gt_i64_e64 s[24:25], 0, v[3:4]
	v_not_b32_e32 v4, v4
	;; [unrolled: 8-line block ×5, first 2 shown]
	v_ashrrev_i32_e32 v3, 31, v3
	v_xor_b32_e32 v4, s25, v3
	v_xor_b32_e32 v3, s24, v3
	ds_read_b32 v56, v57 offset:16
	v_and_b32_e32 v6, v6, v59
	v_and_b32_e32 v3, v58, v3
	;; [unrolled: 1-line block ×3, first 2 shown]
	v_mbcnt_lo_u32_b32 v5, v3, 0
	v_mbcnt_hi_u32_b32 v58, v4, v5
	v_cmp_ne_u64_e64 s[24:25], 0, v[3:4]
	v_cmp_eq_u32_e64 s[26:27], 0, v58
	s_and_b64 s[26:27], s[24:25], s[26:27]
	; wave barrier
	s_and_saveexec_b64 s[24:25], s[26:27]
	s_cbranch_execz .LBB97_49
; %bb.48:
	v_bcnt_u32_b32 v3, v3, 0
	v_bcnt_u32_b32 v3, v4, v3
	s_waitcnt lgkmcnt(0)
	v_add_u32_e32 v3, v56, v3
	ds_write_b32 v57, v3 offset:16
.LBB97_49:
	s_or_b64 exec, exec, s[24:25]
	; wave barrier
	s_waitcnt lgkmcnt(0)
	s_barrier
	ds_read2_b32 v[5:6], v22 offset0:4 offset1:5
	ds_read2_b32 v[3:4], v22 offset0:6 offset1:7
	ds_read_b32 v59, v22 offset:32
	v_min_u32_e32 v19, 0xc0, v19
	v_or_b32_e32 v19, 63, v19
	s_waitcnt lgkmcnt(1)
	v_add3_u32 v60, v6, v5, v3
	s_waitcnt lgkmcnt(0)
	v_add3_u32 v59, v60, v4, v59
	v_and_b32_e32 v60, 15, v10
	v_cmp_ne_u32_e64 s[24:25], 0, v60
	v_mov_b32_dpp v61, v59 row_shr:1 row_mask:0xf bank_mask:0xf
	v_cndmask_b32_e64 v61, 0, v61, s[24:25]
	v_add_u32_e32 v59, v61, v59
	v_cmp_lt_u32_e64 s[24:25], 1, v60
	s_nop 0
	v_mov_b32_dpp v61, v59 row_shr:2 row_mask:0xf bank_mask:0xf
	v_cndmask_b32_e64 v61, 0, v61, s[24:25]
	v_add_u32_e32 v59, v59, v61
	v_cmp_lt_u32_e64 s[24:25], 3, v60
	s_nop 0
	;; [unrolled: 5-line block ×3, first 2 shown]
	v_mov_b32_dpp v61, v59 row_shr:8 row_mask:0xf bank_mask:0xf
	v_cndmask_b32_e64 v60, 0, v61, s[24:25]
	v_add_u32_e32 v59, v59, v60
	v_bfe_i32 v61, v10, 4, 1
	v_cmp_lt_u32_e64 s[24:25], 31, v10
	v_mov_b32_dpp v60, v59 row_bcast:15 row_mask:0xf bank_mask:0xf
	v_and_b32_e32 v60, v61, v60
	v_add_u32_e32 v59, v59, v60
	s_nop 1
	v_mov_b32_dpp v60, v59 row_bcast:31 row_mask:0xf bank_mask:0xf
	v_cndmask_b32_e64 v60, 0, v60, s[24:25]
	v_add_u32_e32 v59, v59, v60
	v_lshrrev_b32_e32 v60, 6, v0
	v_cmp_eq_u32_e64 s[24:25], v0, v19
	s_and_saveexec_b64 s[26:27], s[24:25]
; %bb.50:
	v_lshlrev_b32_e32 v19, 2, v60
	ds_write_b32 v19, v59
; %bb.51:
	s_or_b64 exec, exec, s[26:27]
	v_cmp_gt_u32_e64 s[24:25], 4, v0
	s_waitcnt lgkmcnt(0)
	s_barrier
	s_and_saveexec_b64 s[26:27], s[24:25]
	s_cbranch_execz .LBB97_53
; %bb.52:
	v_lshlrev_b32_e32 v19, 2, v0
	ds_read_b32 v61, v19
	v_and_b32_e32 v62, 3, v10
	v_cmp_ne_u32_e64 s[24:25], 0, v62
	s_waitcnt lgkmcnt(0)
	v_mov_b32_dpp v63, v61 row_shr:1 row_mask:0xf bank_mask:0xf
	v_cndmask_b32_e64 v63, 0, v63, s[24:25]
	v_add_u32_e32 v61, v63, v61
	v_cmp_lt_u32_e64 s[24:25], 1, v62
	s_nop 0
	v_mov_b32_dpp v63, v61 row_shr:2 row_mask:0xf bank_mask:0xf
	v_cndmask_b32_e64 v62, 0, v63, s[24:25]
	v_add_u32_e32 v61, v61, v62
	ds_write_b32 v19, v61
.LBB97_53:
	s_or_b64 exec, exec, s[26:27]
	v_cmp_lt_u32_e64 s[24:25], 63, v0
	v_mov_b32_e32 v19, 0
	s_waitcnt lgkmcnt(0)
	s_barrier
	s_and_saveexec_b64 s[26:27], s[24:25]
; %bb.54:
	v_lshl_add_u32 v19, v60, 2, -4
	ds_read_b32 v19, v19
; %bb.55:
	s_or_b64 exec, exec, s[26:27]
	v_add_u32_e32 v60, -1, v10
	v_and_b32_e32 v61, 64, v10
	v_cmp_lt_i32_e64 s[24:25], v60, v61
	v_cndmask_b32_e64 v60, v60, v10, s[24:25]
	s_waitcnt lgkmcnt(0)
	v_add_u32_e32 v59, v19, v59
	v_lshlrev_b32_e32 v60, 2, v60
	ds_bpermute_b32 v59, v60, v59
	v_cmp_eq_u32_e64 s[24:25], 0, v10
	s_waitcnt lgkmcnt(0)
	v_cndmask_b32_e64 v19, v59, v19, s[24:25]
	v_cmp_ne_u32_e64 s[24:25], 0, v0
	v_cndmask_b32_e64 v19, 0, v19, s[24:25]
	v_add_u32_e32 v5, v19, v5
	v_add_u32_e32 v6, v5, v6
	v_add_u32_e32 v3, v6, v3
	v_add_u32_e32 v4, v3, v4
	ds_write2_b32 v22, v19, v5 offset0:4 offset1:5
	ds_write2_b32 v22, v6, v3 offset0:6 offset1:7
	ds_write_b32 v22, v4 offset:32
	s_waitcnt lgkmcnt(0)
	s_barrier
	ds_read_b32 v4, v41 offset:16
	ds_read_b32 v5, v42 offset:16
	;; [unrolled: 1-line block ×13, first 2 shown]
	v_add_u32_e32 v22, 1, v0
	s_movk_i32 s24, 0x100
	v_cmp_ne_u32_e64 s[24:25], s24, v22
	v_mov_b32_e32 v3, 0xc00
	s_and_saveexec_b64 s[26:27], s[24:25]
; %bb.56:
	v_mul_u32_u24_e32 v3, 20, v22
	ds_read_b32 v3, v3 offset:16
; %bb.57:
	s_or_b64 exec, exec, s[26:27]
	s_waitcnt lgkmcnt(7)
	v_add_u32_e32 v44, v24, v23
	s_waitcnt lgkmcnt(6)
	v_add3_u32 v43, v27, v25, v26
	s_waitcnt lgkmcnt(3)
	v_add3_u32 v40, v37, v35, v36
	v_add3_u32 v37, v49, v48, v4
	v_lshlrev_b32_e32 v4, 2, v44
	v_add3_u32 v42, v31, v28, v41
	s_waitcnt lgkmcnt(0)
	s_barrier
	ds_write_b32 v4, v8 offset:2048
	v_lshlrev_b32_e32 v4, 2, v43
	v_add3_u32 v41, v34, v32, v33
	ds_write_b32 v4, v7 offset:2048
	v_lshlrev_b32_e32 v4, 2, v42
	ds_write_b32 v4, v12 offset:2048
	v_lshlrev_b32_e32 v4, 2, v41
	v_add3_u32 v39, v45, v38, v39
	ds_write_b32 v4, v11 offset:2048
	v_lshlrev_b32_e32 v4, 2, v40
	v_add3_u32 v38, v47, v46, v59
	ds_write_b32 v4, v14 offset:2048
	v_lshlrev_b32_e32 v4, 2, v39
	ds_write_b32 v4, v13 offset:2048
	v_lshlrev_b32_e32 v4, 2, v38
	v_add3_u32 v36, v51, v50, v5
	ds_write_b32 v4, v16 offset:2048
	v_lshlrev_b32_e32 v4, 2, v37
	v_add3_u32 v35, v53, v52, v6
	;; [unrolled: 3-line block ×4, first 2 shown]
	ds_write_b32 v4, v17 offset:2048
	v_lshlrev_b32_e32 v4, 2, v34
	ds_write_b32 v4, v21 offset:2048
	v_lshlrev_b32_e32 v4, 2, v33
	ds_write_b32 v4, v20 offset:2048
	v_sub_u32_e32 v31, v3, v30
	v_lshl_or_b32 v3, s6, 8, v0
	v_mov_b32_e32 v4, 0
	v_lshlrev_b64 v[5:6], 2, v[3:4]
	v_mov_b32_e32 v11, s73
	v_add_co_u32_e64 v5, s[24:25], s72, v5
	v_addc_co_u32_e64 v6, s[24:25], v11, v6, s[24:25]
	v_or_b32_e32 v3, 2.0, v31
	s_mov_b64 s[26:27], 0
	s_brev_b32 s34, -4
	s_mov_b32 s35, s7
	v_mov_b32_e32 v12, 0
	s_waitcnt lgkmcnt(0)
	s_barrier
	global_store_dword v[5:6], v3, off
                                        ; implicit-def: $sgpr24_sgpr25
	s_branch .LBB97_60
.LBB97_58:                              ;   in Loop: Header=BB97_60 Depth=1
	s_or_b64 exec, exec, s[30:31]
.LBB97_59:                              ;   in Loop: Header=BB97_60 Depth=1
	s_or_b64 exec, exec, s[28:29]
	v_and_b32_e32 v7, 0x3fffffff, v3
	v_add_u32_e32 v12, v7, v12
	v_cmp_gt_i32_e64 s[24:25], -2.0, v3
	s_and_b64 s[28:29], exec, s[24:25]
	s_or_b64 s[26:27], s[28:29], s[26:27]
	s_andn2_b64 exec, exec, s[26:27]
	s_cbranch_execz .LBB97_65
.LBB97_60:                              ; =>This Loop Header: Depth=1
                                        ;     Child Loop BB97_63 Depth 2
	s_or_b64 s[24:25], s[24:25], exec
	s_cmp_eq_u32 s35, 0
	s_cbranch_scc1 .LBB97_64
; %bb.61:                               ;   in Loop: Header=BB97_60 Depth=1
	s_add_i32 s35, s35, -1
	v_lshl_or_b32 v3, s35, 8, v0
	v_lshlrev_b64 v[7:8], 2, v[3:4]
	v_add_co_u32_e64 v7, s[24:25], s72, v7
	v_addc_co_u32_e64 v8, s[24:25], v11, v8, s[24:25]
	global_load_dword v3, v[7:8], off glc
	s_waitcnt vmcnt(0)
	v_cmp_gt_u32_e64 s[24:25], 2.0, v3
	s_and_saveexec_b64 s[28:29], s[24:25]
	s_cbranch_execz .LBB97_59
; %bb.62:                               ;   in Loop: Header=BB97_60 Depth=1
	s_mov_b64 s[30:31], 0
.LBB97_63:                              ;   Parent Loop BB97_60 Depth=1
                                        ; =>  This Inner Loop Header: Depth=2
	global_load_dword v3, v[7:8], off glc
	s_waitcnt vmcnt(0)
	v_cmp_lt_u32_e64 s[24:25], s34, v3
	s_or_b64 s[30:31], s[24:25], s[30:31]
	s_andn2_b64 exec, exec, s[30:31]
	s_cbranch_execnz .LBB97_63
	s_branch .LBB97_58
.LBB97_64:                              ;   in Loop: Header=BB97_60 Depth=1
                                        ; implicit-def: $sgpr35
	s_and_b64 s[28:29], exec, s[24:25]
	s_or_b64 s[26:27], s[28:29], s[26:27]
	s_andn2_b64 exec, exec, s[26:27]
	s_cbranch_execnz .LBB97_60
.LBB97_65:
	s_or_b64 exec, exec, s[26:27]
	v_add_u32_e32 v3, v12, v31
	v_or_b32_e32 v3, 0x80000000, v3
	v_lshlrev_b32_e32 v32, 3, v0
	global_store_dword v[5:6], v3, off
	global_load_dwordx2 v[3:4], v32, s[64:65]
	v_sub_co_u32_e64 v5, s[24:25], v12, v30
	v_subb_co_u32_e64 v6, s[24:25], 0, 0, s[24:25]
	s_waitcnt vmcnt(0)
	v_add_co_u32_e64 v3, s[24:25], v5, v3
	v_addc_co_u32_e64 v4, s[24:25], v6, v4, s[24:25]
	v_cmp_gt_u32_e64 s[24:25], s70, v0
	ds_write_b64 v32, v[3:4]
	s_waitcnt lgkmcnt(0)
	s_barrier
	s_and_saveexec_b64 s[28:29], s[24:25]
	s_cbranch_execz .LBB97_67
; %bb.66:
	v_lshlrev_b32_e32 v5, 2, v0
	v_sub_u32_e32 v3, v32, v5
	ds_read_b32 v6, v3 offset:2048
	v_mov_b32_e32 v7, s59
	s_waitcnt lgkmcnt(0)
	v_lshrrev_b32_e32 v3, s68, v6
	v_and_b32_e32 v3, s74, v3
	v_lshlrev_b32_e32 v3, 3, v3
	ds_read_b64 v[3:4], v3
	v_xor_b32_e32 v6, 0x80000000, v6
	s_waitcnt lgkmcnt(0)
	v_lshlrev_b64 v[3:4], 2, v[3:4]
	v_add_co_u32_e64 v3, s[26:27], s58, v3
	v_addc_co_u32_e64 v4, s[26:27], v7, v4, s[26:27]
	v_add_co_u32_e64 v3, s[26:27], v3, v5
	v_addc_co_u32_e64 v4, s[26:27], 0, v4, s[26:27]
	global_store_dword v[3:4], v6, off
.LBB97_67:
	s_or_b64 exec, exec, s[28:29]
	v_or_b32_e32 v3, 0x100, v0
	v_cmp_gt_u32_e64 s[26:27], s70, v3
	s_and_saveexec_b64 s[30:31], s[26:27]
	s_cbranch_execz .LBB97_69
; %bb.68:
	v_lshlrev_b32_e32 v5, 2, v0
	v_sub_u32_e32 v3, v32, v5
	ds_read_b32 v6, v3 offset:3072
	v_mov_b32_e32 v7, s59
	s_waitcnt lgkmcnt(0)
	v_lshrrev_b32_e32 v3, s68, v6
	v_and_b32_e32 v3, s74, v3
	v_lshlrev_b32_e32 v3, 3, v3
	ds_read_b64 v[3:4], v3
	v_xor_b32_e32 v6, 0x80000000, v6
	s_waitcnt lgkmcnt(0)
	v_lshlrev_b64 v[3:4], 2, v[3:4]
	v_add_co_u32_e64 v3, s[28:29], s58, v3
	v_addc_co_u32_e64 v4, s[28:29], v7, v4, s[28:29]
	v_add_co_u32_e64 v3, s[28:29], v3, v5
	v_addc_co_u32_e64 v4, s[28:29], 0, v4, s[28:29]
	global_store_dword v[3:4], v6, off offset:1024
.LBB97_69:
	s_or_b64 exec, exec, s[30:31]
	v_or_b32_e32 v45, 0x200, v0
	v_cmp_gt_u32_e64 s[28:29], s70, v45
	s_and_saveexec_b64 s[34:35], s[28:29]
	s_cbranch_execz .LBB97_71
; %bb.70:
	v_lshlrev_b32_e32 v5, 2, v0
	v_sub_u32_e32 v3, v32, v5
	ds_read_b32 v6, v3 offset:4096
	v_mov_b32_e32 v7, s59
	s_waitcnt lgkmcnt(0)
	v_lshrrev_b32_e32 v3, s68, v6
	v_and_b32_e32 v3, s74, v3
	v_lshlrev_b32_e32 v3, 3, v3
	ds_read_b64 v[3:4], v3
	v_xor_b32_e32 v6, 0x80000000, v6
	s_waitcnt lgkmcnt(0)
	v_lshlrev_b64 v[3:4], 2, v[3:4]
	v_add_co_u32_e64 v3, s[30:31], s58, v3
	v_addc_co_u32_e64 v4, s[30:31], v7, v4, s[30:31]
	v_add_co_u32_e64 v3, s[30:31], v3, v5
	v_addc_co_u32_e64 v4, s[30:31], 0, v4, s[30:31]
	global_store_dword v[3:4], v6, off offset:2048
.LBB97_71:
	;; [unrolled: 24-line block ×3, first 2 shown]
	s_or_b64 exec, exec, s[36:37]
	v_or_b32_e32 v47, 0x400, v0
	v_cmp_gt_u32_e64 s[34:35], s70, v47
	s_and_saveexec_b64 s[38:39], s[34:35]
	s_cbranch_execz .LBB97_75
; %bb.74:
	v_lshlrev_b32_e32 v3, 2, v0
	v_sub_u32_e32 v3, v32, v3
	ds_read_b32 v5, v3 offset:6144
	v_mov_b32_e32 v6, s59
	v_lshlrev_b32_e32 v7, 2, v47
	s_waitcnt lgkmcnt(0)
	v_lshrrev_b32_e32 v3, s68, v5
	v_and_b32_e32 v3, s74, v3
	v_lshlrev_b32_e32 v3, 3, v3
	ds_read_b64 v[3:4], v3
	v_xor_b32_e32 v5, 0x80000000, v5
	s_waitcnt lgkmcnt(0)
	v_lshlrev_b64 v[3:4], 2, v[3:4]
	v_add_co_u32_e64 v3, s[36:37], s58, v3
	v_addc_co_u32_e64 v4, s[36:37], v6, v4, s[36:37]
	v_add_co_u32_e64 v3, s[36:37], v3, v7
	v_addc_co_u32_e64 v4, s[36:37], 0, v4, s[36:37]
	global_store_dword v[3:4], v5, off
.LBB97_75:
	s_or_b64 exec, exec, s[38:39]
	v_or_b32_e32 v48, 0x500, v0
	v_cmp_gt_u32_e64 s[36:37], s70, v48
	s_and_saveexec_b64 s[40:41], s[36:37]
	s_cbranch_execz .LBB97_77
; %bb.76:
	v_lshlrev_b32_e32 v3, 2, v0
	v_sub_u32_e32 v3, v32, v3
	ds_read_b32 v5, v3 offset:7168
	v_mov_b32_e32 v6, s59
	v_lshlrev_b32_e32 v7, 2, v48
	s_waitcnt lgkmcnt(0)
	v_lshrrev_b32_e32 v3, s68, v5
	v_and_b32_e32 v3, s74, v3
	v_lshlrev_b32_e32 v3, 3, v3
	ds_read_b64 v[3:4], v3
	v_xor_b32_e32 v5, 0x80000000, v5
	s_waitcnt lgkmcnt(0)
	v_lshlrev_b64 v[3:4], 2, v[3:4]
	v_add_co_u32_e64 v3, s[38:39], s58, v3
	v_addc_co_u32_e64 v4, s[38:39], v6, v4, s[38:39]
	v_add_co_u32_e64 v3, s[38:39], v3, v7
	v_addc_co_u32_e64 v4, s[38:39], 0, v4, s[38:39]
	global_store_dword v[3:4], v5, off
.LBB97_77:
	;; [unrolled: 25-line block ×3, first 2 shown]
	s_or_b64 exec, exec, s[42:43]
	v_or_b32_e32 v50, 0x700, v0
	v_cmp_gt_u32_e64 s[40:41], s70, v50
	s_and_saveexec_b64 s[44:45], s[40:41]
	s_cbranch_execz .LBB97_81
; %bb.80:
	v_lshlrev_b32_e32 v3, 2, v0
	ds_read_b32 v5, v3 offset:9216
	v_mov_b32_e32 v6, s59
	v_lshlrev_b32_e32 v7, 2, v50
	s_waitcnt lgkmcnt(0)
	v_lshrrev_b32_e32 v3, s68, v5
	v_and_b32_e32 v3, s74, v3
	v_lshlrev_b32_e32 v3, 3, v3
	ds_read_b64 v[3:4], v3
	v_xor_b32_e32 v5, 0x80000000, v5
	s_waitcnt lgkmcnt(0)
	v_lshlrev_b64 v[3:4], 2, v[3:4]
	v_add_co_u32_e64 v3, s[42:43], s58, v3
	v_addc_co_u32_e64 v4, s[42:43], v6, v4, s[42:43]
	v_add_co_u32_e64 v3, s[42:43], v3, v7
	v_addc_co_u32_e64 v4, s[42:43], 0, v4, s[42:43]
	global_store_dword v[3:4], v5, off
.LBB97_81:
	s_or_b64 exec, exec, s[44:45]
	v_or_b32_e32 v51, 0x800, v0
	v_cmp_gt_u32_e64 s[42:43], s70, v51
	s_and_saveexec_b64 s[46:47], s[42:43]
	s_cbranch_execz .LBB97_83
; %bb.82:
	v_lshlrev_b32_e32 v3, 2, v0
	ds_read_b32 v5, v3 offset:10240
	v_mov_b32_e32 v6, s59
	v_lshlrev_b32_e32 v7, 2, v51
	s_waitcnt lgkmcnt(0)
	v_lshrrev_b32_e32 v3, s68, v5
	v_and_b32_e32 v3, s74, v3
	v_lshlrev_b32_e32 v3, 3, v3
	ds_read_b64 v[3:4], v3
	v_xor_b32_e32 v5, 0x80000000, v5
	s_waitcnt lgkmcnt(0)
	v_lshlrev_b64 v[3:4], 2, v[3:4]
	v_add_co_u32_e64 v3, s[44:45], s58, v3
	v_addc_co_u32_e64 v4, s[44:45], v6, v4, s[44:45]
	v_add_co_u32_e64 v3, s[44:45], v3, v7
	v_addc_co_u32_e64 v4, s[44:45], 0, v4, s[44:45]
	global_store_dword v[3:4], v5, off
.LBB97_83:
	;; [unrolled: 24-line block ×5, first 2 shown]
	s_or_b64 exec, exec, s[70:71]
	s_lshl_b64 s[52:53], s[54:55], 3
	s_add_u32 s52, s60, s52
	s_addc_u32 s53, s61, s53
	v_lshlrev_b32_e32 v3, 3, v10
	v_mov_b32_e32 v4, s53
	v_add_co_u32_e64 v3, s[52:53], s52, v3
	v_addc_co_u32_e64 v4, s[52:53], 0, v4, s[52:53]
	v_lshlrev_b32_e32 v5, 3, v9
	v_add_co_u32_e64 v27, s[52:53], v3, v5
	v_addc_co_u32_e64 v28, s[52:53], 0, v4, s[52:53]
                                        ; implicit-def: $vgpr3_vgpr4
	s_and_saveexec_b64 s[52:53], vcc
	s_xor_b64 s[52:53], exec, s[52:53]
	s_cbranch_execz .LBB97_101
; %bb.90:
	global_load_dwordx2 v[3:4], v[27:28], off
	s_or_b64 exec, exec, s[52:53]
                                        ; implicit-def: $vgpr5_vgpr6
	s_and_saveexec_b64 s[52:53], s[0:1]
	s_cbranch_execnz .LBB97_102
.LBB97_91:
	s_or_b64 exec, exec, s[52:53]
                                        ; implicit-def: $vgpr7_vgpr8
	s_and_saveexec_b64 s[0:1], s[2:3]
	s_cbranch_execz .LBB97_103
.LBB97_92:
	global_load_dwordx2 v[7:8], v[27:28], off offset:1024
	s_or_b64 exec, exec, s[0:1]
                                        ; implicit-def: $vgpr9_vgpr10
	s_and_saveexec_b64 s[0:1], s[50:51]
	s_cbranch_execnz .LBB97_104
.LBB97_93:
	s_or_b64 exec, exec, s[0:1]
                                        ; implicit-def: $vgpr11_vgpr12
	s_and_saveexec_b64 s[0:1], s[8:9]
	s_cbranch_execz .LBB97_105
.LBB97_94:
	global_load_dwordx2 v[11:12], v[27:28], off offset:2048
	s_or_b64 exec, exec, s[0:1]
                                        ; implicit-def: $vgpr13_vgpr14
	s_and_saveexec_b64 s[0:1], s[10:11]
	s_cbranch_execnz .LBB97_106
.LBB97_95:
	s_or_b64 exec, exec, s[0:1]
                                        ; implicit-def: $vgpr15_vgpr16
	s_and_saveexec_b64 s[0:1], s[12:13]
	s_cbranch_execz .LBB97_107
.LBB97_96:
	global_load_dwordx2 v[15:16], v[27:28], off offset:3072
	s_or_b64 exec, exec, s[0:1]
                                        ; implicit-def: $vgpr17_vgpr18
	s_and_saveexec_b64 s[0:1], s[18:19]
	s_cbranch_execnz .LBB97_108
.LBB97_97:
	s_or_b64 exec, exec, s[0:1]
                                        ; implicit-def: $vgpr19_vgpr20
	s_and_saveexec_b64 s[0:1], s[22:23]
	s_cbranch_execz .LBB97_109
.LBB97_98:
	v_add_co_u32_e32 v19, vcc, 0x1000, v27
	v_addc_co_u32_e32 v20, vcc, 0, v28, vcc
	global_load_dwordx2 v[19:20], v[19:20], off
	s_or_b64 exec, exec, s[0:1]
                                        ; implicit-def: $vgpr21_vgpr22
	s_and_saveexec_b64 s[0:1], s[20:21]
	s_cbranch_execnz .LBB97_110
.LBB97_99:
	s_or_b64 exec, exec, s[0:1]
                                        ; implicit-def: $vgpr23_vgpr24
	s_and_saveexec_b64 s[0:1], s[16:17]
	s_cbranch_execz .LBB97_111
.LBB97_100:
	v_add_co_u32_e32 v23, vcc, 0x1000, v27
	v_addc_co_u32_e32 v24, vcc, 0, v28, vcc
	global_load_dwordx2 v[23:24], v[23:24], off offset:1024
	s_or_b64 exec, exec, s[0:1]
                                        ; implicit-def: $vgpr25_vgpr26
	s_and_saveexec_b64 s[0:1], s[14:15]
	s_cbranch_execnz .LBB97_112
	s_branch .LBB97_113
.LBB97_101:
	s_or_b64 exec, exec, s[52:53]
                                        ; implicit-def: $vgpr5_vgpr6
	s_and_saveexec_b64 s[52:53], s[0:1]
	s_cbranch_execz .LBB97_91
.LBB97_102:
	global_load_dwordx2 v[5:6], v[27:28], off offset:512
	s_or_b64 exec, exec, s[52:53]
                                        ; implicit-def: $vgpr7_vgpr8
	s_and_saveexec_b64 s[0:1], s[2:3]
	s_cbranch_execnz .LBB97_92
.LBB97_103:
	s_or_b64 exec, exec, s[0:1]
                                        ; implicit-def: $vgpr9_vgpr10
	s_and_saveexec_b64 s[0:1], s[50:51]
	s_cbranch_execz .LBB97_93
.LBB97_104:
	global_load_dwordx2 v[9:10], v[27:28], off offset:1536
	s_or_b64 exec, exec, s[0:1]
                                        ; implicit-def: $vgpr11_vgpr12
	s_and_saveexec_b64 s[0:1], s[8:9]
	s_cbranch_execnz .LBB97_94
.LBB97_105:
	s_or_b64 exec, exec, s[0:1]
                                        ; implicit-def: $vgpr13_vgpr14
	s_and_saveexec_b64 s[0:1], s[10:11]
	s_cbranch_execz .LBB97_95
.LBB97_106:
	global_load_dwordx2 v[13:14], v[27:28], off offset:2560
	s_or_b64 exec, exec, s[0:1]
                                        ; implicit-def: $vgpr15_vgpr16
	s_and_saveexec_b64 s[0:1], s[12:13]
	s_cbranch_execnz .LBB97_96
.LBB97_107:
	s_or_b64 exec, exec, s[0:1]
                                        ; implicit-def: $vgpr17_vgpr18
	s_and_saveexec_b64 s[0:1], s[18:19]
	s_cbranch_execz .LBB97_97
.LBB97_108:
	global_load_dwordx2 v[17:18], v[27:28], off offset:3584
	s_or_b64 exec, exec, s[0:1]
                                        ; implicit-def: $vgpr19_vgpr20
	s_and_saveexec_b64 s[0:1], s[22:23]
	s_cbranch_execnz .LBB97_98
.LBB97_109:
	s_or_b64 exec, exec, s[0:1]
                                        ; implicit-def: $vgpr21_vgpr22
	s_and_saveexec_b64 s[0:1], s[20:21]
	s_cbranch_execz .LBB97_99
.LBB97_110:
	v_add_co_u32_e32 v21, vcc, 0x1000, v27
	v_addc_co_u32_e32 v22, vcc, 0, v28, vcc
	global_load_dwordx2 v[21:22], v[21:22], off offset:512
	s_or_b64 exec, exec, s[0:1]
                                        ; implicit-def: $vgpr23_vgpr24
	s_and_saveexec_b64 s[0:1], s[16:17]
	s_cbranch_execnz .LBB97_100
.LBB97_111:
	s_or_b64 exec, exec, s[0:1]
                                        ; implicit-def: $vgpr25_vgpr26
	s_and_saveexec_b64 s[0:1], s[14:15]
	s_cbranch_execz .LBB97_113
.LBB97_112:
	v_add_co_u32_e32 v25, vcc, 0x1000, v27
	v_addc_co_u32_e32 v26, vcc, 0, v28, vcc
	global_load_dwordx2 v[25:26], v[25:26], off offset:1536
.LBB97_113:
	s_or_b64 exec, exec, s[0:1]
	v_mov_b32_e32 v62, 0
	v_mov_b32_e32 v64, 0
	s_and_saveexec_b64 s[0:1], s[24:25]
	s_cbranch_execz .LBB97_115
; %bb.114:
	v_lshlrev_b32_e32 v27, 2, v0
	ds_read_b32 v27, v27 offset:2048
	s_waitcnt lgkmcnt(0)
	v_lshrrev_b32_e32 v27, s68, v27
	v_and_b32_e32 v64, s74, v27
.LBB97_115:
	s_or_b64 exec, exec, s[0:1]
	s_and_saveexec_b64 s[0:1], s[26:27]
	s_cbranch_execz .LBB97_117
; %bb.116:
	v_lshlrev_b32_e32 v27, 2, v0
	ds_read_b32 v27, v27 offset:3072
	s_waitcnt lgkmcnt(0)
	v_lshrrev_b32_e32 v27, s68, v27
	v_and_b32_e32 v62, s74, v27
.LBB97_117:
	s_or_b64 exec, exec, s[0:1]
	v_mov_b32_e32 v60, 0
	v_mov_b32_e32 v63, 0
	s_and_saveexec_b64 s[0:1], s[28:29]
	s_cbranch_execz .LBB97_119
; %bb.118:
	v_lshlrev_b32_e32 v27, 2, v0
	ds_read_b32 v27, v27 offset:4096
	s_waitcnt lgkmcnt(0)
	v_lshrrev_b32_e32 v27, s68, v27
	v_and_b32_e32 v63, s74, v27
.LBB97_119:
	s_or_b64 exec, exec, s[0:1]
	s_and_saveexec_b64 s[0:1], s[30:31]
	s_cbranch_execz .LBB97_121
; %bb.120:
	v_lshlrev_b32_e32 v27, 2, v0
	ds_read_b32 v27, v27 offset:5120
	s_waitcnt lgkmcnt(0)
	v_lshrrev_b32_e32 v27, s68, v27
	v_and_b32_e32 v60, s74, v27
.LBB97_121:
	;; [unrolled: 22-line block ×6, first 2 shown]
	s_or_b64 exec, exec, s[0:1]
	v_lshlrev_b32_e32 v44, 3, v44
	s_waitcnt vmcnt(0)
	s_barrier
	ds_write_b64 v44, v[3:4] offset:2048
	v_lshlrev_b32_e32 v3, 3, v43
	ds_write_b64 v3, v[5:6] offset:2048
	v_lshlrev_b32_e32 v3, 3, v42
	;; [unrolled: 2-line block ×11, first 2 shown]
	ds_write_b64 v3, v[25:26] offset:2048
	s_waitcnt lgkmcnt(0)
	s_barrier
	s_and_saveexec_b64 s[0:1], s[24:25]
	s_cbranch_execz .LBB97_196
; %bb.138:
	v_lshlrev_b32_e32 v3, 3, v64
	ds_read_b64 v[3:4], v3
	ds_read_b64 v[5:6], v32 offset:2048
	v_mov_b32_e32 v7, s63
	s_waitcnt lgkmcnt(1)
	v_lshlrev_b64 v[3:4], 3, v[3:4]
	v_add_co_u32_e32 v3, vcc, s62, v3
	v_addc_co_u32_e32 v4, vcc, v7, v4, vcc
	v_add_co_u32_e32 v3, vcc, v3, v32
	v_addc_co_u32_e32 v4, vcc, 0, v4, vcc
	s_waitcnt lgkmcnt(0)
	global_store_dwordx2 v[3:4], v[5:6], off
	s_or_b64 exec, exec, s[0:1]
	s_and_saveexec_b64 s[0:1], s[26:27]
	s_cbranch_execnz .LBB97_197
.LBB97_139:
	s_or_b64 exec, exec, s[0:1]
	s_and_saveexec_b64 s[0:1], s[28:29]
	s_cbranch_execz .LBB97_198
.LBB97_140:
	v_lshlrev_b32_e32 v3, 3, v63
	ds_read_b64 v[3:4], v3
	ds_read_b64 v[5:6], v32 offset:6144
	v_mov_b32_e32 v7, s63
	s_waitcnt lgkmcnt(1)
	v_lshlrev_b64 v[3:4], 3, v[3:4]
	v_add_co_u32_e32 v3, vcc, s62, v3
	v_addc_co_u32_e32 v4, vcc, v7, v4, vcc
	v_lshlrev_b32_e32 v7, 3, v45
	v_add_co_u32_e32 v3, vcc, v3, v7
	v_addc_co_u32_e32 v4, vcc, 0, v4, vcc
	s_waitcnt lgkmcnt(0)
	global_store_dwordx2 v[3:4], v[5:6], off
	s_or_b64 exec, exec, s[0:1]
	s_and_saveexec_b64 s[0:1], s[30:31]
	s_cbranch_execnz .LBB97_199
.LBB97_141:
	s_or_b64 exec, exec, s[0:1]
	s_and_saveexec_b64 s[0:1], s[34:35]
	s_cbranch_execz .LBB97_200
.LBB97_142:
	v_lshlrev_b32_e32 v3, 3, v61
	ds_read_b64 v[3:4], v3
	ds_read_b64 v[5:6], v32 offset:10240
	v_mov_b32_e32 v7, s63
	s_waitcnt lgkmcnt(1)
	v_lshlrev_b64 v[3:4], 3, v[3:4]
	v_add_co_u32_e32 v3, vcc, s62, v3
	v_addc_co_u32_e32 v4, vcc, v7, v4, vcc
	v_lshlrev_b32_e32 v7, 3, v47
	v_add_co_u32_e32 v3, vcc, v3, v7
	v_addc_co_u32_e32 v4, vcc, 0, v4, vcc
	s_waitcnt lgkmcnt(0)
	global_store_dwordx2 v[3:4], v[5:6], off
	s_or_b64 exec, exec, s[0:1]
	s_and_saveexec_b64 s[0:1], s[36:37]
	s_cbranch_execnz .LBB97_201
.LBB97_143:
	s_or_b64 exec, exec, s[0:1]
	s_and_saveexec_b64 s[0:1], s[38:39]
	s_cbranch_execz .LBB97_202
.LBB97_144:
	v_lshlrev_b32_e32 v3, 3, v59
	ds_read_b64 v[3:4], v3
	ds_read_b64 v[5:6], v32 offset:14336
	v_mov_b32_e32 v7, s63
	s_waitcnt lgkmcnt(1)
	v_lshlrev_b64 v[3:4], 3, v[3:4]
	v_add_co_u32_e32 v3, vcc, s62, v3
	v_addc_co_u32_e32 v4, vcc, v7, v4, vcc
	v_lshlrev_b32_e32 v7, 3, v49
	v_add_co_u32_e32 v3, vcc, v3, v7
	v_addc_co_u32_e32 v4, vcc, 0, v4, vcc
	s_waitcnt lgkmcnt(0)
	global_store_dwordx2 v[3:4], v[5:6], off
	s_or_b64 exec, exec, s[0:1]
	s_and_saveexec_b64 s[0:1], s[40:41]
	s_cbranch_execnz .LBB97_203
.LBB97_145:
	s_or_b64 exec, exec, s[0:1]
	s_and_saveexec_b64 s[0:1], s[42:43]
	s_cbranch_execz .LBB97_204
.LBB97_146:
	v_lshlrev_b32_e32 v3, 3, v57
	ds_read_b64 v[3:4], v3
	ds_read_b64 v[5:6], v32 offset:18432
	v_mov_b32_e32 v7, s63
	s_waitcnt lgkmcnt(1)
	v_lshlrev_b64 v[3:4], 3, v[3:4]
	v_add_co_u32_e32 v3, vcc, s62, v3
	v_addc_co_u32_e32 v4, vcc, v7, v4, vcc
	v_lshlrev_b32_e32 v7, 3, v51
	v_add_co_u32_e32 v3, vcc, v3, v7
	v_addc_co_u32_e32 v4, vcc, 0, v4, vcc
	s_waitcnt lgkmcnt(0)
	global_store_dwordx2 v[3:4], v[5:6], off
	s_or_b64 exec, exec, s[0:1]
	s_and_saveexec_b64 s[0:1], s[44:45]
	s_cbranch_execnz .LBB97_205
.LBB97_147:
	s_or_b64 exec, exec, s[0:1]
	s_and_saveexec_b64 s[0:1], s[46:47]
	s_cbranch_execz .LBB97_206
.LBB97_148:
	v_lshlrev_b32_e32 v3, 3, v55
	ds_read_b64 v[3:4], v3
	ds_read_b64 v[5:6], v32 offset:22528
	v_mov_b32_e32 v7, s63
	s_waitcnt lgkmcnt(1)
	v_lshlrev_b64 v[3:4], 3, v[3:4]
	v_add_co_u32_e32 v3, vcc, s62, v3
	v_addc_co_u32_e32 v4, vcc, v7, v4, vcc
	v_lshlrev_b32_e32 v7, 3, v53
	v_add_co_u32_e32 v3, vcc, v3, v7
	v_addc_co_u32_e32 v4, vcc, 0, v4, vcc
	s_waitcnt lgkmcnt(0)
	global_store_dwordx2 v[3:4], v[5:6], off
	s_or_b64 exec, exec, s[0:1]
	s_and_saveexec_b64 s[0:1], s[48:49]
	s_cbranch_execnz .LBB97_207
.LBB97_149:
	s_or_b64 exec, exec, s[0:1]
	s_add_i32 s33, s33, -1
	s_cmp_eq_u32 s6, s33
	s_cbranch_scc0 .LBB97_151
.LBB97_150:
	ds_read_b64 v[3:4], v32
	v_add_co_u32_e32 v5, vcc, v31, v30
	v_addc_co_u32_e64 v6, s[0:1], 0, 0, vcc
	s_waitcnt lgkmcnt(0)
	v_add_co_u32_e32 v3, vcc, v5, v3
	v_addc_co_u32_e32 v4, vcc, v6, v4, vcc
	global_store_dwordx2 v32, v[3:4], s[66:67]
.LBB97_151:
	s_mov_b64 s[0:1], 0
.LBB97_152:
	s_and_b64 vcc, exec, s[0:1]
	s_cbranch_vccz .LBB97_195
; %bb.153:
	s_mov_b32 s55, 0
	s_lshl_b64 s[0:1], s[54:55], 2
	v_mbcnt_hi_u32_b32 v8, -1, v29
	s_add_u32 s0, s56, s0
	v_lshlrev_b32_e32 v4, 2, v8
	v_add_co_u32_e32 v4, vcc, s0, v4
	s_load_dword s8, s[4:5], 0x50
	s_load_dword s0, s[4:5], 0x5c
	s_addc_u32 s1, s57, s1
	v_and_b32_e32 v9, 0xc0, v0
	v_mul_u32_u24_e32 v7, 12, v9
	v_mov_b32_e32 v5, s1
	v_addc_co_u32_e32 v5, vcc, 0, v5, vcc
	v_lshlrev_b32_e32 v6, 2, v7
	v_add_co_u32_e32 v4, vcc, v4, v6
	s_add_u32 s1, s4, 0x50
	v_addc_co_u32_e32 v5, vcc, 0, v5, vcc
	s_addc_u32 s2, s5, 0
	s_waitcnt lgkmcnt(0)
	s_lshr_b32 s3, s0, 16
	global_load_dword v10, v[4:5], off
	s_cmp_lt_u32 s6, s8
	s_cselect_b32 s0, 12, 18
	s_add_u32 s0, s1, s0
	v_mov_b32_e32 v3, 0
	s_addc_u32 s1, s2, 0
	global_load_ushort v12, v3, s[0:1]
	v_mul_u32_u24_e32 v6, 20, v0
	ds_write2_b32 v6, v3, v3 offset0:4 offset1:5
	ds_write2_b32 v6, v3, v3 offset0:6 offset1:7
	ds_write_b32 v6, v3 offset:32
	global_load_dword v11, v[4:5], off offset:256
	global_load_dword v15, v[4:5], off offset:512
	global_load_dword v21, v[4:5], off offset:768
	global_load_dword v26, v[4:5], off offset:1024
	global_load_dword v31, v[4:5], off offset:1280
	global_load_dword v36, v[4:5], off offset:1536
	global_load_dword v38, v[4:5], off offset:1792
	global_load_dword v33, v[4:5], off offset:2048
	global_load_dword v28, v[4:5], off offset:2304
	global_load_dword v23, v[4:5], off offset:2560
	global_load_dword v17, v[4:5], off offset:2816
	s_lshl_b32 s0, -1, s69
	v_mad_u32_u24 v1, v2, s3, v1
	s_not_b32 s9, s0
	s_waitcnt vmcnt(0) lgkmcnt(0)
	s_barrier
	; wave barrier
	v_xor_b32_e32 v5, 0x80000000, v10
	v_lshrrev_b32_e32 v2, s68, v5
	v_and_b32_e32 v13, s9, v2
	v_and_b32_e32 v10, 1, v13
	v_lshlrev_b32_e32 v4, 30, v13
	v_mad_u64_u32 v[1:2], s[0:1], v1, v12, v[0:1]
	v_add_co_u32_e32 v12, vcc, -1, v10
	v_addc_co_u32_e64 v14, s[0:1], 0, -1, vcc
	v_mul_lo_u32 v2, v13, 20
	v_cmp_ne_u32_e32 vcc, 0, v10
	v_cmp_gt_i64_e64 s[0:1], 0, v[3:4]
	v_not_b32_e32 v10, v4
	v_lshlrev_b32_e32 v4, 29, v13
	v_xor_b32_e32 v14, vcc_hi, v14
	v_xor_b32_e32 v12, vcc_lo, v12
	v_ashrrev_i32_e32 v10, 31, v10
	v_cmp_gt_i64_e32 vcc, 0, v[3:4]
	v_not_b32_e32 v16, v4
	v_lshlrev_b32_e32 v4, 28, v13
	v_and_b32_e32 v14, exec_hi, v14
	v_and_b32_e32 v12, exec_lo, v12
	v_xor_b32_e32 v18, s1, v10
	v_xor_b32_e32 v10, s0, v10
	v_ashrrev_i32_e32 v16, 31, v16
	v_cmp_gt_i64_e64 s[0:1], 0, v[3:4]
	v_not_b32_e32 v19, v4
	v_lshlrev_b32_e32 v4, 27, v13
	v_lshrrev_b32_e32 v20, 6, v1
	v_and_b32_e32 v1, v14, v18
	v_and_b32_e32 v12, v12, v10
	v_xor_b32_e32 v14, vcc_hi, v16
	v_xor_b32_e32 v16, vcc_lo, v16
	v_ashrrev_i32_e32 v18, 31, v19
	v_cmp_gt_i64_e32 vcc, 0, v[3:4]
	v_not_b32_e32 v4, v4
	v_lshl_add_u32 v10, v20, 2, v2
	v_and_b32_e32 v1, v1, v14
	v_and_b32_e32 v2, v12, v16
	v_xor_b32_e32 v12, s1, v18
	v_xor_b32_e32 v14, s0, v18
	v_ashrrev_i32_e32 v4, 31, v4
	v_and_b32_e32 v1, v1, v12
	v_and_b32_e32 v2, v2, v14
	v_xor_b32_e32 v12, vcc_hi, v4
	v_xor_b32_e32 v4, vcc_lo, v4
	v_and_b32_e32 v2, v2, v4
	v_lshlrev_b32_e32 v4, 26, v13
	v_cmp_gt_i64_e32 vcc, 0, v[3:4]
	v_not_b32_e32 v4, v4
	v_ashrrev_i32_e32 v4, 31, v4
	v_and_b32_e32 v1, v1, v12
	v_xor_b32_e32 v12, vcc_hi, v4
	v_xor_b32_e32 v4, vcc_lo, v4
	v_and_b32_e32 v2, v2, v4
	v_lshlrev_b32_e32 v4, 25, v13
	v_cmp_gt_i64_e32 vcc, 0, v[3:4]
	v_not_b32_e32 v4, v4
	v_ashrrev_i32_e32 v4, 31, v4
	v_and_b32_e32 v1, v1, v12
	v_xor_b32_e32 v12, vcc_hi, v4
	v_xor_b32_e32 v4, vcc_lo, v4
	v_and_b32_e32 v1, v1, v12
	v_and_b32_e32 v12, v2, v4
	v_lshlrev_b32_e32 v4, 24, v13
	v_cmp_gt_i64_e32 vcc, 0, v[3:4]
	v_not_b32_e32 v2, v4
	v_ashrrev_i32_e32 v2, 31, v2
	v_xor_b32_e32 v4, vcc_hi, v2
	v_xor_b32_e32 v13, vcc_lo, v2
	v_and_b32_e32 v2, v1, v4
	v_and_b32_e32 v1, v12, v13
	v_mbcnt_lo_u32_b32 v4, v1, 0
	v_mbcnt_hi_u32_b32 v12, v2, v4
	v_cmp_ne_u64_e32 vcc, 0, v[1:2]
	v_cmp_eq_u32_e64 s[0:1], 0, v12
	s_and_b64 s[2:3], vcc, s[0:1]
	s_and_saveexec_b64 s[0:1], s[2:3]
; %bb.154:
	v_bcnt_u32_b32 v1, v1, 0
	v_bcnt_u32_b32 v1, v2, v1
	ds_write_b32 v10, v1 offset:16
; %bb.155:
	s_or_b64 exec, exec, s[0:1]
	v_xor_b32_e32 v11, 0x80000000, v11
	v_lshrrev_b32_e32 v1, s68, v11
	v_and_b32_e32 v1, s9, v1
	v_mul_lo_u32 v2, v1, 20
	v_and_b32_e32 v4, 1, v1
	; wave barrier
	v_lshl_add_u32 v14, v20, 2, v2
	v_add_co_u32_e32 v2, vcc, -1, v4
	v_addc_co_u32_e64 v16, s[0:1], 0, -1, vcc
	v_cmp_ne_u32_e32 vcc, 0, v4
	v_xor_b32_e32 v4, vcc_hi, v16
	v_and_b32_e32 v16, exec_hi, v4
	v_lshlrev_b32_e32 v4, 30, v1
	v_xor_b32_e32 v2, vcc_lo, v2
	v_cmp_gt_i64_e32 vcc, 0, v[3:4]
	v_not_b32_e32 v4, v4
	v_ashrrev_i32_e32 v4, 31, v4
	v_and_b32_e32 v2, exec_lo, v2
	v_xor_b32_e32 v18, vcc_hi, v4
	v_xor_b32_e32 v4, vcc_lo, v4
	v_and_b32_e32 v2, v2, v4
	v_lshlrev_b32_e32 v4, 29, v1
	v_cmp_gt_i64_e32 vcc, 0, v[3:4]
	v_not_b32_e32 v4, v4
	v_ashrrev_i32_e32 v4, 31, v4
	v_and_b32_e32 v16, v16, v18
	v_xor_b32_e32 v18, vcc_hi, v4
	v_xor_b32_e32 v4, vcc_lo, v4
	v_and_b32_e32 v2, v2, v4
	v_lshlrev_b32_e32 v4, 28, v1
	v_cmp_gt_i64_e32 vcc, 0, v[3:4]
	v_not_b32_e32 v4, v4
	v_ashrrev_i32_e32 v4, 31, v4
	v_and_b32_e32 v16, v16, v18
	;; [unrolled: 8-line block ×5, first 2 shown]
	v_xor_b32_e32 v18, vcc_hi, v4
	v_xor_b32_e32 v4, vcc_lo, v4
	v_and_b32_e32 v16, v16, v18
	v_and_b32_e32 v18, v2, v4
	v_lshlrev_b32_e32 v4, 24, v1
	v_cmp_gt_i64_e32 vcc, 0, v[3:4]
	v_not_b32_e32 v1, v4
	v_ashrrev_i32_e32 v1, 31, v1
	v_xor_b32_e32 v2, vcc_hi, v1
	v_xor_b32_e32 v1, vcc_lo, v1
	ds_read_b32 v13, v14 offset:16
	v_and_b32_e32 v1, v18, v1
	v_and_b32_e32 v2, v16, v2
	v_mbcnt_lo_u32_b32 v3, v1, 0
	v_mbcnt_hi_u32_b32 v16, v2, v3
	v_cmp_ne_u64_e32 vcc, 0, v[1:2]
	v_cmp_eq_u32_e64 s[0:1], 0, v16
	s_and_b64 s[2:3], vcc, s[0:1]
	; wave barrier
	s_and_saveexec_b64 s[0:1], s[2:3]
	s_cbranch_execz .LBB97_157
; %bb.156:
	v_bcnt_u32_b32 v1, v1, 0
	v_bcnt_u32_b32 v1, v2, v1
	s_waitcnt lgkmcnt(0)
	v_add_u32_e32 v1, v13, v1
	ds_write_b32 v14, v1 offset:16
.LBB97_157:
	s_or_b64 exec, exec, s[0:1]
	v_xor_b32_e32 v15, 0x80000000, v15
	v_lshrrev_b32_e32 v1, s68, v15
	v_and_b32_e32 v3, s9, v1
	v_mul_lo_u32 v1, v3, 20
	v_and_b32_e32 v2, 1, v3
	v_add_co_u32_e32 v4, vcc, -1, v2
	v_addc_co_u32_e64 v22, s[0:1], 0, -1, vcc
	v_cmp_ne_u32_e32 vcc, 0, v2
	v_xor_b32_e32 v2, vcc_hi, v22
	v_lshl_add_u32 v19, v20, 2, v1
	v_mov_b32_e32 v1, 0
	v_and_b32_e32 v22, exec_hi, v2
	v_lshlrev_b32_e32 v2, 30, v3
	v_xor_b32_e32 v4, vcc_lo, v4
	v_cmp_gt_i64_e32 vcc, 0, v[1:2]
	v_not_b32_e32 v2, v2
	v_ashrrev_i32_e32 v2, 31, v2
	v_and_b32_e32 v4, exec_lo, v4
	v_xor_b32_e32 v24, vcc_hi, v2
	v_xor_b32_e32 v2, vcc_lo, v2
	v_and_b32_e32 v4, v4, v2
	v_lshlrev_b32_e32 v2, 29, v3
	v_cmp_gt_i64_e32 vcc, 0, v[1:2]
	v_not_b32_e32 v2, v2
	v_ashrrev_i32_e32 v2, 31, v2
	v_and_b32_e32 v22, v22, v24
	v_xor_b32_e32 v24, vcc_hi, v2
	v_xor_b32_e32 v2, vcc_lo, v2
	v_and_b32_e32 v4, v4, v2
	v_lshlrev_b32_e32 v2, 28, v3
	v_cmp_gt_i64_e32 vcc, 0, v[1:2]
	v_not_b32_e32 v2, v2
	v_ashrrev_i32_e32 v2, 31, v2
	v_and_b32_e32 v22, v22, v24
	;; [unrolled: 8-line block ×5, first 2 shown]
	v_xor_b32_e32 v24, vcc_hi, v2
	v_xor_b32_e32 v2, vcc_lo, v2
	v_and_b32_e32 v4, v4, v2
	v_lshlrev_b32_e32 v2, 24, v3
	v_cmp_gt_i64_e32 vcc, 0, v[1:2]
	v_not_b32_e32 v2, v2
	v_ashrrev_i32_e32 v2, 31, v2
	v_xor_b32_e32 v3, vcc_hi, v2
	v_xor_b32_e32 v2, vcc_lo, v2
	; wave barrier
	ds_read_b32 v18, v19 offset:16
	v_and_b32_e32 v22, v22, v24
	v_and_b32_e32 v2, v4, v2
	;; [unrolled: 1-line block ×3, first 2 shown]
	v_mbcnt_lo_u32_b32 v4, v2, 0
	v_mbcnt_hi_u32_b32 v22, v3, v4
	v_cmp_ne_u64_e32 vcc, 0, v[2:3]
	v_cmp_eq_u32_e64 s[0:1], 0, v22
	s_and_b64 s[2:3], vcc, s[0:1]
	; wave barrier
	s_and_saveexec_b64 s[0:1], s[2:3]
	s_cbranch_execz .LBB97_159
; %bb.158:
	v_bcnt_u32_b32 v2, v2, 0
	v_bcnt_u32_b32 v2, v3, v2
	s_waitcnt lgkmcnt(0)
	v_add_u32_e32 v2, v18, v2
	ds_write_b32 v19, v2 offset:16
.LBB97_159:
	s_or_b64 exec, exec, s[0:1]
	v_xor_b32_e32 v21, 0x80000000, v21
	v_lshrrev_b32_e32 v2, s68, v21
	v_and_b32_e32 v3, s9, v2
	v_mul_lo_u32 v2, v3, 20
	v_and_b32_e32 v4, 1, v3
	; wave barrier
	v_lshl_add_u32 v25, v20, 2, v2
	v_add_co_u32_e32 v2, vcc, -1, v4
	v_addc_co_u32_e64 v27, s[0:1], 0, -1, vcc
	v_cmp_ne_u32_e32 vcc, 0, v4
	v_xor_b32_e32 v2, vcc_lo, v2
	v_xor_b32_e32 v4, vcc_hi, v27
	v_and_b32_e32 v27, exec_lo, v2
	v_lshlrev_b32_e32 v2, 30, v3
	v_cmp_gt_i64_e32 vcc, 0, v[1:2]
	v_not_b32_e32 v2, v2
	v_ashrrev_i32_e32 v2, 31, v2
	v_xor_b32_e32 v29, vcc_hi, v2
	v_xor_b32_e32 v2, vcc_lo, v2
	v_and_b32_e32 v27, v27, v2
	v_lshlrev_b32_e32 v2, 29, v3
	v_cmp_gt_i64_e32 vcc, 0, v[1:2]
	v_not_b32_e32 v2, v2
	v_and_b32_e32 v4, exec_hi, v4
	v_ashrrev_i32_e32 v2, 31, v2
	v_and_b32_e32 v4, v4, v29
	v_xor_b32_e32 v29, vcc_hi, v2
	v_xor_b32_e32 v2, vcc_lo, v2
	v_and_b32_e32 v27, v27, v2
	v_lshlrev_b32_e32 v2, 28, v3
	v_cmp_gt_i64_e32 vcc, 0, v[1:2]
	v_not_b32_e32 v2, v2
	v_ashrrev_i32_e32 v2, 31, v2
	v_and_b32_e32 v4, v4, v29
	v_xor_b32_e32 v29, vcc_hi, v2
	v_xor_b32_e32 v2, vcc_lo, v2
	v_and_b32_e32 v27, v27, v2
	v_lshlrev_b32_e32 v2, 27, v3
	v_cmp_gt_i64_e32 vcc, 0, v[1:2]
	v_not_b32_e32 v2, v2
	;; [unrolled: 8-line block ×5, first 2 shown]
	v_ashrrev_i32_e32 v1, 31, v1
	v_xor_b32_e32 v2, vcc_hi, v1
	v_xor_b32_e32 v1, vcc_lo, v1
	ds_read_b32 v24, v25 offset:16
	v_and_b32_e32 v4, v4, v29
	v_and_b32_e32 v1, v27, v1
	;; [unrolled: 1-line block ×3, first 2 shown]
	v_mbcnt_lo_u32_b32 v3, v1, 0
	v_mbcnt_hi_u32_b32 v27, v2, v3
	v_cmp_ne_u64_e32 vcc, 0, v[1:2]
	v_cmp_eq_u32_e64 s[0:1], 0, v27
	s_and_b64 s[2:3], vcc, s[0:1]
	; wave barrier
	s_and_saveexec_b64 s[0:1], s[2:3]
	s_cbranch_execz .LBB97_161
; %bb.160:
	v_bcnt_u32_b32 v1, v1, 0
	v_bcnt_u32_b32 v1, v2, v1
	s_waitcnt lgkmcnt(0)
	v_add_u32_e32 v1, v24, v1
	ds_write_b32 v25, v1 offset:16
.LBB97_161:
	s_or_b64 exec, exec, s[0:1]
	v_xor_b32_e32 v26, 0x80000000, v26
	v_lshrrev_b32_e32 v1, s68, v26
	v_and_b32_e32 v3, s9, v1
	v_mul_lo_u32 v1, v3, 20
	v_and_b32_e32 v2, 1, v3
	v_add_co_u32_e32 v4, vcc, -1, v2
	v_addc_co_u32_e64 v32, s[0:1], 0, -1, vcc
	v_cmp_ne_u32_e32 vcc, 0, v2
	v_xor_b32_e32 v2, vcc_hi, v32
	v_lshl_add_u32 v30, v20, 2, v1
	v_mov_b32_e32 v1, 0
	v_and_b32_e32 v32, exec_hi, v2
	v_lshlrev_b32_e32 v2, 30, v3
	v_xor_b32_e32 v4, vcc_lo, v4
	v_cmp_gt_i64_e32 vcc, 0, v[1:2]
	v_not_b32_e32 v2, v2
	v_ashrrev_i32_e32 v2, 31, v2
	v_and_b32_e32 v4, exec_lo, v4
	v_xor_b32_e32 v34, vcc_hi, v2
	v_xor_b32_e32 v2, vcc_lo, v2
	v_and_b32_e32 v4, v4, v2
	v_lshlrev_b32_e32 v2, 29, v3
	v_cmp_gt_i64_e32 vcc, 0, v[1:2]
	v_not_b32_e32 v2, v2
	v_ashrrev_i32_e32 v2, 31, v2
	v_and_b32_e32 v32, v32, v34
	v_xor_b32_e32 v34, vcc_hi, v2
	v_xor_b32_e32 v2, vcc_lo, v2
	v_and_b32_e32 v4, v4, v2
	v_lshlrev_b32_e32 v2, 28, v3
	v_cmp_gt_i64_e32 vcc, 0, v[1:2]
	v_not_b32_e32 v2, v2
	v_ashrrev_i32_e32 v2, 31, v2
	v_and_b32_e32 v32, v32, v34
	;; [unrolled: 8-line block ×5, first 2 shown]
	v_xor_b32_e32 v34, vcc_hi, v2
	v_xor_b32_e32 v2, vcc_lo, v2
	v_and_b32_e32 v4, v4, v2
	v_lshlrev_b32_e32 v2, 24, v3
	v_cmp_gt_i64_e32 vcc, 0, v[1:2]
	v_not_b32_e32 v2, v2
	v_ashrrev_i32_e32 v2, 31, v2
	v_xor_b32_e32 v3, vcc_hi, v2
	v_xor_b32_e32 v2, vcc_lo, v2
	; wave barrier
	ds_read_b32 v29, v30 offset:16
	v_and_b32_e32 v32, v32, v34
	v_and_b32_e32 v2, v4, v2
	;; [unrolled: 1-line block ×3, first 2 shown]
	v_mbcnt_lo_u32_b32 v4, v2, 0
	v_mbcnt_hi_u32_b32 v32, v3, v4
	v_cmp_ne_u64_e32 vcc, 0, v[2:3]
	v_cmp_eq_u32_e64 s[0:1], 0, v32
	s_and_b64 s[2:3], vcc, s[0:1]
	; wave barrier
	s_and_saveexec_b64 s[0:1], s[2:3]
	s_cbranch_execz .LBB97_163
; %bb.162:
	v_bcnt_u32_b32 v2, v2, 0
	v_bcnt_u32_b32 v2, v3, v2
	s_waitcnt lgkmcnt(0)
	v_add_u32_e32 v2, v29, v2
	ds_write_b32 v30, v2 offset:16
.LBB97_163:
	s_or_b64 exec, exec, s[0:1]
	v_xor_b32_e32 v31, 0x80000000, v31
	v_lshrrev_b32_e32 v2, s68, v31
	v_and_b32_e32 v3, s9, v2
	v_mul_lo_u32 v2, v3, 20
	v_and_b32_e32 v4, 1, v3
	; wave barrier
	v_lshl_add_u32 v35, v20, 2, v2
	v_add_co_u32_e32 v2, vcc, -1, v4
	v_addc_co_u32_e64 v37, s[0:1], 0, -1, vcc
	v_cmp_ne_u32_e32 vcc, 0, v4
	v_xor_b32_e32 v2, vcc_lo, v2
	v_xor_b32_e32 v4, vcc_hi, v37
	v_and_b32_e32 v37, exec_lo, v2
	v_lshlrev_b32_e32 v2, 30, v3
	v_cmp_gt_i64_e32 vcc, 0, v[1:2]
	v_not_b32_e32 v2, v2
	v_ashrrev_i32_e32 v2, 31, v2
	v_xor_b32_e32 v39, vcc_hi, v2
	v_xor_b32_e32 v2, vcc_lo, v2
	v_and_b32_e32 v37, v37, v2
	v_lshlrev_b32_e32 v2, 29, v3
	v_cmp_gt_i64_e32 vcc, 0, v[1:2]
	v_not_b32_e32 v2, v2
	v_and_b32_e32 v4, exec_hi, v4
	v_ashrrev_i32_e32 v2, 31, v2
	v_and_b32_e32 v4, v4, v39
	v_xor_b32_e32 v39, vcc_hi, v2
	v_xor_b32_e32 v2, vcc_lo, v2
	v_and_b32_e32 v37, v37, v2
	v_lshlrev_b32_e32 v2, 28, v3
	v_cmp_gt_i64_e32 vcc, 0, v[1:2]
	v_not_b32_e32 v2, v2
	v_ashrrev_i32_e32 v2, 31, v2
	v_and_b32_e32 v4, v4, v39
	v_xor_b32_e32 v39, vcc_hi, v2
	v_xor_b32_e32 v2, vcc_lo, v2
	v_and_b32_e32 v37, v37, v2
	v_lshlrev_b32_e32 v2, 27, v3
	v_cmp_gt_i64_e32 vcc, 0, v[1:2]
	v_not_b32_e32 v2, v2
	;; [unrolled: 8-line block ×5, first 2 shown]
	v_ashrrev_i32_e32 v1, 31, v1
	v_xor_b32_e32 v2, vcc_hi, v1
	v_xor_b32_e32 v1, vcc_lo, v1
	ds_read_b32 v34, v35 offset:16
	v_and_b32_e32 v4, v4, v39
	v_and_b32_e32 v1, v37, v1
	;; [unrolled: 1-line block ×3, first 2 shown]
	v_mbcnt_lo_u32_b32 v3, v1, 0
	v_mbcnt_hi_u32_b32 v37, v2, v3
	v_cmp_ne_u64_e32 vcc, 0, v[1:2]
	v_cmp_eq_u32_e64 s[0:1], 0, v37
	s_and_b64 s[2:3], vcc, s[0:1]
	; wave barrier
	s_and_saveexec_b64 s[0:1], s[2:3]
	s_cbranch_execz .LBB97_165
; %bb.164:
	v_bcnt_u32_b32 v1, v1, 0
	v_bcnt_u32_b32 v1, v2, v1
	s_waitcnt lgkmcnt(0)
	v_add_u32_e32 v1, v34, v1
	ds_write_b32 v35, v1 offset:16
.LBB97_165:
	s_or_b64 exec, exec, s[0:1]
	v_xor_b32_e32 v36, 0x80000000, v36
	v_lshrrev_b32_e32 v1, s68, v36
	v_and_b32_e32 v3, s9, v1
	v_mul_lo_u32 v1, v3, 20
	v_and_b32_e32 v2, 1, v3
	v_add_co_u32_e32 v4, vcc, -1, v2
	v_addc_co_u32_e64 v41, s[0:1], 0, -1, vcc
	v_cmp_ne_u32_e32 vcc, 0, v2
	v_xor_b32_e32 v2, vcc_hi, v41
	v_lshl_add_u32 v40, v20, 2, v1
	v_mov_b32_e32 v1, 0
	v_and_b32_e32 v41, exec_hi, v2
	v_lshlrev_b32_e32 v2, 30, v3
	v_xor_b32_e32 v4, vcc_lo, v4
	v_cmp_gt_i64_e32 vcc, 0, v[1:2]
	v_not_b32_e32 v2, v2
	v_ashrrev_i32_e32 v2, 31, v2
	v_and_b32_e32 v4, exec_lo, v4
	v_xor_b32_e32 v42, vcc_hi, v2
	v_xor_b32_e32 v2, vcc_lo, v2
	v_and_b32_e32 v4, v4, v2
	v_lshlrev_b32_e32 v2, 29, v3
	v_cmp_gt_i64_e32 vcc, 0, v[1:2]
	v_not_b32_e32 v2, v2
	v_ashrrev_i32_e32 v2, 31, v2
	v_and_b32_e32 v41, v41, v42
	v_xor_b32_e32 v42, vcc_hi, v2
	v_xor_b32_e32 v2, vcc_lo, v2
	v_and_b32_e32 v4, v4, v2
	v_lshlrev_b32_e32 v2, 28, v3
	v_cmp_gt_i64_e32 vcc, 0, v[1:2]
	v_not_b32_e32 v2, v2
	v_ashrrev_i32_e32 v2, 31, v2
	v_and_b32_e32 v41, v41, v42
	;; [unrolled: 8-line block ×5, first 2 shown]
	v_xor_b32_e32 v42, vcc_hi, v2
	v_xor_b32_e32 v2, vcc_lo, v2
	v_and_b32_e32 v4, v4, v2
	v_lshlrev_b32_e32 v2, 24, v3
	v_cmp_gt_i64_e32 vcc, 0, v[1:2]
	v_not_b32_e32 v2, v2
	v_ashrrev_i32_e32 v2, 31, v2
	v_xor_b32_e32 v3, vcc_hi, v2
	v_xor_b32_e32 v2, vcc_lo, v2
	; wave barrier
	ds_read_b32 v39, v40 offset:16
	v_and_b32_e32 v41, v41, v42
	v_and_b32_e32 v2, v4, v2
	;; [unrolled: 1-line block ×3, first 2 shown]
	v_mbcnt_lo_u32_b32 v4, v2, 0
	v_mbcnt_hi_u32_b32 v41, v3, v4
	v_cmp_ne_u64_e32 vcc, 0, v[2:3]
	v_cmp_eq_u32_e64 s[0:1], 0, v41
	s_and_b64 s[2:3], vcc, s[0:1]
	; wave barrier
	s_and_saveexec_b64 s[0:1], s[2:3]
	s_cbranch_execz .LBB97_167
; %bb.166:
	v_bcnt_u32_b32 v2, v2, 0
	v_bcnt_u32_b32 v2, v3, v2
	s_waitcnt lgkmcnt(0)
	v_add_u32_e32 v2, v39, v2
	ds_write_b32 v40, v2 offset:16
.LBB97_167:
	s_or_b64 exec, exec, s[0:1]
	v_xor_b32_e32 v38, 0x80000000, v38
	v_lshrrev_b32_e32 v2, s68, v38
	v_and_b32_e32 v3, s9, v2
	v_mul_lo_u32 v2, v3, 20
	v_and_b32_e32 v4, 1, v3
	; wave barrier
	v_lshl_add_u32 v43, v20, 2, v2
	v_add_co_u32_e32 v2, vcc, -1, v4
	v_addc_co_u32_e64 v44, s[0:1], 0, -1, vcc
	v_cmp_ne_u32_e32 vcc, 0, v4
	v_xor_b32_e32 v2, vcc_lo, v2
	v_xor_b32_e32 v4, vcc_hi, v44
	v_and_b32_e32 v44, exec_lo, v2
	v_lshlrev_b32_e32 v2, 30, v3
	v_cmp_gt_i64_e32 vcc, 0, v[1:2]
	v_not_b32_e32 v2, v2
	v_ashrrev_i32_e32 v2, 31, v2
	v_xor_b32_e32 v45, vcc_hi, v2
	v_xor_b32_e32 v2, vcc_lo, v2
	v_and_b32_e32 v44, v44, v2
	v_lshlrev_b32_e32 v2, 29, v3
	v_cmp_gt_i64_e32 vcc, 0, v[1:2]
	v_not_b32_e32 v2, v2
	v_and_b32_e32 v4, exec_hi, v4
	v_ashrrev_i32_e32 v2, 31, v2
	v_and_b32_e32 v4, v4, v45
	v_xor_b32_e32 v45, vcc_hi, v2
	v_xor_b32_e32 v2, vcc_lo, v2
	v_and_b32_e32 v44, v44, v2
	v_lshlrev_b32_e32 v2, 28, v3
	v_cmp_gt_i64_e32 vcc, 0, v[1:2]
	v_not_b32_e32 v2, v2
	v_ashrrev_i32_e32 v2, 31, v2
	v_and_b32_e32 v4, v4, v45
	v_xor_b32_e32 v45, vcc_hi, v2
	v_xor_b32_e32 v2, vcc_lo, v2
	v_and_b32_e32 v44, v44, v2
	v_lshlrev_b32_e32 v2, 27, v3
	v_cmp_gt_i64_e32 vcc, 0, v[1:2]
	v_not_b32_e32 v2, v2
	;; [unrolled: 8-line block ×5, first 2 shown]
	v_ashrrev_i32_e32 v1, 31, v1
	v_xor_b32_e32 v2, vcc_hi, v1
	v_xor_b32_e32 v1, vcc_lo, v1
	ds_read_b32 v42, v43 offset:16
	v_and_b32_e32 v4, v4, v45
	v_and_b32_e32 v1, v44, v1
	v_and_b32_e32 v2, v4, v2
	v_mbcnt_lo_u32_b32 v3, v1, 0
	v_mbcnt_hi_u32_b32 v44, v2, v3
	v_cmp_ne_u64_e32 vcc, 0, v[1:2]
	v_cmp_eq_u32_e64 s[0:1], 0, v44
	s_and_b64 s[2:3], vcc, s[0:1]
	; wave barrier
	s_and_saveexec_b64 s[0:1], s[2:3]
	s_cbranch_execz .LBB97_169
; %bb.168:
	v_bcnt_u32_b32 v1, v1, 0
	v_bcnt_u32_b32 v1, v2, v1
	s_waitcnt lgkmcnt(0)
	v_add_u32_e32 v1, v42, v1
	ds_write_b32 v43, v1 offset:16
.LBB97_169:
	s_or_b64 exec, exec, s[0:1]
	v_xor_b32_e32 v33, 0x80000000, v33
	v_lshrrev_b32_e32 v1, s68, v33
	v_and_b32_e32 v3, s9, v1
	v_mul_lo_u32 v1, v3, 20
	v_and_b32_e32 v2, 1, v3
	v_add_co_u32_e32 v4, vcc, -1, v2
	v_addc_co_u32_e64 v47, s[0:1], 0, -1, vcc
	v_cmp_ne_u32_e32 vcc, 0, v2
	v_xor_b32_e32 v2, vcc_hi, v47
	v_lshl_add_u32 v46, v20, 2, v1
	v_mov_b32_e32 v1, 0
	v_and_b32_e32 v47, exec_hi, v2
	v_lshlrev_b32_e32 v2, 30, v3
	v_xor_b32_e32 v4, vcc_lo, v4
	v_cmp_gt_i64_e32 vcc, 0, v[1:2]
	v_not_b32_e32 v2, v2
	v_ashrrev_i32_e32 v2, 31, v2
	v_and_b32_e32 v4, exec_lo, v4
	v_xor_b32_e32 v48, vcc_hi, v2
	v_xor_b32_e32 v2, vcc_lo, v2
	v_and_b32_e32 v4, v4, v2
	v_lshlrev_b32_e32 v2, 29, v3
	v_cmp_gt_i64_e32 vcc, 0, v[1:2]
	v_not_b32_e32 v2, v2
	v_ashrrev_i32_e32 v2, 31, v2
	v_and_b32_e32 v47, v47, v48
	v_xor_b32_e32 v48, vcc_hi, v2
	v_xor_b32_e32 v2, vcc_lo, v2
	v_and_b32_e32 v4, v4, v2
	v_lshlrev_b32_e32 v2, 28, v3
	v_cmp_gt_i64_e32 vcc, 0, v[1:2]
	v_not_b32_e32 v2, v2
	v_ashrrev_i32_e32 v2, 31, v2
	v_and_b32_e32 v47, v47, v48
	;; [unrolled: 8-line block ×5, first 2 shown]
	v_xor_b32_e32 v48, vcc_hi, v2
	v_xor_b32_e32 v2, vcc_lo, v2
	v_and_b32_e32 v4, v4, v2
	v_lshlrev_b32_e32 v2, 24, v3
	v_cmp_gt_i64_e32 vcc, 0, v[1:2]
	v_not_b32_e32 v2, v2
	v_ashrrev_i32_e32 v2, 31, v2
	v_xor_b32_e32 v3, vcc_hi, v2
	v_xor_b32_e32 v2, vcc_lo, v2
	; wave barrier
	ds_read_b32 v45, v46 offset:16
	v_and_b32_e32 v47, v47, v48
	v_and_b32_e32 v2, v4, v2
	;; [unrolled: 1-line block ×3, first 2 shown]
	v_mbcnt_lo_u32_b32 v4, v2, 0
	v_mbcnt_hi_u32_b32 v47, v3, v4
	v_cmp_ne_u64_e32 vcc, 0, v[2:3]
	v_cmp_eq_u32_e64 s[0:1], 0, v47
	s_and_b64 s[2:3], vcc, s[0:1]
	; wave barrier
	s_and_saveexec_b64 s[0:1], s[2:3]
	s_cbranch_execz .LBB97_171
; %bb.170:
	v_bcnt_u32_b32 v2, v2, 0
	v_bcnt_u32_b32 v2, v3, v2
	s_waitcnt lgkmcnt(0)
	v_add_u32_e32 v2, v45, v2
	ds_write_b32 v46, v2 offset:16
.LBB97_171:
	s_or_b64 exec, exec, s[0:1]
	v_xor_b32_e32 v28, 0x80000000, v28
	v_lshrrev_b32_e32 v2, s68, v28
	v_and_b32_e32 v3, s9, v2
	v_mul_lo_u32 v2, v3, 20
	v_and_b32_e32 v4, 1, v3
	; wave barrier
	v_lshl_add_u32 v49, v20, 2, v2
	v_add_co_u32_e32 v2, vcc, -1, v4
	v_addc_co_u32_e64 v50, s[0:1], 0, -1, vcc
	v_cmp_ne_u32_e32 vcc, 0, v4
	v_xor_b32_e32 v2, vcc_lo, v2
	v_xor_b32_e32 v4, vcc_hi, v50
	v_and_b32_e32 v50, exec_lo, v2
	v_lshlrev_b32_e32 v2, 30, v3
	v_cmp_gt_i64_e32 vcc, 0, v[1:2]
	v_not_b32_e32 v2, v2
	v_ashrrev_i32_e32 v2, 31, v2
	v_xor_b32_e32 v51, vcc_hi, v2
	v_xor_b32_e32 v2, vcc_lo, v2
	v_and_b32_e32 v50, v50, v2
	v_lshlrev_b32_e32 v2, 29, v3
	v_cmp_gt_i64_e32 vcc, 0, v[1:2]
	v_not_b32_e32 v2, v2
	v_and_b32_e32 v4, exec_hi, v4
	v_ashrrev_i32_e32 v2, 31, v2
	v_and_b32_e32 v4, v4, v51
	v_xor_b32_e32 v51, vcc_hi, v2
	v_xor_b32_e32 v2, vcc_lo, v2
	v_and_b32_e32 v50, v50, v2
	v_lshlrev_b32_e32 v2, 28, v3
	v_cmp_gt_i64_e32 vcc, 0, v[1:2]
	v_not_b32_e32 v2, v2
	v_ashrrev_i32_e32 v2, 31, v2
	v_and_b32_e32 v4, v4, v51
	v_xor_b32_e32 v51, vcc_hi, v2
	v_xor_b32_e32 v2, vcc_lo, v2
	v_and_b32_e32 v50, v50, v2
	v_lshlrev_b32_e32 v2, 27, v3
	v_cmp_gt_i64_e32 vcc, 0, v[1:2]
	v_not_b32_e32 v2, v2
	;; [unrolled: 8-line block ×5, first 2 shown]
	v_ashrrev_i32_e32 v1, 31, v1
	v_xor_b32_e32 v2, vcc_hi, v1
	v_xor_b32_e32 v1, vcc_lo, v1
	ds_read_b32 v48, v49 offset:16
	v_and_b32_e32 v4, v4, v51
	v_and_b32_e32 v1, v50, v1
	;; [unrolled: 1-line block ×3, first 2 shown]
	v_mbcnt_lo_u32_b32 v3, v1, 0
	v_mbcnt_hi_u32_b32 v52, v2, v3
	v_cmp_ne_u64_e32 vcc, 0, v[1:2]
	v_cmp_eq_u32_e64 s[0:1], 0, v52
	s_and_b64 s[2:3], vcc, s[0:1]
	; wave barrier
	s_and_saveexec_b64 s[0:1], s[2:3]
	s_cbranch_execz .LBB97_173
; %bb.172:
	v_bcnt_u32_b32 v1, v1, 0
	v_bcnt_u32_b32 v1, v2, v1
	s_waitcnt lgkmcnt(0)
	v_add_u32_e32 v1, v48, v1
	ds_write_b32 v49, v1 offset:16
.LBB97_173:
	s_or_b64 exec, exec, s[0:1]
	v_xor_b32_e32 v51, 0x80000000, v23
	v_lshrrev_b32_e32 v1, s68, v51
	v_and_b32_e32 v3, s9, v1
	v_mul_lo_u32 v1, v3, 20
	v_and_b32_e32 v2, 1, v3
	v_add_co_u32_e32 v4, vcc, -1, v2
	v_addc_co_u32_e64 v50, s[0:1], 0, -1, vcc
	v_cmp_ne_u32_e32 vcc, 0, v2
	v_xor_b32_e32 v2, vcc_hi, v50
	v_lshl_add_u32 v23, v20, 2, v1
	v_mov_b32_e32 v1, 0
	v_and_b32_e32 v50, exec_hi, v2
	v_lshlrev_b32_e32 v2, 30, v3
	v_xor_b32_e32 v4, vcc_lo, v4
	v_cmp_gt_i64_e32 vcc, 0, v[1:2]
	v_not_b32_e32 v2, v2
	v_ashrrev_i32_e32 v2, 31, v2
	v_and_b32_e32 v4, exec_lo, v4
	v_xor_b32_e32 v54, vcc_hi, v2
	v_xor_b32_e32 v2, vcc_lo, v2
	v_and_b32_e32 v4, v4, v2
	v_lshlrev_b32_e32 v2, 29, v3
	v_cmp_gt_i64_e32 vcc, 0, v[1:2]
	v_not_b32_e32 v2, v2
	v_ashrrev_i32_e32 v2, 31, v2
	v_and_b32_e32 v50, v50, v54
	v_xor_b32_e32 v54, vcc_hi, v2
	v_xor_b32_e32 v2, vcc_lo, v2
	v_and_b32_e32 v4, v4, v2
	v_lshlrev_b32_e32 v2, 28, v3
	v_cmp_gt_i64_e32 vcc, 0, v[1:2]
	v_not_b32_e32 v2, v2
	v_ashrrev_i32_e32 v2, 31, v2
	v_and_b32_e32 v50, v50, v54
	;; [unrolled: 8-line block ×5, first 2 shown]
	v_xor_b32_e32 v54, vcc_hi, v2
	v_xor_b32_e32 v2, vcc_lo, v2
	v_and_b32_e32 v4, v4, v2
	v_lshlrev_b32_e32 v2, 24, v3
	v_cmp_gt_i64_e32 vcc, 0, v[1:2]
	v_not_b32_e32 v2, v2
	v_ashrrev_i32_e32 v2, 31, v2
	v_xor_b32_e32 v3, vcc_hi, v2
	v_xor_b32_e32 v2, vcc_lo, v2
	; wave barrier
	ds_read_b32 v53, v23 offset:16
	v_and_b32_e32 v50, v50, v54
	v_and_b32_e32 v2, v4, v2
	;; [unrolled: 1-line block ×3, first 2 shown]
	v_mbcnt_lo_u32_b32 v4, v2, 0
	v_mbcnt_hi_u32_b32 v55, v3, v4
	v_cmp_ne_u64_e32 vcc, 0, v[2:3]
	v_cmp_eq_u32_e64 s[0:1], 0, v55
	s_and_b64 s[2:3], vcc, s[0:1]
	; wave barrier
	s_and_saveexec_b64 s[0:1], s[2:3]
	s_cbranch_execz .LBB97_175
; %bb.174:
	v_bcnt_u32_b32 v2, v2, 0
	v_bcnt_u32_b32 v2, v3, v2
	s_waitcnt lgkmcnt(0)
	v_add_u32_e32 v2, v53, v2
	ds_write_b32 v23, v2 offset:16
.LBB97_175:
	s_or_b64 exec, exec, s[0:1]
	v_xor_b32_e32 v54, 0x80000000, v17
	v_lshrrev_b32_e32 v2, s68, v54
	v_and_b32_e32 v3, s9, v2
	v_mul_lo_u32 v2, v3, 20
	v_and_b32_e32 v4, 1, v3
	; wave barrier
	v_lshl_add_u32 v17, v20, 2, v2
	v_add_co_u32_e32 v2, vcc, -1, v4
	v_addc_co_u32_e64 v20, s[0:1], 0, -1, vcc
	v_cmp_ne_u32_e32 vcc, 0, v4
	v_xor_b32_e32 v2, vcc_lo, v2
	v_xor_b32_e32 v4, vcc_hi, v20
	v_and_b32_e32 v20, exec_lo, v2
	v_lshlrev_b32_e32 v2, 30, v3
	v_cmp_gt_i64_e32 vcc, 0, v[1:2]
	v_not_b32_e32 v2, v2
	v_ashrrev_i32_e32 v2, 31, v2
	v_xor_b32_e32 v50, vcc_hi, v2
	v_xor_b32_e32 v2, vcc_lo, v2
	v_and_b32_e32 v20, v20, v2
	v_lshlrev_b32_e32 v2, 29, v3
	v_cmp_gt_i64_e32 vcc, 0, v[1:2]
	v_not_b32_e32 v2, v2
	v_and_b32_e32 v4, exec_hi, v4
	v_ashrrev_i32_e32 v2, 31, v2
	v_and_b32_e32 v4, v4, v50
	v_xor_b32_e32 v50, vcc_hi, v2
	v_xor_b32_e32 v2, vcc_lo, v2
	v_and_b32_e32 v20, v20, v2
	v_lshlrev_b32_e32 v2, 28, v3
	v_cmp_gt_i64_e32 vcc, 0, v[1:2]
	v_not_b32_e32 v2, v2
	v_ashrrev_i32_e32 v2, 31, v2
	v_and_b32_e32 v4, v4, v50
	v_xor_b32_e32 v50, vcc_hi, v2
	v_xor_b32_e32 v2, vcc_lo, v2
	v_and_b32_e32 v20, v20, v2
	v_lshlrev_b32_e32 v2, 27, v3
	v_cmp_gt_i64_e32 vcc, 0, v[1:2]
	v_not_b32_e32 v2, v2
	v_ashrrev_i32_e32 v2, 31, v2
	v_and_b32_e32 v4, v4, v50
	v_xor_b32_e32 v50, vcc_hi, v2
	v_xor_b32_e32 v2, vcc_lo, v2
	v_and_b32_e32 v20, v20, v2
	v_lshlrev_b32_e32 v2, 26, v3
	v_cmp_gt_i64_e32 vcc, 0, v[1:2]
	v_not_b32_e32 v2, v2
	v_ashrrev_i32_e32 v2, 31, v2
	v_and_b32_e32 v4, v4, v50
	v_xor_b32_e32 v50, vcc_hi, v2
	v_xor_b32_e32 v2, vcc_lo, v2
	v_and_b32_e32 v20, v20, v2
	v_lshlrev_b32_e32 v2, 25, v3
	v_cmp_gt_i64_e32 vcc, 0, v[1:2]
	v_not_b32_e32 v2, v2
	v_ashrrev_i32_e32 v2, 31, v2
	v_and_b32_e32 v4, v4, v50
	v_xor_b32_e32 v50, vcc_hi, v2
	v_xor_b32_e32 v2, vcc_lo, v2
	v_and_b32_e32 v20, v20, v2
	v_lshlrev_b32_e32 v2, 24, v3
	v_cmp_gt_i64_e32 vcc, 0, v[1:2]
	v_not_b32_e32 v1, v2
	v_ashrrev_i32_e32 v1, 31, v1
	v_xor_b32_e32 v2, vcc_hi, v1
	v_xor_b32_e32 v1, vcc_lo, v1
	ds_read_b32 v56, v17 offset:16
	v_and_b32_e32 v4, v4, v50
	v_and_b32_e32 v1, v20, v1
	;; [unrolled: 1-line block ×3, first 2 shown]
	v_mbcnt_lo_u32_b32 v3, v1, 0
	v_mbcnt_hi_u32_b32 v57, v2, v3
	v_cmp_ne_u64_e32 vcc, 0, v[1:2]
	v_cmp_eq_u32_e64 s[0:1], 0, v57
	s_and_b64 s[2:3], vcc, s[0:1]
	; wave barrier
	s_and_saveexec_b64 s[0:1], s[2:3]
	s_cbranch_execz .LBB97_177
; %bb.176:
	v_bcnt_u32_b32 v1, v1, 0
	v_bcnt_u32_b32 v1, v2, v1
	s_waitcnt lgkmcnt(0)
	v_add_u32_e32 v1, v56, v1
	ds_write_b32 v17, v1 offset:16
.LBB97_177:
	s_or_b64 exec, exec, s[0:1]
	; wave barrier
	s_waitcnt lgkmcnt(0)
	s_barrier
	ds_read2_b32 v[3:4], v6 offset0:4 offset1:5
	ds_read2_b32 v[1:2], v6 offset0:6 offset1:7
	ds_read_b32 v20, v6 offset:32
	v_min_u32_e32 v9, 0xc0, v9
	v_or_b32_e32 v9, 63, v9
	s_waitcnt lgkmcnt(1)
	v_add3_u32 v50, v4, v3, v1
	s_waitcnt lgkmcnt(0)
	v_add3_u32 v20, v50, v2, v20
	v_and_b32_e32 v50, 15, v8
	v_cmp_ne_u32_e32 vcc, 0, v50
	v_mov_b32_dpp v58, v20 row_shr:1 row_mask:0xf bank_mask:0xf
	v_cndmask_b32_e32 v58, 0, v58, vcc
	v_add_u32_e32 v20, v58, v20
	v_cmp_lt_u32_e32 vcc, 1, v50
	s_nop 0
	v_mov_b32_dpp v58, v20 row_shr:2 row_mask:0xf bank_mask:0xf
	v_cndmask_b32_e32 v58, 0, v58, vcc
	v_add_u32_e32 v20, v20, v58
	v_cmp_lt_u32_e32 vcc, 3, v50
	s_nop 0
	;; [unrolled: 5-line block ×3, first 2 shown]
	v_mov_b32_dpp v58, v20 row_shr:8 row_mask:0xf bank_mask:0xf
	v_cndmask_b32_e32 v50, 0, v58, vcc
	v_add_u32_e32 v20, v20, v50
	v_bfe_i32 v58, v8, 4, 1
	v_cmp_lt_u32_e32 vcc, 31, v8
	v_mov_b32_dpp v50, v20 row_bcast:15 row_mask:0xf bank_mask:0xf
	v_and_b32_e32 v50, v58, v50
	v_add_u32_e32 v20, v20, v50
	v_lshrrev_b32_e32 v58, 6, v0
	s_nop 0
	v_mov_b32_dpp v50, v20 row_bcast:31 row_mask:0xf bank_mask:0xf
	v_cndmask_b32_e32 v50, 0, v50, vcc
	v_add_u32_e32 v20, v20, v50
	v_cmp_eq_u32_e32 vcc, v0, v9
	s_and_saveexec_b64 s[0:1], vcc
; %bb.178:
	v_lshlrev_b32_e32 v9, 2, v58
	ds_write_b32 v9, v20
; %bb.179:
	s_or_b64 exec, exec, s[0:1]
	v_cmp_gt_u32_e32 vcc, 4, v0
	v_lshlrev_b32_e32 v50, 2, v0
	s_waitcnt lgkmcnt(0)
	s_barrier
	s_and_saveexec_b64 s[0:1], vcc
	s_cbranch_execz .LBB97_181
; %bb.180:
	ds_read_b32 v9, v50
	v_and_b32_e32 v59, 3, v8
	v_cmp_ne_u32_e32 vcc, 0, v59
	s_waitcnt lgkmcnt(0)
	v_mov_b32_dpp v60, v9 row_shr:1 row_mask:0xf bank_mask:0xf
	v_cndmask_b32_e32 v60, 0, v60, vcc
	v_add_u32_e32 v9, v60, v9
	v_cmp_lt_u32_e32 vcc, 1, v59
	s_nop 0
	v_mov_b32_dpp v60, v9 row_shr:2 row_mask:0xf bank_mask:0xf
	v_cndmask_b32_e32 v59, 0, v60, vcc
	v_add_u32_e32 v9, v9, v59
	ds_write_b32 v50, v9
.LBB97_181:
	s_or_b64 exec, exec, s[0:1]
	v_cmp_lt_u32_e32 vcc, 63, v0
	v_mov_b32_e32 v9, 0
	s_waitcnt lgkmcnt(0)
	s_barrier
	s_and_saveexec_b64 s[0:1], vcc
; %bb.182:
	v_lshl_add_u32 v9, v58, 2, -4
	ds_read_b32 v9, v9
; %bb.183:
	s_or_b64 exec, exec, s[0:1]
	v_add_u32_e32 v58, -1, v8
	v_and_b32_e32 v59, 64, v8
	v_cmp_lt_i32_e32 vcc, v58, v59
	v_cndmask_b32_e32 v58, v58, v8, vcc
	s_waitcnt lgkmcnt(0)
	v_add_u32_e32 v20, v9, v20
	v_lshlrev_b32_e32 v58, 2, v58
	ds_bpermute_b32 v20, v58, v20
	v_cmp_eq_u32_e32 vcc, 0, v8
	s_movk_i32 s0, 0x100
	s_waitcnt lgkmcnt(0)
	v_cndmask_b32_e32 v9, v20, v9, vcc
	v_cmp_ne_u32_e32 vcc, 0, v0
	v_cndmask_b32_e32 v9, 0, v9, vcc
	v_add_u32_e32 v3, v9, v3
	v_add_u32_e32 v4, v3, v4
	;; [unrolled: 1-line block ×4, first 2 shown]
	ds_write2_b32 v6, v9, v3 offset0:4 offset1:5
	ds_write2_b32 v6, v4, v1 offset0:6 offset1:7
	ds_write_b32 v6, v2 offset:32
	s_waitcnt lgkmcnt(0)
	s_barrier
	ds_read_b32 v2, v43 offset:16
	ds_read_b32 v3, v46 offset:16
	;; [unrolled: 1-line block ×13, first 2 shown]
	v_add_u32_e32 v6, 1, v0
	v_cmp_ne_u32_e32 vcc, s0, v6
	v_mov_b32_e32 v1, 0xc00
	s_and_saveexec_b64 s[0:1], vcc
; %bb.184:
	v_mul_u32_u24_e32 v1, 20, v6
	ds_read_b32 v1, v1 offset:16
; %bb.185:
	s_or_b64 exec, exec, s[0:1]
	s_waitcnt lgkmcnt(7)
	v_add_u32_e32 v30, v10, v12
	s_waitcnt lgkmcnt(6)
	v_add3_u32 v25, v16, v13, v14
	s_waitcnt lgkmcnt(5)
	v_add3_u32 v23, v22, v18, v17
	v_add3_u32 v17, v44, v42, v2
	v_lshlrev_b32_e32 v2, 2, v30
	s_waitcnt lgkmcnt(0)
	s_barrier
	ds_write_b32 v2, v5 offset:2048
	v_lshlrev_b32_e32 v2, 2, v25
	v_add3_u32 v22, v27, v24, v19
	ds_write_b32 v2, v11 offset:2048
	v_lshlrev_b32_e32 v2, 2, v23
	v_add3_u32 v20, v32, v29, v20
	;; [unrolled: 3-line block ×4, first 2 shown]
	ds_write_b32 v2, v26 offset:2048
	v_lshlrev_b32_e32 v2, 2, v19
	ds_write_b32 v2, v31 offset:2048
	v_lshlrev_b32_e32 v2, 2, v18
	v_add3_u32 v16, v47, v45, v3
	ds_write_b32 v2, v36 offset:2048
	v_lshlrev_b32_e32 v2, 2, v17
	v_add3_u32 v14, v52, v48, v4
	ds_write_b32 v2, v38 offset:2048
	v_lshlrev_b32_e32 v2, 2, v16
	v_add3_u32 v13, v55, v53, v43
	ds_write_b32 v2, v33 offset:2048
	v_lshlrev_b32_e32 v2, 2, v14
	v_add3_u32 v12, v57, v56, v46
	ds_write_b32 v2, v28 offset:2048
	v_lshlrev_b32_e32 v2, 2, v13
	ds_write_b32 v2, v51 offset:2048
	v_lshlrev_b32_e32 v2, 2, v12
	ds_write_b32 v2, v54 offset:2048
	v_sub_u32_e32 v10, v1, v9
	v_lshl_or_b32 v1, s6, 8, v0
	v_mov_b32_e32 v2, 0
	v_lshlrev_b64 v[3:4], 2, v[1:2]
	v_mov_b32_e32 v11, s73
	v_add_co_u32_e32 v3, vcc, s72, v3
	v_addc_co_u32_e32 v4, vcc, v11, v4, vcc
	v_or_b32_e32 v1, 2.0, v10
	s_mov_b64 s[0:1], 0
	s_brev_b32 s10, -4
	v_mov_b32_e32 v15, 0
	s_waitcnt lgkmcnt(0)
	s_barrier
	global_store_dword v[3:4], v1, off
                                        ; implicit-def: $sgpr2_sgpr3
	s_branch .LBB97_188
.LBB97_186:                             ;   in Loop: Header=BB97_188 Depth=1
	s_or_b64 exec, exec, s[4:5]
.LBB97_187:                             ;   in Loop: Header=BB97_188 Depth=1
	s_or_b64 exec, exec, s[2:3]
	v_and_b32_e32 v5, 0x3fffffff, v1
	v_add_u32_e32 v15, v5, v15
	v_cmp_gt_i32_e64 s[2:3], -2.0, v1
	s_and_b64 s[4:5], exec, s[2:3]
	s_or_b64 s[0:1], s[4:5], s[0:1]
	s_andn2_b64 exec, exec, s[0:1]
	s_cbranch_execz .LBB97_193
.LBB97_188:                             ; =>This Loop Header: Depth=1
                                        ;     Child Loop BB97_191 Depth 2
	s_or_b64 s[2:3], s[2:3], exec
	s_cmp_eq_u32 s7, 0
	s_cbranch_scc1 .LBB97_192
; %bb.189:                              ;   in Loop: Header=BB97_188 Depth=1
	s_add_i32 s7, s7, -1
	v_lshl_or_b32 v1, s7, 8, v0
	v_lshlrev_b64 v[5:6], 2, v[1:2]
	v_add_co_u32_e32 v5, vcc, s72, v5
	v_addc_co_u32_e32 v6, vcc, v11, v6, vcc
	global_load_dword v1, v[5:6], off glc
	s_waitcnt vmcnt(0)
	v_cmp_gt_u32_e32 vcc, 2.0, v1
	s_and_saveexec_b64 s[2:3], vcc
	s_cbranch_execz .LBB97_187
; %bb.190:                              ;   in Loop: Header=BB97_188 Depth=1
	s_mov_b64 s[4:5], 0
.LBB97_191:                             ;   Parent Loop BB97_188 Depth=1
                                        ; =>  This Inner Loop Header: Depth=2
	global_load_dword v1, v[5:6], off glc
	s_waitcnt vmcnt(0)
	v_cmp_lt_u32_e32 vcc, s10, v1
	s_or_b64 s[4:5], vcc, s[4:5]
	s_andn2_b64 exec, exec, s[4:5]
	s_cbranch_execnz .LBB97_191
	s_branch .LBB97_186
.LBB97_192:                             ;   in Loop: Header=BB97_188 Depth=1
                                        ; implicit-def: $sgpr7
	s_and_b64 s[4:5], exec, s[2:3]
	s_or_b64 s[0:1], s[4:5], s[0:1]
	s_andn2_b64 exec, exec, s[0:1]
	s_cbranch_execnz .LBB97_188
.LBB97_193:
	s_or_b64 exec, exec, s[0:1]
	v_add_u32_e32 v2, v15, v10
	v_or_b32_e32 v2, 0x80000000, v2
	v_lshlrev_b32_e32 v1, 3, v0
	global_store_dword v[3:4], v2, off
	global_load_dwordx2 v[2:3], v1, s[64:65]
	v_sub_co_u32_e32 v4, vcc, v15, v9
	v_subb_co_u32_e64 v5, s[0:1], 0, 0, vcc
	v_sub_u32_e32 v24, v1, v50
	v_mov_b32_e32 v6, s59
	v_mov_b32_e32 v11, s59
	;; [unrolled: 1-line block ×4, first 2 shown]
	v_or_b32_e32 v57, 0x400, v0
	v_or_b32_e32 v66, 0x600, v0
	v_or_b32_e32 v67, 0x700, v0
	s_lshl_b64 s[0:1], s[54:55], 3
	s_add_u32 s0, s60, s0
	s_addc_u32 s1, s61, s1
	v_lshlrev_b32_e32 v7, 3, v7
	v_or_b32_e32 v68, 0x800, v0
	s_add_i32 s8, s8, -1
	s_cmp_lg_u32 s6, s8
	s_waitcnt vmcnt(0)
	v_add_co_u32_e32 v2, vcc, v4, v2
	v_addc_co_u32_e32 v3, vcc, v5, v3, vcc
	ds_write_b64 v1, v[2:3]
	s_waitcnt lgkmcnt(0)
	s_barrier
	ds_read2st64_b32 v[2:3], v24 offset0:8 offset1:12
	ds_read2st64_b32 v[4:5], v24 offset0:16 offset1:20
	;; [unrolled: 1-line block ×4, first 2 shown]
	s_waitcnt lgkmcnt(2)
	v_xor_b32_e32 v39, 0x80000000, v4
	v_lshrrev_b32_e32 v31, s68, v2
	v_xor_b32_e32 v37, 0x80000000, v2
	v_lshrrev_b32_e32 v2, s68, v3
	v_xor_b32_e32 v38, 0x80000000, v3
	v_lshrrev_b32_e32 v3, s68, v4
	v_lshrrev_b32_e32 v4, s68, v5
	v_xor_b32_e32 v40, 0x80000000, v5
	s_waitcnt lgkmcnt(1)
	v_lshrrev_b32_e32 v5, s68, v26
	v_lshrrev_b32_e32 v32, s68, v27
	s_waitcnt lgkmcnt(0)
	v_lshrrev_b32_e32 v33, s68, v28
	v_lshrrev_b32_e32 v34, s68, v29
	v_and_b32_e32 v31, s9, v31
	v_and_b32_e32 v2, s9, v2
	;; [unrolled: 1-line block ×8, first 2 shown]
	v_lshlrev_b32_e32 v58, 3, v31
	v_lshlrev_b32_e32 v59, 3, v2
	;; [unrolled: 1-line block ×8, first 2 shown]
	ds_read_b64 v[2:3], v58
	ds_read_b64 v[4:5], v59
	;; [unrolled: 1-line block ×5, first 2 shown]
	s_waitcnt lgkmcnt(4)
	v_lshlrev_b64 v[2:3], 2, v[2:3]
	s_waitcnt lgkmcnt(3)
	v_lshlrev_b64 v[4:5], 2, v[4:5]
	v_add_co_u32_e32 v2, vcc, s58, v2
	v_addc_co_u32_e32 v3, vcc, v6, v3, vcc
	s_waitcnt lgkmcnt(2)
	v_lshlrev_b64 v[31:32], 2, v[31:32]
	v_add_co_u32_e32 v4, vcc, s58, v4
	v_addc_co_u32_e32 v5, vcc, v11, v5, vcc
	;; [unrolled: 4-line block ×3, first 2 shown]
	v_add_co_u32_e32 v15, vcc, s58, v33
	v_addc_co_u32_e32 v21, vcc, v21, v34, vcc
	v_add_co_u32_e32 v2, vcc, v2, v50
	v_addc_co_u32_e32 v3, vcc, 0, v3, vcc
	;; [unrolled: 2-line block ×5, first 2 shown]
	global_store_dword v[2:3], v37, off
	global_store_dword v[4:5], v38, off offset:1024
	global_store_dword v[31:32], v39, off offset:2048
	;; [unrolled: 1-line block ×3, first 2 shown]
	s_waitcnt lgkmcnt(0)
	v_lshlrev_b64 v[33:34], 2, v[35:36]
	ds_read_b64 v[2:3], v63
	ds_read_b64 v[4:5], v64
	;; [unrolled: 1-line block ×3, first 2 shown]
	v_mov_b32_e32 v6, s59
	v_add_co_u32_e32 v11, vcc, s58, v33
	v_addc_co_u32_e32 v6, vcc, v6, v34, vcc
	v_lshlrev_b32_e32 v15, 2, v57
	v_add_co_u32_e32 v33, vcc, v11, v15
	s_waitcnt lgkmcnt(2)
	v_lshlrev_b64 v[2:3], 2, v[2:3]
	v_addc_co_u32_e32 v34, vcc, 0, v6, vcc
	v_or_b32_e32 v21, 0x500, v0
	v_mov_b32_e32 v11, s59
	v_add_co_u32_e32 v2, vcc, s58, v2
	v_addc_co_u32_e32 v3, vcc, v11, v3, vcc
	v_lshlrev_b32_e32 v11, 2, v21
	v_add_co_u32_e32 v2, vcc, v2, v11
	v_xor_b32_e32 v26, 0x80000000, v26
	v_xor_b32_e32 v6, 0x80000000, v27
	v_addc_co_u32_e32 v3, vcc, 0, v3, vcc
	global_store_dword v[33:34], v26, off
	global_store_dword v[2:3], v6, off
	s_waitcnt lgkmcnt(1)
	v_lshlrev_b64 v[2:3], 2, v[4:5]
	v_mov_b32_e32 v4, s59
	v_add_co_u32_e32 v2, vcc, s58, v2
	v_addc_co_u32_e32 v3, vcc, v4, v3, vcc
	v_lshlrev_b32_e32 v4, 2, v66
	v_add_co_u32_e32 v2, vcc, v2, v4
	v_xor_b32_e32 v6, 0x80000000, v28
	v_addc_co_u32_e32 v3, vcc, 0, v3, vcc
	global_store_dword v[2:3], v6, off
	s_waitcnt lgkmcnt(0)
	v_lshlrev_b64 v[2:3], 2, v[31:32]
	v_mov_b32_e32 v4, s59
	v_add_co_u32_e32 v5, vcc, s58, v2
	v_addc_co_u32_e32 v11, vcc, v4, v3, vcc
	ds_read2st64_b32 v[2:3], v24 offset0:40 offset1:44
	v_lshlrev_b32_e32 v4, 2, v67
	v_add_co_u32_e32 v4, vcc, v5, v4
	v_xor_b32_e32 v6, 0x80000000, v29
	v_addc_co_u32_e32 v5, vcc, 0, v11, vcc
	global_store_dword v[4:5], v6, off
	s_waitcnt lgkmcnt(0)
	v_lshrrev_b32_e32 v4, s68, v2
	v_and_b32_e32 v6, s9, v4
	ds_read2st64_b32 v[4:5], v24 offset0:48 offset1:52
	v_lshlrev_b32_e32 v24, 3, v6
	v_lshrrev_b32_e32 v6, s68, v3
	v_and_b32_e32 v6, s9, v6
	v_lshlrev_b32_e32 v69, 3, v6
	s_waitcnt lgkmcnt(0)
	v_lshrrev_b32_e32 v6, s68, v4
	v_and_b32_e32 v6, s9, v6
	v_lshlrev_b32_e32 v70, 3, v6
	v_lshrrev_b32_e32 v6, s68, v5
	v_and_b32_e32 v11, s9, v6
	v_lshlrev_b32_e32 v6, 3, v8
	v_mov_b32_e32 v8, s1
	v_add_co_u32_e32 v6, vcc, s0, v6
	v_addc_co_u32_e32 v8, vcc, 0, v8, vcc
	v_add_co_u32_e32 v6, vcc, v6, v7
	v_addc_co_u32_e32 v7, vcc, 0, v8, vcc
	global_load_dwordx2 v[26:27], v[6:7], off
	s_movk_i32 s0, 0x1000
	global_load_dwordx2 v[28:29], v[6:7], off offset:512
	global_load_dwordx2 v[31:32], v[6:7], off offset:1024
	;; [unrolled: 1-line block ×7, first 2 shown]
	v_add_co_u32_e32 v6, vcc, s0, v6
	v_addc_co_u32_e32 v7, vcc, 0, v7, vcc
	global_load_dwordx2 v[43:44], v[6:7], off
	global_load_dwordx2 v[45:46], v[6:7], off offset:512
	v_lshlrev_b32_e32 v8, 3, v11
	ds_read_b64 v[47:48], v24
	ds_read_b64 v[49:50], v69
	;; [unrolled: 1-line block ×4, first 2 shown]
	global_load_dwordx2 v[55:56], v[6:7], off offset:1024
	s_waitcnt lgkmcnt(3)
	v_lshlrev_b64 v[47:48], 2, v[47:48]
	global_load_dwordx2 v[6:7], v[6:7], off offset:1536
	v_mov_b32_e32 v11, s59
	v_add_co_u32_e32 v15, vcc, s58, v47
	v_addc_co_u32_e32 v11, vcc, v11, v48, vcc
	v_lshlrev_b32_e32 v47, 2, v68
	v_add_co_u32_e32 v47, vcc, v15, v47
	v_xor_b32_e32 v2, 0x80000000, v2
	v_addc_co_u32_e32 v48, vcc, 0, v11, vcc
	global_store_dword v[47:48], v2, off
	v_xor_b32_e32 v11, 0x80000000, v3
	s_waitcnt lgkmcnt(2)
	v_lshlrev_b64 v[2:3], 2, v[49:50]
	v_or_b32_e32 v47, 0x900, v0
	v_mov_b32_e32 v15, s59
	v_add_co_u32_e32 v2, vcc, s58, v2
	v_addc_co_u32_e32 v3, vcc, v15, v3, vcc
	v_lshlrev_b32_e32 v15, 2, v47
	v_add_co_u32_e32 v2, vcc, v2, v15
	v_addc_co_u32_e32 v3, vcc, 0, v3, vcc
	global_store_dword v[2:3], v11, off
	s_waitcnt lgkmcnt(1)
	v_lshlrev_b64 v[2:3], 2, v[51:52]
	v_or_b32_e32 v48, 0xa00, v0
	v_mov_b32_e32 v11, s59
	v_add_co_u32_e32 v2, vcc, s58, v2
	v_addc_co_u32_e32 v3, vcc, v11, v3, vcc
	v_lshlrev_b32_e32 v11, 2, v48
	v_add_co_u32_e32 v2, vcc, v2, v11
	v_xor_b32_e32 v4, 0x80000000, v4
	v_addc_co_u32_e32 v3, vcc, 0, v3, vcc
	global_store_dword v[2:3], v4, off
	s_waitcnt lgkmcnt(0)
	v_lshlrev_b64 v[2:3], 2, v[53:54]
	v_or_b32_e32 v0, 0xb00, v0
	v_xor_b32_e32 v4, 0x80000000, v5
	v_mov_b32_e32 v5, s59
	v_add_co_u32_e32 v2, vcc, s58, v2
	v_addc_co_u32_e32 v3, vcc, v5, v3, vcc
	v_lshlrev_b32_e32 v5, 2, v0
	v_add_co_u32_e32 v2, vcc, v2, v5
	v_addc_co_u32_e32 v3, vcc, 0, v3, vcc
	global_store_dword v[2:3], v4, off
	v_lshlrev_b32_e32 v2, 3, v30
	s_waitcnt vmcnt(0)
	s_barrier
	v_lshlrev_b32_e32 v0, 3, v0
	ds_write_b64 v2, v[26:27] offset:2048
	v_lshlrev_b32_e32 v2, 3, v25
	ds_write_b64 v2, v[28:29] offset:2048
	;; [unrolled: 2-line block ×12, first 2 shown]
	s_waitcnt lgkmcnt(0)
	s_barrier
	ds_read_b64 v[6:7], v58
	ds_read2st64_b64 v[2:5], v1 offset0:4 offset1:8
	ds_read_b64 v[11:12], v59
	ds_read_b64 v[13:14], v60
	;; [unrolled: 1-line block ×3, first 2 shown]
	s_waitcnt lgkmcnt(4)
	v_lshlrev_b64 v[6:7], 3, v[6:7]
	v_mov_b32_e32 v17, s63
	v_add_co_u32_e32 v6, vcc, s62, v6
	v_addc_co_u32_e32 v7, vcc, v17, v7, vcc
	v_add_co_u32_e32 v6, vcc, v6, v1
	v_addc_co_u32_e32 v7, vcc, 0, v7, vcc
	s_waitcnt lgkmcnt(3)
	global_store_dwordx2 v[6:7], v[2:3], off
	s_waitcnt lgkmcnt(2)
	v_lshlrev_b64 v[2:3], 3, v[11:12]
	v_mov_b32_e32 v6, s63
	v_add_co_u32_e32 v2, vcc, s62, v2
	v_addc_co_u32_e32 v3, vcc, v6, v3, vcc
	v_add_co_u32_e32 v2, vcc, v2, v1
	v_addc_co_u32_e32 v3, vcc, 0, v3, vcc
	s_waitcnt lgkmcnt(1)
	v_lshlrev_b64 v[6:7], 3, v[13:14]
	global_store_dwordx2 v[2:3], v[4:5], off offset:2048
	ds_read2st64_b64 v[2:5], v1 offset0:12 offset1:16
	v_mov_b32_e32 v11, s63
	v_add_co_u32_e32 v6, vcc, s62, v6
	v_addc_co_u32_e32 v7, vcc, v11, v7, vcc
	v_or_b32_e32 v11, 0x1000, v1
	v_add_co_u32_e32 v6, vcc, v6, v11
	v_addc_co_u32_e32 v7, vcc, 0, v7, vcc
	s_waitcnt lgkmcnt(0)
	global_store_dwordx2 v[6:7], v[2:3], off
	v_lshlrev_b64 v[2:3], 3, v[15:16]
	v_mov_b32_e32 v6, s63
	v_add_co_u32_e32 v2, vcc, s62, v2
	v_addc_co_u32_e32 v3, vcc, v6, v3, vcc
	v_or_b32_e32 v6, 0x1800, v1
	v_add_co_u32_e32 v2, vcc, v2, v6
	v_addc_co_u32_e32 v3, vcc, 0, v3, vcc
	global_store_dwordx2 v[2:3], v[4:5], off
	ds_read_b64 v[6:7], v62
	ds_read2st64_b64 v[2:5], v1 offset0:20 offset1:24
	ds_read_b64 v[11:12], v63
	ds_read_b64 v[13:14], v64
	;; [unrolled: 1-line block ×3, first 2 shown]
	s_waitcnt lgkmcnt(4)
	v_lshlrev_b64 v[6:7], 3, v[6:7]
	v_add_co_u32_e32 v6, vcc, s62, v6
	v_addc_co_u32_e32 v7, vcc, v17, v7, vcc
	v_lshlrev_b32_e32 v17, 3, v57
	v_add_co_u32_e32 v6, vcc, v6, v17
	v_addc_co_u32_e32 v7, vcc, 0, v7, vcc
	s_waitcnt lgkmcnt(3)
	global_store_dwordx2 v[6:7], v[2:3], off
	s_waitcnt lgkmcnt(2)
	v_lshlrev_b64 v[2:3], 3, v[11:12]
	v_mov_b32_e32 v6, s63
	v_add_co_u32_e32 v2, vcc, s62, v2
	v_addc_co_u32_e32 v3, vcc, v6, v3, vcc
	v_lshlrev_b32_e32 v6, 3, v21
	v_add_co_u32_e32 v2, vcc, v2, v6
	v_addc_co_u32_e32 v3, vcc, 0, v3, vcc
	s_waitcnt lgkmcnt(1)
	v_lshlrev_b64 v[6:7], 3, v[13:14]
	global_store_dwordx2 v[2:3], v[4:5], off
	ds_read2st64_b64 v[2:5], v1 offset0:28 offset1:32
	v_mov_b32_e32 v11, s63
	v_add_co_u32_e32 v6, vcc, s62, v6
	v_addc_co_u32_e32 v7, vcc, v11, v7, vcc
	v_lshlrev_b32_e32 v11, 3, v66
	v_add_co_u32_e32 v6, vcc, v6, v11
	v_addc_co_u32_e32 v7, vcc, 0, v7, vcc
	s_waitcnt lgkmcnt(0)
	global_store_dwordx2 v[6:7], v[2:3], off
	v_lshlrev_b64 v[2:3], 3, v[15:16]
	v_mov_b32_e32 v6, s63
	v_add_co_u32_e32 v2, vcc, s62, v2
	v_addc_co_u32_e32 v3, vcc, v6, v3, vcc
	v_lshlrev_b32_e32 v6, 3, v67
	v_add_co_u32_e32 v2, vcc, v2, v6
	v_addc_co_u32_e32 v3, vcc, 0, v3, vcc
	global_store_dwordx2 v[2:3], v[4:5], off
	ds_read_b64 v[6:7], v24
	ds_read2st64_b64 v[2:5], v1 offset0:36 offset1:40
	ds_read_b64 v[11:12], v69
	ds_read_b64 v[13:14], v70
	;; [unrolled: 1-line block ×3, first 2 shown]
	s_waitcnt lgkmcnt(4)
	v_lshlrev_b64 v[6:7], 3, v[6:7]
	v_mov_b32_e32 v8, s63
	v_add_co_u32_e32 v6, vcc, s62, v6
	v_addc_co_u32_e32 v7, vcc, v8, v7, vcc
	v_lshlrev_b32_e32 v8, 3, v68
	v_add_co_u32_e32 v6, vcc, v6, v8
	v_addc_co_u32_e32 v7, vcc, 0, v7, vcc
	s_waitcnt lgkmcnt(3)
	global_store_dwordx2 v[6:7], v[2:3], off
	s_waitcnt lgkmcnt(2)
	v_lshlrev_b64 v[2:3], 3, v[11:12]
	v_mov_b32_e32 v6, s63
	v_add_co_u32_e32 v2, vcc, s62, v2
	v_addc_co_u32_e32 v3, vcc, v6, v3, vcc
	v_lshlrev_b32_e32 v6, 3, v47
	v_add_co_u32_e32 v2, vcc, v2, v6
	v_addc_co_u32_e32 v3, vcc, 0, v3, vcc
	s_waitcnt lgkmcnt(1)
	v_lshlrev_b64 v[6:7], 3, v[13:14]
	global_store_dwordx2 v[2:3], v[4:5], off
	ds_read2st64_b64 v[2:5], v1 offset0:44 offset1:48
	v_mov_b32_e32 v8, s63
	v_add_co_u32_e32 v6, vcc, s62, v6
	v_addc_co_u32_e32 v7, vcc, v8, v7, vcc
	v_lshlrev_b32_e32 v8, 3, v48
	v_add_co_u32_e32 v6, vcc, v6, v8
	v_addc_co_u32_e32 v7, vcc, 0, v7, vcc
	s_waitcnt lgkmcnt(0)
	global_store_dwordx2 v[6:7], v[2:3], off
	v_lshlrev_b64 v[2:3], 3, v[15:16]
	v_mov_b32_e32 v6, s63
	v_add_co_u32_e32 v2, vcc, s62, v2
	v_addc_co_u32_e32 v3, vcc, v6, v3, vcc
	v_add_co_u32_e32 v2, vcc, v2, v0
	v_addc_co_u32_e32 v3, vcc, 0, v3, vcc
	global_store_dwordx2 v[2:3], v[4:5], off
	s_cbranch_scc1 .LBB97_195
; %bb.194:
	ds_read_b64 v[2:3], v1
	v_add_co_u32_e32 v0, vcc, v10, v9
	v_addc_co_u32_e64 v4, s[0:1], 0, 0, vcc
	s_waitcnt lgkmcnt(0)
	v_add_co_u32_e32 v2, vcc, v0, v2
	v_addc_co_u32_e32 v3, vcc, v4, v3, vcc
	global_store_dwordx2 v1, v[2:3], s[66:67]
.LBB97_195:
	s_endpgm
.LBB97_196:
	s_or_b64 exec, exec, s[0:1]
	s_and_saveexec_b64 s[0:1], s[26:27]
	s_cbranch_execz .LBB97_139
.LBB97_197:
	v_lshlrev_b32_e32 v3, 3, v62
	ds_read_b64 v[3:4], v3
	ds_read_b64 v[5:6], v32 offset:4096
	v_mov_b32_e32 v7, s63
	s_waitcnt lgkmcnt(1)
	v_lshlrev_b64 v[3:4], 3, v[3:4]
	v_add_co_u32_e32 v3, vcc, s62, v3
	v_addc_co_u32_e32 v4, vcc, v7, v4, vcc
	v_add_co_u32_e32 v3, vcc, v3, v32
	v_addc_co_u32_e32 v4, vcc, 0, v4, vcc
	s_waitcnt lgkmcnt(0)
	global_store_dwordx2 v[3:4], v[5:6], off offset:2048
	s_or_b64 exec, exec, s[0:1]
	s_and_saveexec_b64 s[0:1], s[28:29]
	s_cbranch_execnz .LBB97_140
.LBB97_198:
	s_or_b64 exec, exec, s[0:1]
	s_and_saveexec_b64 s[0:1], s[30:31]
	s_cbranch_execz .LBB97_141
.LBB97_199:
	v_lshlrev_b32_e32 v3, 3, v60
	ds_read_b64 v[3:4], v3
	ds_read_b64 v[5:6], v32 offset:8192
	v_mov_b32_e32 v7, s63
	s_waitcnt lgkmcnt(1)
	v_lshlrev_b64 v[3:4], 3, v[3:4]
	v_add_co_u32_e32 v3, vcc, s62, v3
	v_addc_co_u32_e32 v4, vcc, v7, v4, vcc
	v_lshlrev_b32_e32 v7, 3, v46
	v_add_co_u32_e32 v3, vcc, v3, v7
	v_addc_co_u32_e32 v4, vcc, 0, v4, vcc
	s_waitcnt lgkmcnt(0)
	global_store_dwordx2 v[3:4], v[5:6], off
	s_or_b64 exec, exec, s[0:1]
	s_and_saveexec_b64 s[0:1], s[34:35]
	s_cbranch_execnz .LBB97_142
.LBB97_200:
	s_or_b64 exec, exec, s[0:1]
	s_and_saveexec_b64 s[0:1], s[36:37]
	s_cbranch_execz .LBB97_143
.LBB97_201:
	v_lshlrev_b32_e32 v3, 3, v58
	ds_read_b64 v[3:4], v3
	ds_read_b64 v[5:6], v32 offset:12288
	v_mov_b32_e32 v7, s63
	s_waitcnt lgkmcnt(1)
	v_lshlrev_b64 v[3:4], 3, v[3:4]
	v_add_co_u32_e32 v3, vcc, s62, v3
	v_addc_co_u32_e32 v4, vcc, v7, v4, vcc
	v_lshlrev_b32_e32 v7, 3, v48
	v_add_co_u32_e32 v3, vcc, v3, v7
	v_addc_co_u32_e32 v4, vcc, 0, v4, vcc
	s_waitcnt lgkmcnt(0)
	global_store_dwordx2 v[3:4], v[5:6], off
	s_or_b64 exec, exec, s[0:1]
	s_and_saveexec_b64 s[0:1], s[38:39]
	s_cbranch_execnz .LBB97_144
.LBB97_202:
	s_or_b64 exec, exec, s[0:1]
	s_and_saveexec_b64 s[0:1], s[40:41]
	s_cbranch_execz .LBB97_145
.LBB97_203:
	v_lshlrev_b32_e32 v3, 3, v56
	ds_read_b64 v[3:4], v3
	ds_read_b64 v[5:6], v32 offset:16384
	v_mov_b32_e32 v7, s63
	s_waitcnt lgkmcnt(1)
	v_lshlrev_b64 v[3:4], 3, v[3:4]
	v_add_co_u32_e32 v3, vcc, s62, v3
	v_addc_co_u32_e32 v4, vcc, v7, v4, vcc
	v_lshlrev_b32_e32 v7, 3, v50
	v_add_co_u32_e32 v3, vcc, v3, v7
	v_addc_co_u32_e32 v4, vcc, 0, v4, vcc
	s_waitcnt lgkmcnt(0)
	global_store_dwordx2 v[3:4], v[5:6], off
	s_or_b64 exec, exec, s[0:1]
	s_and_saveexec_b64 s[0:1], s[42:43]
	s_cbranch_execnz .LBB97_146
.LBB97_204:
	s_or_b64 exec, exec, s[0:1]
	s_and_saveexec_b64 s[0:1], s[44:45]
	s_cbranch_execz .LBB97_147
.LBB97_205:
	v_lshlrev_b32_e32 v3, 3, v28
	ds_read_b64 v[3:4], v3
	ds_read_b64 v[5:6], v32 offset:20480
	v_mov_b32_e32 v7, s63
	s_waitcnt lgkmcnt(1)
	v_lshlrev_b64 v[3:4], 3, v[3:4]
	v_add_co_u32_e32 v3, vcc, s62, v3
	v_addc_co_u32_e32 v4, vcc, v7, v4, vcc
	v_lshlrev_b32_e32 v7, 3, v52
	v_add_co_u32_e32 v3, vcc, v3, v7
	v_addc_co_u32_e32 v4, vcc, 0, v4, vcc
	s_waitcnt lgkmcnt(0)
	global_store_dwordx2 v[3:4], v[5:6], off
	s_or_b64 exec, exec, s[0:1]
	s_and_saveexec_b64 s[0:1], s[46:47]
	s_cbranch_execnz .LBB97_148
.LBB97_206:
	s_or_b64 exec, exec, s[0:1]
	s_and_saveexec_b64 s[0:1], s[48:49]
	s_cbranch_execz .LBB97_149
.LBB97_207:
	v_lshlrev_b32_e32 v3, 3, v27
	ds_read_b64 v[3:4], v3
	ds_read_b64 v[5:6], v32 offset:24576
	v_mov_b32_e32 v7, s63
	s_waitcnt lgkmcnt(1)
	v_lshlrev_b64 v[3:4], 3, v[3:4]
	v_add_co_u32_e32 v3, vcc, s62, v3
	v_addc_co_u32_e32 v4, vcc, v7, v4, vcc
	v_lshlrev_b32_e32 v7, 3, v54
	v_add_co_u32_e32 v3, vcc, v3, v7
	v_addc_co_u32_e32 v4, vcc, 0, v4, vcc
	s_waitcnt lgkmcnt(0)
	global_store_dwordx2 v[3:4], v[5:6], off
	s_or_b64 exec, exec, s[0:1]
	s_add_i32 s33, s33, -1
	s_cmp_eq_u32 s6, s33
	s_cbranch_scc1 .LBB97_150
	s_branch .LBB97_151
	.section	.rodata,"a",@progbits
	.p2align	6, 0x0
	.amdhsa_kernel _ZN7rocprim17ROCPRIM_304000_NS6detail25onesweep_iteration_kernelINS1_34wrapped_radix_sort_onesweep_configINS0_14default_configEiN2at4cuda3cub6detail10OpaqueTypeILi8EEEEELb0EPiSC_PSA_SD_mNS0_19identity_decomposerEEEvT1_T2_T3_T4_jPT5_SK_PNS1_23onesweep_lookback_stateET6_jjj
		.amdhsa_group_segment_fixed_size 26624
		.amdhsa_private_segment_fixed_size 0
		.amdhsa_kernarg_size 336
		.amdhsa_user_sgpr_count 6
		.amdhsa_user_sgpr_private_segment_buffer 1
		.amdhsa_user_sgpr_dispatch_ptr 0
		.amdhsa_user_sgpr_queue_ptr 0
		.amdhsa_user_sgpr_kernarg_segment_ptr 1
		.amdhsa_user_sgpr_dispatch_id 0
		.amdhsa_user_sgpr_flat_scratch_init 0
		.amdhsa_user_sgpr_private_segment_size 0
		.amdhsa_uses_dynamic_stack 0
		.amdhsa_system_sgpr_private_segment_wavefront_offset 0
		.amdhsa_system_sgpr_workgroup_id_x 1
		.amdhsa_system_sgpr_workgroup_id_y 0
		.amdhsa_system_sgpr_workgroup_id_z 0
		.amdhsa_system_sgpr_workgroup_info 0
		.amdhsa_system_vgpr_workitem_id 2
		.amdhsa_next_free_vgpr 85
		.amdhsa_next_free_sgpr 98
		.amdhsa_reserve_vcc 1
		.amdhsa_reserve_flat_scratch 0
		.amdhsa_float_round_mode_32 0
		.amdhsa_float_round_mode_16_64 0
		.amdhsa_float_denorm_mode_32 3
		.amdhsa_float_denorm_mode_16_64 3
		.amdhsa_dx10_clamp 1
		.amdhsa_ieee_mode 1
		.amdhsa_fp16_overflow 0
		.amdhsa_exception_fp_ieee_invalid_op 0
		.amdhsa_exception_fp_denorm_src 0
		.amdhsa_exception_fp_ieee_div_zero 0
		.amdhsa_exception_fp_ieee_overflow 0
		.amdhsa_exception_fp_ieee_underflow 0
		.amdhsa_exception_fp_ieee_inexact 0
		.amdhsa_exception_int_div_zero 0
	.end_amdhsa_kernel
	.section	.text._ZN7rocprim17ROCPRIM_304000_NS6detail25onesweep_iteration_kernelINS1_34wrapped_radix_sort_onesweep_configINS0_14default_configEiN2at4cuda3cub6detail10OpaqueTypeILi8EEEEELb0EPiSC_PSA_SD_mNS0_19identity_decomposerEEEvT1_T2_T3_T4_jPT5_SK_PNS1_23onesweep_lookback_stateET6_jjj,"axG",@progbits,_ZN7rocprim17ROCPRIM_304000_NS6detail25onesweep_iteration_kernelINS1_34wrapped_radix_sort_onesweep_configINS0_14default_configEiN2at4cuda3cub6detail10OpaqueTypeILi8EEEEELb0EPiSC_PSA_SD_mNS0_19identity_decomposerEEEvT1_T2_T3_T4_jPT5_SK_PNS1_23onesweep_lookback_stateET6_jjj,comdat
.Lfunc_end97:
	.size	_ZN7rocprim17ROCPRIM_304000_NS6detail25onesweep_iteration_kernelINS1_34wrapped_radix_sort_onesweep_configINS0_14default_configEiN2at4cuda3cub6detail10OpaqueTypeILi8EEEEELb0EPiSC_PSA_SD_mNS0_19identity_decomposerEEEvT1_T2_T3_T4_jPT5_SK_PNS1_23onesweep_lookback_stateET6_jjj, .Lfunc_end97-_ZN7rocprim17ROCPRIM_304000_NS6detail25onesweep_iteration_kernelINS1_34wrapped_radix_sort_onesweep_configINS0_14default_configEiN2at4cuda3cub6detail10OpaqueTypeILi8EEEEELb0EPiSC_PSA_SD_mNS0_19identity_decomposerEEEvT1_T2_T3_T4_jPT5_SK_PNS1_23onesweep_lookback_stateET6_jjj
                                        ; -- End function
	.set _ZN7rocprim17ROCPRIM_304000_NS6detail25onesweep_iteration_kernelINS1_34wrapped_radix_sort_onesweep_configINS0_14default_configEiN2at4cuda3cub6detail10OpaqueTypeILi8EEEEELb0EPiSC_PSA_SD_mNS0_19identity_decomposerEEEvT1_T2_T3_T4_jPT5_SK_PNS1_23onesweep_lookback_stateET6_jjj.num_vgpr, 71
	.set _ZN7rocprim17ROCPRIM_304000_NS6detail25onesweep_iteration_kernelINS1_34wrapped_radix_sort_onesweep_configINS0_14default_configEiN2at4cuda3cub6detail10OpaqueTypeILi8EEEEELb0EPiSC_PSA_SD_mNS0_19identity_decomposerEEEvT1_T2_T3_T4_jPT5_SK_PNS1_23onesweep_lookback_stateET6_jjj.num_agpr, 0
	.set _ZN7rocprim17ROCPRIM_304000_NS6detail25onesweep_iteration_kernelINS1_34wrapped_radix_sort_onesweep_configINS0_14default_configEiN2at4cuda3cub6detail10OpaqueTypeILi8EEEEELb0EPiSC_PSA_SD_mNS0_19identity_decomposerEEEvT1_T2_T3_T4_jPT5_SK_PNS1_23onesweep_lookback_stateET6_jjj.numbered_sgpr, 75
	.set _ZN7rocprim17ROCPRIM_304000_NS6detail25onesweep_iteration_kernelINS1_34wrapped_radix_sort_onesweep_configINS0_14default_configEiN2at4cuda3cub6detail10OpaqueTypeILi8EEEEELb0EPiSC_PSA_SD_mNS0_19identity_decomposerEEEvT1_T2_T3_T4_jPT5_SK_PNS1_23onesweep_lookback_stateET6_jjj.num_named_barrier, 0
	.set _ZN7rocprim17ROCPRIM_304000_NS6detail25onesweep_iteration_kernelINS1_34wrapped_radix_sort_onesweep_configINS0_14default_configEiN2at4cuda3cub6detail10OpaqueTypeILi8EEEEELb0EPiSC_PSA_SD_mNS0_19identity_decomposerEEEvT1_T2_T3_T4_jPT5_SK_PNS1_23onesweep_lookback_stateET6_jjj.private_seg_size, 0
	.set _ZN7rocprim17ROCPRIM_304000_NS6detail25onesweep_iteration_kernelINS1_34wrapped_radix_sort_onesweep_configINS0_14default_configEiN2at4cuda3cub6detail10OpaqueTypeILi8EEEEELb0EPiSC_PSA_SD_mNS0_19identity_decomposerEEEvT1_T2_T3_T4_jPT5_SK_PNS1_23onesweep_lookback_stateET6_jjj.uses_vcc, 1
	.set _ZN7rocprim17ROCPRIM_304000_NS6detail25onesweep_iteration_kernelINS1_34wrapped_radix_sort_onesweep_configINS0_14default_configEiN2at4cuda3cub6detail10OpaqueTypeILi8EEEEELb0EPiSC_PSA_SD_mNS0_19identity_decomposerEEEvT1_T2_T3_T4_jPT5_SK_PNS1_23onesweep_lookback_stateET6_jjj.uses_flat_scratch, 0
	.set _ZN7rocprim17ROCPRIM_304000_NS6detail25onesweep_iteration_kernelINS1_34wrapped_radix_sort_onesweep_configINS0_14default_configEiN2at4cuda3cub6detail10OpaqueTypeILi8EEEEELb0EPiSC_PSA_SD_mNS0_19identity_decomposerEEEvT1_T2_T3_T4_jPT5_SK_PNS1_23onesweep_lookback_stateET6_jjj.has_dyn_sized_stack, 0
	.set _ZN7rocprim17ROCPRIM_304000_NS6detail25onesweep_iteration_kernelINS1_34wrapped_radix_sort_onesweep_configINS0_14default_configEiN2at4cuda3cub6detail10OpaqueTypeILi8EEEEELb0EPiSC_PSA_SD_mNS0_19identity_decomposerEEEvT1_T2_T3_T4_jPT5_SK_PNS1_23onesweep_lookback_stateET6_jjj.has_recursion, 0
	.set _ZN7rocprim17ROCPRIM_304000_NS6detail25onesweep_iteration_kernelINS1_34wrapped_radix_sort_onesweep_configINS0_14default_configEiN2at4cuda3cub6detail10OpaqueTypeILi8EEEEELb0EPiSC_PSA_SD_mNS0_19identity_decomposerEEEvT1_T2_T3_T4_jPT5_SK_PNS1_23onesweep_lookback_stateET6_jjj.has_indirect_call, 0
	.section	.AMDGPU.csdata,"",@progbits
; Kernel info:
; codeLenInByte = 19016
; TotalNumSgprs: 79
; NumVgprs: 71
; ScratchSize: 0
; MemoryBound: 0
; FloatMode: 240
; IeeeMode: 1
; LDSByteSize: 26624 bytes/workgroup (compile time only)
; SGPRBlocks: 12
; VGPRBlocks: 21
; NumSGPRsForWavesPerEU: 102
; NumVGPRsForWavesPerEU: 85
; Occupancy: 2
; WaveLimiterHint : 1
; COMPUTE_PGM_RSRC2:SCRATCH_EN: 0
; COMPUTE_PGM_RSRC2:USER_SGPR: 6
; COMPUTE_PGM_RSRC2:TRAP_HANDLER: 0
; COMPUTE_PGM_RSRC2:TGID_X_EN: 1
; COMPUTE_PGM_RSRC2:TGID_Y_EN: 0
; COMPUTE_PGM_RSRC2:TGID_Z_EN: 0
; COMPUTE_PGM_RSRC2:TIDIG_COMP_CNT: 2
	.section	.text._ZN7rocprim17ROCPRIM_304000_NS6detail28radix_sort_block_sort_kernelINS1_36wrapped_radix_sort_block_sort_configINS0_13kernel_configILj256ELj4ELj4294967295EEElN2at4cuda3cub6detail10OpaqueTypeILi8EEEEELb1EPKlPlPKSB_PSB_NS0_19identity_decomposerEEEvT1_T2_T3_T4_jT5_jj,"axG",@progbits,_ZN7rocprim17ROCPRIM_304000_NS6detail28radix_sort_block_sort_kernelINS1_36wrapped_radix_sort_block_sort_configINS0_13kernel_configILj256ELj4ELj4294967295EEElN2at4cuda3cub6detail10OpaqueTypeILi8EEEEELb1EPKlPlPKSB_PSB_NS0_19identity_decomposerEEEvT1_T2_T3_T4_jT5_jj,comdat
	.protected	_ZN7rocprim17ROCPRIM_304000_NS6detail28radix_sort_block_sort_kernelINS1_36wrapped_radix_sort_block_sort_configINS0_13kernel_configILj256ELj4ELj4294967295EEElN2at4cuda3cub6detail10OpaqueTypeILi8EEEEELb1EPKlPlPKSB_PSB_NS0_19identity_decomposerEEEvT1_T2_T3_T4_jT5_jj ; -- Begin function _ZN7rocprim17ROCPRIM_304000_NS6detail28radix_sort_block_sort_kernelINS1_36wrapped_radix_sort_block_sort_configINS0_13kernel_configILj256ELj4ELj4294967295EEElN2at4cuda3cub6detail10OpaqueTypeILi8EEEEELb1EPKlPlPKSB_PSB_NS0_19identity_decomposerEEEvT1_T2_T3_T4_jT5_jj
	.globl	_ZN7rocprim17ROCPRIM_304000_NS6detail28radix_sort_block_sort_kernelINS1_36wrapped_radix_sort_block_sort_configINS0_13kernel_configILj256ELj4ELj4294967295EEElN2at4cuda3cub6detail10OpaqueTypeILi8EEEEELb1EPKlPlPKSB_PSB_NS0_19identity_decomposerEEEvT1_T2_T3_T4_jT5_jj
	.p2align	8
	.type	_ZN7rocprim17ROCPRIM_304000_NS6detail28radix_sort_block_sort_kernelINS1_36wrapped_radix_sort_block_sort_configINS0_13kernel_configILj256ELj4ELj4294967295EEElN2at4cuda3cub6detail10OpaqueTypeILi8EEEEELb1EPKlPlPKSB_PSB_NS0_19identity_decomposerEEEvT1_T2_T3_T4_jT5_jj,@function
_ZN7rocprim17ROCPRIM_304000_NS6detail28radix_sort_block_sort_kernelINS1_36wrapped_radix_sort_block_sort_configINS0_13kernel_configILj256ELj4ELj4294967295EEElN2at4cuda3cub6detail10OpaqueTypeILi8EEEEELb1EPKlPlPKSB_PSB_NS0_19identity_decomposerEEEvT1_T2_T3_T4_jT5_jj: ; @_ZN7rocprim17ROCPRIM_304000_NS6detail28radix_sort_block_sort_kernelINS1_36wrapped_radix_sort_block_sort_configINS0_13kernel_configILj256ELj4ELj4294967295EEElN2at4cuda3cub6detail10OpaqueTypeILi8EEEEELb1EPKlPlPKSB_PSB_NS0_19identity_decomposerEEEvT1_T2_T3_T4_jT5_jj
; %bb.0:
	s_load_dword s7, s[4:5], 0x20
	s_load_dwordx8 s[36:43], s[4:5], 0x0
	s_lshl_b32 s0, s6, 10
	s_mov_b32 s1, 0
	v_mbcnt_lo_u32_b32 v3, -1, 0
	s_waitcnt lgkmcnt(0)
	s_lshr_b32 s2, s7, 10
	s_cmp_lg_u32 s6, s2
	s_cselect_b64 s[30:31], -1, 0
	s_lshl_b64 s[28:29], s[0:1], 3
	s_add_u32 s1, s36, s28
	v_mbcnt_hi_u32_b32 v19, -1, v3
	s_addc_u32 s3, s37, s29
	v_lshlrev_b32_e32 v21, 2, v0
	v_lshlrev_b32_e32 v22, 3, v19
	v_and_b32_e32 v23, 0x300, v21
	v_mov_b32_e32 v3, s3
	v_add_co_u32_e32 v4, vcc, s1, v22
	v_addc_co_u32_e32 v3, vcc, 0, v3, vcc
	v_lshlrev_b32_e32 v20, 3, v23
	v_add_co_u32_e32 v17, vcc, v4, v20
	s_cmp_eq_u32 s6, s2
	v_addc_co_u32_e32 v18, vcc, 0, v3, vcc
	s_cbranch_scc1 .LBB98_2
; %bb.1:
	s_add_u32 s1, s40, s28
	s_addc_u32 s2, s41, s29
	v_mov_b32_e32 v11, s2
	v_add_co_u32_e32 v12, vcc, s1, v22
	v_addc_co_u32_e32 v11, vcc, 0, v11, vcc
	v_add_co_u32_e32 v24, vcc, v12, v20
	global_load_dwordx2 v[3:4], v[17:18], off
	global_load_dwordx2 v[5:6], v[17:18], off offset:512
	global_load_dwordx2 v[7:8], v[17:18], off offset:1024
	;; [unrolled: 1-line block ×3, first 2 shown]
	v_addc_co_u32_e32 v25, vcc, 0, v11, vcc
	global_load_dwordx2 v[11:12], v[24:25], off
	global_load_dwordx2 v[13:14], v[24:25], off offset:512
	global_load_dwordx2 v[15:16], v[24:25], off offset:1024
	s_mov_b64 s[8:9], -1
	s_sub_i32 s33, s7, s0
	s_cbranch_execz .LBB98_3
	s_branch .LBB98_16
.LBB98_2:
	s_mov_b64 s[8:9], 0
                                        ; implicit-def: $vgpr3_vgpr4_vgpr5_vgpr6_vgpr7_vgpr8_vgpr9_vgpr10
                                        ; implicit-def: $vgpr11_vgpr12
                                        ; implicit-def: $vgpr15_vgpr16
	s_sub_i32 s33, s7, s0
.LBB98_3:
	s_waitcnt vmcnt(2)
	v_add_u32_e32 v11, v19, v23
	v_mov_b32_e32 v3, 0
	v_bfrev_b32_e32 v4, 1
	v_cmp_gt_u32_e32 vcc, s33, v11
	v_mov_b32_e32 v5, v3
	v_mov_b32_e32 v6, v4
	;; [unrolled: 1-line block ×6, first 2 shown]
	s_and_saveexec_b64 s[0:1], vcc
	s_cbranch_execz .LBB98_5
; %bb.4:
	global_load_dwordx2 v[23:24], v[17:18], off
	v_mov_b32_e32 v25, v3
	v_mov_b32_e32 v26, v4
	;; [unrolled: 1-line block ×6, first 2 shown]
	s_waitcnt vmcnt(0)
	v_mov_b32_e32 v3, v23
	v_mov_b32_e32 v4, v24
	;; [unrolled: 1-line block ×8, first 2 shown]
.LBB98_5:
	s_or_b64 exec, exec, s[0:1]
	v_add_u32_e32 v12, 64, v11
	v_cmp_gt_u32_e64 s[0:1], s33, v12
	s_and_saveexec_b64 s[2:3], s[0:1]
	s_cbranch_execz .LBB98_7
; %bb.6:
	global_load_dwordx2 v[5:6], v[17:18], off offset:512
.LBB98_7:
	s_or_b64 exec, exec, s[2:3]
	v_add_u32_e32 v12, 0x80, v11
	v_cmp_gt_u32_e64 s[2:3], s33, v12
	s_and_saveexec_b64 s[6:7], s[2:3]
	s_cbranch_execz .LBB98_9
; %bb.8:
	global_load_dwordx2 v[7:8], v[17:18], off offset:1024
.LBB98_9:
	;; [unrolled: 8-line block ×3, first 2 shown]
	s_or_b64 exec, exec, s[6:7]
	s_add_u32 s6, s40, s28
	s_addc_u32 s7, s41, s29
	v_mov_b32_e32 v11, s7
	v_add_co_u32_e64 v12, s[6:7], s6, v22
	v_addc_co_u32_e64 v11, s[6:7], 0, v11, s[6:7]
	v_add_co_u32_e64 v17, s[6:7], v12, v20
	v_addc_co_u32_e64 v18, s[6:7], 0, v11, s[6:7]
                                        ; implicit-def: $vgpr11_vgpr12
	s_and_saveexec_b64 s[6:7], vcc
	s_cbranch_execnz .LBB98_55
; %bb.12:
	s_or_b64 exec, exec, s[6:7]
	s_and_saveexec_b64 s[6:7], s[0:1]
	s_cbranch_execnz .LBB98_56
.LBB98_13:
	s_or_b64 exec, exec, s[6:7]
                                        ; implicit-def: $vgpr15_vgpr16
	s_and_saveexec_b64 s[0:1], s[2:3]
	s_cbranch_execz .LBB98_15
.LBB98_14:
	global_load_dwordx2 v[15:16], v[17:18], off offset:1024
.LBB98_15:
	s_or_b64 exec, exec, s[0:1]
.LBB98_16:
	s_and_saveexec_b64 s[0:1], s[8:9]
	s_cbranch_execz .LBB98_18
; %bb.17:
	s_add_u32 s2, s40, s28
	s_addc_u32 s3, s41, s29
	v_mov_b32_e32 v17, s3
	v_add_co_u32_e32 v18, vcc, s2, v22
	v_addc_co_u32_e32 v22, vcc, 0, v17, vcc
	v_add_co_u32_e32 v17, vcc, v18, v20
	v_addc_co_u32_e32 v18, vcc, 0, v22, vcc
	global_load_dwordx2 v[17:18], v[17:18], off offset:1536
.LBB98_18:
	s_or_b64 exec, exec, s[0:1]
	s_load_dwordx2 s[34:35], s[4:5], 0x28
	s_load_dword s0, s[4:5], 0x3c
	s_mov_b32 s26, 0
	s_mov_b32 s27, s26
	;; [unrolled: 1-line block ×3, first 2 shown]
	v_lshlrev_b32_e32 v41, 2, v21
	s_waitcnt lgkmcnt(0)
	s_lshr_b32 s1, s0, 16
	s_and_b32 s0, s0, 0xffff
	v_mad_u32_u24 v1, v2, s1, v1
	v_mad_u64_u32 v[1:2], s[0:1], v1, s0, v[0:1]
	v_and_b32_e32 v2, 64, v19
	s_mov_b32 s41, s26
	v_lshrrev_b32_e32 v1, 4, v1
	v_and_b32_e32 v42, 0xffffffc, v1
	v_and_b32_e32 v1, 15, v19
	v_cmp_eq_u32_e64 s[0:1], 0, v1
	v_cmp_lt_u32_e64 s[2:3], 1, v1
	v_cmp_lt_u32_e64 s[4:5], 3, v1
	;; [unrolled: 1-line block ×3, first 2 shown]
	v_and_b32_e32 v1, 16, v19
	v_cmp_eq_u32_e64 s[8:9], 0, v1
	v_or_b32_e32 v1, 63, v0
	v_cmp_eq_u32_e64 s[12:13], v0, v1
	v_subrev_co_u32_e64 v1, s[18:19], 1, v19
	v_cmp_lt_i32_e32 vcc, v1, v2
	v_cndmask_b32_e32 v1, v1, v19, vcc
	v_lshlrev_b32_e32 v43, 2, v1
	v_lshrrev_b32_e32 v1, 4, v0
	v_and_b32_e32 v44, 12, v1
	v_mul_i32_i24_e32 v1, -12, v0
	v_and_b32_e32 v2, 3, v19
	v_mov_b32_e32 v28, s27
	v_mov_b32_e32 v29, s40
	s_waitcnt vmcnt(6)
	v_xor_b32_e32 v4, 0x7fffffff, v4
	v_xor_b32_e32 v3, -1, v3
	s_waitcnt vmcnt(0)
	v_xor_b32_e32 v6, 0x7fffffff, v6
	s_add_i32 s36, s35, s34
	v_xor_b32_e32 v5, -1, v5
	v_xor_b32_e32 v8, 0x7fffffff, v8
	v_xor_b32_e32 v7, -1, v7
	v_xor_b32_e32 v10, 0x7fffffff, v10
	v_xor_b32_e32 v9, -1, v9
	v_cmp_lt_u32_e64 s[10:11], 31, v19
	v_cmp_gt_u32_e64 s[14:15], 4, v0
	v_cmp_lt_u32_e64 s[16:17], 63, v0
	v_cmp_eq_u32_e64 s[20:21], 0, v0
	v_cmp_eq_u32_e64 s[22:23], 0, v2
	v_cmp_lt_u32_e64 s[24:25], 1, v2
	v_add_u32_e32 v45, -4, v44
	v_lshl_add_u32 v46, v19, 3, v20
	v_mov_b32_e32 v27, s26
	v_mov_b32_e32 v30, s41
	;; [unrolled: 1-line block ×3, first 2 shown]
	v_add_u32_e32 v47, v41, v1
	s_branch .LBB98_20
.LBB98_19:                              ;   in Loop: Header=BB98_20 Depth=1
	s_andn2_b64 vcc, exec, s[26:27]
	s_cbranch_vccz .LBB98_36
.LBB98_20:                              ; =>This Inner Loop Header: Depth=1
	v_mov_b32_e32 v40, v4
	v_mov_b32_e32 v39, v3
	s_min_u32 s26, s35, 8
	s_lshl_b32 s26, -1, s26
	v_lshrrev_b64 v[1:2], s34, v[39:40]
	s_not_b32 s37, s26
	v_and_b32_e32 v3, s37, v1
	v_and_b32_e32 v1, 1, v3
	v_add_co_u32_e32 v2, vcc, -1, v1
	v_addc_co_u32_e64 v4, s[26:27], 0, -1, vcc
	v_cmp_ne_u32_e32 vcc, 0, v1
	v_lshlrev_b32_e32 v32, 30, v3
	v_xor_b32_e32 v1, vcc_hi, v4
	v_cmp_gt_i64_e64 s[26:27], 0, v[31:32]
	v_not_b32_e32 v4, v32
	v_mov_b32_e32 v38, v6
	v_ashrrev_i32_e32 v4, 31, v4
	v_xor_b32_e32 v2, vcc_lo, v2
	v_mov_b32_e32 v37, v5
	v_xor_b32_e32 v5, s27, v4
	v_and_b32_e32 v2, exec_lo, v2
	v_xor_b32_e32 v4, s26, v4
	v_lshlrev_b32_e32 v32, 29, v3
	v_and_b32_e32 v2, v2, v4
	v_cmp_gt_i64_e32 vcc, 0, v[31:32]
	v_not_b32_e32 v4, v32
	v_and_b32_e32 v1, exec_hi, v1
	v_ashrrev_i32_e32 v4, 31, v4
	v_and_b32_e32 v1, v1, v5
	v_xor_b32_e32 v5, vcc_hi, v4
	v_xor_b32_e32 v4, vcc_lo, v4
	v_lshlrev_b32_e32 v32, 28, v3
	v_and_b32_e32 v2, v2, v4
	v_cmp_gt_i64_e32 vcc, 0, v[31:32]
	v_not_b32_e32 v4, v32
	v_ashrrev_i32_e32 v4, 31, v4
	v_and_b32_e32 v1, v1, v5
	v_xor_b32_e32 v5, vcc_hi, v4
	v_xor_b32_e32 v4, vcc_lo, v4
	v_lshlrev_b32_e32 v32, 27, v3
	v_and_b32_e32 v2, v2, v4
	v_cmp_gt_i64_e32 vcc, 0, v[31:32]
	v_not_b32_e32 v4, v32
	v_ashrrev_i32_e32 v4, 31, v4
	v_and_b32_e32 v1, v1, v5
	v_xor_b32_e32 v5, vcc_hi, v4
	v_xor_b32_e32 v4, vcc_lo, v4
	v_lshlrev_b32_e32 v32, 26, v3
	v_and_b32_e32 v2, v2, v4
	v_cmp_gt_i64_e32 vcc, 0, v[31:32]
	v_not_b32_e32 v4, v32
	v_ashrrev_i32_e32 v4, 31, v4
	v_and_b32_e32 v1, v1, v5
	v_xor_b32_e32 v5, vcc_hi, v4
	v_xor_b32_e32 v4, vcc_lo, v4
	v_lshlrev_b32_e32 v32, 25, v3
	v_and_b32_e32 v2, v2, v4
	v_cmp_gt_i64_e32 vcc, 0, v[31:32]
	v_not_b32_e32 v4, v32
	v_ashrrev_i32_e32 v4, 31, v4
	v_and_b32_e32 v1, v1, v5
	v_xor_b32_e32 v5, vcc_hi, v4
	v_xor_b32_e32 v4, vcc_lo, v4
	v_lshlrev_b32_e32 v32, 24, v3
	v_and_b32_e32 v4, v2, v4
	v_cmp_gt_i64_e32 vcc, 0, v[31:32]
	v_not_b32_e32 v2, v32
	v_ashrrev_i32_e32 v2, 31, v2
	v_and_b32_e32 v1, v1, v5
	v_xor_b32_e32 v5, vcc_hi, v2
	v_xor_b32_e32 v6, vcc_lo, v2
	v_and_b32_e32 v2, v1, v5
	v_and_b32_e32 v1, v4, v6
	v_mbcnt_lo_u32_b32 v4, v1, 0
	v_mbcnt_hi_u32_b32 v5, v2, v4
	v_cmp_ne_u64_e32 vcc, 0, v[1:2]
	v_mov_b32_e32 v34, v10
	v_mov_b32_e32 v36, v8
	;; [unrolled: 1-line block ×6, first 2 shown]
	v_lshlrev_b32_e32 v3, 4, v3
	v_cmp_eq_u32_e64 s[26:27], 0, v5
	v_mov_b32_e32 v33, v9
	v_mov_b32_e32 v35, v7
	;; [unrolled: 1-line block ×6, first 2 shown]
	s_and_b64 s[40:41], vcc, s[26:27]
	v_add_u32_e32 v6, v42, v3
	ds_write2_b64 v41, v[27:28], v[29:30] offset0:2 offset1:3
	s_waitcnt lgkmcnt(0)
	s_barrier
	; wave barrier
	s_and_saveexec_b64 s[26:27], s[40:41]
; %bb.21:                               ;   in Loop: Header=BB98_20 Depth=1
	v_bcnt_u32_b32 v1, v1, 0
	v_bcnt_u32_b32 v1, v2, v1
	ds_write_b32 v6, v1 offset:16
; %bb.22:                               ;   in Loop: Header=BB98_20 Depth=1
	s_or_b64 exec, exec, s[26:27]
	v_lshrrev_b64 v[1:2], s34, v[37:38]
	v_and_b32_e32 v1, s37, v1
	v_lshlrev_b32_e32 v2, 4, v1
	v_add_u32_e32 v8, v42, v2
	v_and_b32_e32 v2, 1, v1
	v_add_co_u32_e32 v3, vcc, -1, v2
	v_addc_co_u32_e64 v4, s[26:27], 0, -1, vcc
	v_cmp_ne_u32_e32 vcc, 0, v2
	v_lshlrev_b32_e32 v32, 30, v1
	v_xor_b32_e32 v2, vcc_hi, v4
	v_xor_b32_e32 v3, vcc_lo, v3
	v_cmp_gt_i64_e32 vcc, 0, v[31:32]
	v_not_b32_e32 v4, v32
	v_ashrrev_i32_e32 v4, 31, v4
	v_and_b32_e32 v3, exec_lo, v3
	v_xor_b32_e32 v9, vcc_hi, v4
	v_xor_b32_e32 v4, vcc_lo, v4
	v_lshlrev_b32_e32 v32, 29, v1
	v_and_b32_e32 v3, v3, v4
	v_cmp_gt_i64_e32 vcc, 0, v[31:32]
	v_not_b32_e32 v4, v32
	v_and_b32_e32 v2, exec_hi, v2
	v_ashrrev_i32_e32 v4, 31, v4
	v_and_b32_e32 v2, v2, v9
	v_xor_b32_e32 v9, vcc_hi, v4
	v_xor_b32_e32 v4, vcc_lo, v4
	v_lshlrev_b32_e32 v32, 28, v1
	v_and_b32_e32 v3, v3, v4
	v_cmp_gt_i64_e32 vcc, 0, v[31:32]
	v_not_b32_e32 v4, v32
	v_ashrrev_i32_e32 v4, 31, v4
	v_and_b32_e32 v2, v2, v9
	v_xor_b32_e32 v9, vcc_hi, v4
	v_xor_b32_e32 v4, vcc_lo, v4
	v_lshlrev_b32_e32 v32, 27, v1
	v_and_b32_e32 v3, v3, v4
	v_cmp_gt_i64_e32 vcc, 0, v[31:32]
	v_not_b32_e32 v4, v32
	;; [unrolled: 8-line block ×4, first 2 shown]
	v_ashrrev_i32_e32 v4, 31, v4
	v_lshlrev_b32_e32 v32, 24, v1
	v_and_b32_e32 v2, v2, v9
	v_xor_b32_e32 v9, vcc_hi, v4
	v_xor_b32_e32 v4, vcc_lo, v4
	v_cmp_gt_i64_e32 vcc, 0, v[31:32]
	v_not_b32_e32 v1, v32
	v_ashrrev_i32_e32 v1, 31, v1
	v_and_b32_e32 v3, v3, v4
	v_xor_b32_e32 v4, vcc_hi, v1
	v_xor_b32_e32 v1, vcc_lo, v1
	; wave barrier
	ds_read_b32 v7, v8 offset:16
	v_and_b32_e32 v2, v2, v9
	v_and_b32_e32 v1, v3, v1
	;; [unrolled: 1-line block ×3, first 2 shown]
	v_mbcnt_lo_u32_b32 v3, v1, 0
	v_mbcnt_hi_u32_b32 v9, v2, v3
	v_cmp_ne_u64_e32 vcc, 0, v[1:2]
	v_cmp_eq_u32_e64 s[26:27], 0, v9
	s_and_b64 s[40:41], vcc, s[26:27]
	; wave barrier
	s_and_saveexec_b64 s[26:27], s[40:41]
	s_cbranch_execz .LBB98_24
; %bb.23:                               ;   in Loop: Header=BB98_20 Depth=1
	v_bcnt_u32_b32 v1, v1, 0
	v_bcnt_u32_b32 v1, v2, v1
	s_waitcnt lgkmcnt(0)
	v_add_u32_e32 v1, v7, v1
	ds_write_b32 v8, v1 offset:16
.LBB98_24:                              ;   in Loop: Header=BB98_20 Depth=1
	s_or_b64 exec, exec, s[26:27]
	v_lshrrev_b64 v[1:2], s34, v[35:36]
	v_and_b32_e32 v1, s37, v1
	v_lshlrev_b32_e32 v2, 4, v1
	v_add_u32_e32 v11, v42, v2
	v_and_b32_e32 v2, 1, v1
	v_add_co_u32_e32 v3, vcc, -1, v2
	v_addc_co_u32_e64 v4, s[26:27], 0, -1, vcc
	v_cmp_ne_u32_e32 vcc, 0, v2
	v_lshlrev_b32_e32 v32, 30, v1
	v_xor_b32_e32 v2, vcc_hi, v4
	v_xor_b32_e32 v3, vcc_lo, v3
	v_cmp_gt_i64_e32 vcc, 0, v[31:32]
	v_not_b32_e32 v4, v32
	v_ashrrev_i32_e32 v4, 31, v4
	v_and_b32_e32 v3, exec_lo, v3
	v_xor_b32_e32 v12, vcc_hi, v4
	v_xor_b32_e32 v4, vcc_lo, v4
	v_lshlrev_b32_e32 v32, 29, v1
	v_and_b32_e32 v3, v3, v4
	v_cmp_gt_i64_e32 vcc, 0, v[31:32]
	v_not_b32_e32 v4, v32
	v_and_b32_e32 v2, exec_hi, v2
	v_ashrrev_i32_e32 v4, 31, v4
	v_and_b32_e32 v2, v2, v12
	v_xor_b32_e32 v12, vcc_hi, v4
	v_xor_b32_e32 v4, vcc_lo, v4
	v_lshlrev_b32_e32 v32, 28, v1
	v_and_b32_e32 v3, v3, v4
	v_cmp_gt_i64_e32 vcc, 0, v[31:32]
	v_not_b32_e32 v4, v32
	v_ashrrev_i32_e32 v4, 31, v4
	v_and_b32_e32 v2, v2, v12
	v_xor_b32_e32 v12, vcc_hi, v4
	v_xor_b32_e32 v4, vcc_lo, v4
	v_lshlrev_b32_e32 v32, 27, v1
	v_and_b32_e32 v3, v3, v4
	v_cmp_gt_i64_e32 vcc, 0, v[31:32]
	v_not_b32_e32 v4, v32
	;; [unrolled: 8-line block ×4, first 2 shown]
	v_ashrrev_i32_e32 v4, 31, v4
	v_lshlrev_b32_e32 v32, 24, v1
	v_and_b32_e32 v2, v2, v12
	v_xor_b32_e32 v12, vcc_hi, v4
	v_xor_b32_e32 v4, vcc_lo, v4
	v_cmp_gt_i64_e32 vcc, 0, v[31:32]
	v_not_b32_e32 v1, v32
	v_ashrrev_i32_e32 v1, 31, v1
	v_and_b32_e32 v3, v3, v4
	v_xor_b32_e32 v4, vcc_hi, v1
	v_xor_b32_e32 v1, vcc_lo, v1
	; wave barrier
	ds_read_b32 v10, v11 offset:16
	v_and_b32_e32 v2, v2, v12
	v_and_b32_e32 v1, v3, v1
	;; [unrolled: 1-line block ×3, first 2 shown]
	v_mbcnt_lo_u32_b32 v3, v1, 0
	v_mbcnt_hi_u32_b32 v12, v2, v3
	v_cmp_ne_u64_e32 vcc, 0, v[1:2]
	v_cmp_eq_u32_e64 s[26:27], 0, v12
	s_and_b64 s[40:41], vcc, s[26:27]
	; wave barrier
	s_and_saveexec_b64 s[26:27], s[40:41]
	s_cbranch_execz .LBB98_26
; %bb.25:                               ;   in Loop: Header=BB98_20 Depth=1
	v_bcnt_u32_b32 v1, v1, 0
	v_bcnt_u32_b32 v1, v2, v1
	s_waitcnt lgkmcnt(0)
	v_add_u32_e32 v1, v10, v1
	ds_write_b32 v11, v1 offset:16
.LBB98_26:                              ;   in Loop: Header=BB98_20 Depth=1
	s_or_b64 exec, exec, s[26:27]
	v_lshrrev_b64 v[1:2], s34, v[33:34]
	v_and_b32_e32 v1, s37, v1
	v_lshlrev_b32_e32 v2, 4, v1
	v_add_u32_e32 v14, v42, v2
	v_and_b32_e32 v2, 1, v1
	v_add_co_u32_e32 v3, vcc, -1, v2
	v_addc_co_u32_e64 v4, s[26:27], 0, -1, vcc
	v_cmp_ne_u32_e32 vcc, 0, v2
	v_lshlrev_b32_e32 v32, 30, v1
	v_xor_b32_e32 v2, vcc_hi, v4
	v_xor_b32_e32 v3, vcc_lo, v3
	v_cmp_gt_i64_e32 vcc, 0, v[31:32]
	v_not_b32_e32 v4, v32
	v_ashrrev_i32_e32 v4, 31, v4
	v_and_b32_e32 v3, exec_lo, v3
	v_xor_b32_e32 v15, vcc_hi, v4
	v_xor_b32_e32 v4, vcc_lo, v4
	v_lshlrev_b32_e32 v32, 29, v1
	v_and_b32_e32 v3, v3, v4
	v_cmp_gt_i64_e32 vcc, 0, v[31:32]
	v_not_b32_e32 v4, v32
	v_and_b32_e32 v2, exec_hi, v2
	v_ashrrev_i32_e32 v4, 31, v4
	v_and_b32_e32 v2, v2, v15
	v_xor_b32_e32 v15, vcc_hi, v4
	v_xor_b32_e32 v4, vcc_lo, v4
	v_lshlrev_b32_e32 v32, 28, v1
	v_and_b32_e32 v3, v3, v4
	v_cmp_gt_i64_e32 vcc, 0, v[31:32]
	v_not_b32_e32 v4, v32
	v_ashrrev_i32_e32 v4, 31, v4
	v_and_b32_e32 v2, v2, v15
	v_xor_b32_e32 v15, vcc_hi, v4
	v_xor_b32_e32 v4, vcc_lo, v4
	v_lshlrev_b32_e32 v32, 27, v1
	v_and_b32_e32 v3, v3, v4
	v_cmp_gt_i64_e32 vcc, 0, v[31:32]
	v_not_b32_e32 v4, v32
	;; [unrolled: 8-line block ×4, first 2 shown]
	v_ashrrev_i32_e32 v4, 31, v4
	v_lshlrev_b32_e32 v32, 24, v1
	v_and_b32_e32 v2, v2, v15
	v_xor_b32_e32 v15, vcc_hi, v4
	v_xor_b32_e32 v4, vcc_lo, v4
	v_cmp_gt_i64_e32 vcc, 0, v[31:32]
	v_not_b32_e32 v1, v32
	v_ashrrev_i32_e32 v1, 31, v1
	v_and_b32_e32 v3, v3, v4
	v_xor_b32_e32 v4, vcc_hi, v1
	v_xor_b32_e32 v1, vcc_lo, v1
	; wave barrier
	ds_read_b32 v13, v14 offset:16
	v_and_b32_e32 v2, v2, v15
	v_and_b32_e32 v1, v3, v1
	;; [unrolled: 1-line block ×3, first 2 shown]
	v_mbcnt_lo_u32_b32 v3, v1, 0
	v_mbcnt_hi_u32_b32 v15, v2, v3
	v_cmp_ne_u64_e32 vcc, 0, v[1:2]
	v_cmp_eq_u32_e64 s[26:27], 0, v15
	s_and_b64 s[40:41], vcc, s[26:27]
	; wave barrier
	s_and_saveexec_b64 s[26:27], s[40:41]
	s_cbranch_execz .LBB98_28
; %bb.27:                               ;   in Loop: Header=BB98_20 Depth=1
	v_bcnt_u32_b32 v1, v1, 0
	v_bcnt_u32_b32 v1, v2, v1
	s_waitcnt lgkmcnt(0)
	v_add_u32_e32 v1, v13, v1
	ds_write_b32 v14, v1 offset:16
.LBB98_28:                              ;   in Loop: Header=BB98_20 Depth=1
	s_or_b64 exec, exec, s[26:27]
	; wave barrier
	s_waitcnt lgkmcnt(0)
	s_barrier
	ds_read2_b64 v[1:4], v41 offset0:2 offset1:3
	s_waitcnt lgkmcnt(0)
	v_add_u32_e32 v16, v2, v1
	v_add3_u32 v4, v16, v3, v4
	s_nop 1
	v_mov_b32_dpp v16, v4 row_shr:1 row_mask:0xf bank_mask:0xf
	v_cndmask_b32_e64 v16, v16, 0, s[0:1]
	v_add_u32_e32 v4, v16, v4
	s_nop 1
	v_mov_b32_dpp v16, v4 row_shr:2 row_mask:0xf bank_mask:0xf
	v_cndmask_b32_e64 v16, 0, v16, s[2:3]
	v_add_u32_e32 v4, v4, v16
	s_nop 1
	v_mov_b32_dpp v16, v4 row_shr:4 row_mask:0xf bank_mask:0xf
	v_cndmask_b32_e64 v16, 0, v16, s[4:5]
	v_add_u32_e32 v4, v4, v16
	s_nop 1
	v_mov_b32_dpp v16, v4 row_shr:8 row_mask:0xf bank_mask:0xf
	v_cndmask_b32_e64 v16, 0, v16, s[6:7]
	v_add_u32_e32 v4, v4, v16
	s_nop 1
	v_mov_b32_dpp v16, v4 row_bcast:15 row_mask:0xf bank_mask:0xf
	v_cndmask_b32_e64 v16, v16, 0, s[8:9]
	v_add_u32_e32 v4, v4, v16
	s_nop 1
	v_mov_b32_dpp v16, v4 row_bcast:31 row_mask:0xf bank_mask:0xf
	v_cndmask_b32_e64 v16, 0, v16, s[10:11]
	v_add_u32_e32 v4, v4, v16
	s_and_saveexec_b64 s[26:27], s[12:13]
; %bb.29:                               ;   in Loop: Header=BB98_20 Depth=1
	ds_write_b32 v44, v4
; %bb.30:                               ;   in Loop: Header=BB98_20 Depth=1
	s_or_b64 exec, exec, s[26:27]
	s_waitcnt lgkmcnt(0)
	s_barrier
	s_and_saveexec_b64 s[26:27], s[14:15]
	s_cbranch_execz .LBB98_32
; %bb.31:                               ;   in Loop: Header=BB98_20 Depth=1
	ds_read_b32 v16, v47
	s_waitcnt lgkmcnt(0)
	s_nop 0
	v_mov_b32_dpp v17, v16 row_shr:1 row_mask:0xf bank_mask:0xf
	v_cndmask_b32_e64 v17, v17, 0, s[22:23]
	v_add_u32_e32 v16, v17, v16
	s_nop 1
	v_mov_b32_dpp v17, v16 row_shr:2 row_mask:0xf bank_mask:0xf
	v_cndmask_b32_e64 v17, 0, v17, s[24:25]
	v_add_u32_e32 v16, v16, v17
	ds_write_b32 v47, v16
.LBB98_32:                              ;   in Loop: Header=BB98_20 Depth=1
	s_or_b64 exec, exec, s[26:27]
	v_mov_b32_e32 v16, 0
	s_waitcnt lgkmcnt(0)
	s_barrier
	s_and_saveexec_b64 s[26:27], s[16:17]
; %bb.33:                               ;   in Loop: Header=BB98_20 Depth=1
	ds_read_b32 v16, v45
; %bb.34:                               ;   in Loop: Header=BB98_20 Depth=1
	s_or_b64 exec, exec, s[26:27]
	s_waitcnt lgkmcnt(0)
	v_add_u32_e32 v4, v16, v4
	ds_bpermute_b32 v4, v43, v4
	v_lshlrev_b32_e32 v5, 3, v5
	s_add_i32 s34, s34, 8
	s_cmp_ge_u32 s34, s36
	s_mov_b64 s[26:27], -1
	s_waitcnt lgkmcnt(0)
	v_cndmask_b32_e64 v4, v4, v16, s[18:19]
	v_cndmask_b32_e64 v16, v4, 0, s[20:21]
	v_add_u32_e32 v17, v16, v1
	v_add_u32_e32 v1, v17, v2
	;; [unrolled: 1-line block ×3, first 2 shown]
	ds_write2_b64 v41, v[16:17], v[1:2] offset0:2 offset1:3
	s_waitcnt lgkmcnt(0)
	s_barrier
	ds_read_b32 v1, v6 offset:16
	ds_read_b32 v2, v8 offset:16
	;; [unrolled: 1-line block ×4, first 2 shown]
	v_lshlrev_b32_e32 v6, 3, v7
	s_waitcnt lgkmcnt(3)
	v_lshl_add_u32 v1, v1, 3, v5
	v_lshlrev_b32_e32 v5, 3, v9
	s_waitcnt lgkmcnt(2)
	v_lshlrev_b32_e32 v2, 3, v2
	v_add3_u32 v2, v5, v6, v2
	v_lshlrev_b32_e32 v5, 3, v12
	v_lshlrev_b32_e32 v6, 3, v10
	s_waitcnt lgkmcnt(1)
	v_lshlrev_b32_e32 v3, 3, v3
	v_add3_u32 v32, v5, v6, v3
	v_lshlrev_b32_e32 v3, 3, v15
	v_lshlrev_b32_e32 v5, 3, v13
	s_waitcnt lgkmcnt(0)
	v_lshlrev_b32_e32 v4, 3, v4
	v_add3_u32 v48, v3, v5, v4
                                        ; implicit-def: $vgpr9_vgpr10
                                        ; implicit-def: $vgpr5_vgpr6
                                        ; implicit-def: $vgpr11_vgpr12
                                        ; implicit-def: $vgpr15_vgpr16
	s_cbranch_scc1 .LBB98_19
; %bb.35:                               ;   in Loop: Header=BB98_20 Depth=1
	s_barrier
	ds_write_b64 v1, v[39:40]
	ds_write_b64 v2, v[37:38]
	;; [unrolled: 1-line block ×4, first 2 shown]
	s_waitcnt lgkmcnt(0)
	s_barrier
	ds_read2st64_b64 v[3:6], v46 offset1:1
	ds_read2st64_b64 v[7:10], v46 offset0:2 offset1:3
	s_waitcnt lgkmcnt(0)
	s_barrier
	ds_write_b64 v1, v[25:26]
	ds_write_b64 v2, v[23:24]
	;; [unrolled: 1-line block ×4, first 2 shown]
	s_waitcnt lgkmcnt(0)
	s_barrier
	ds_read2st64_b64 v[11:14], v46 offset1:1
	ds_read2st64_b64 v[15:18], v46 offset0:2 offset1:3
	s_add_i32 s35, s35, -8
	s_mov_b64 s[26:27], 0
	s_waitcnt lgkmcnt(0)
	s_barrier
	s_branch .LBB98_19
.LBB98_36:
	v_lshlrev_b32_e32 v27, 3, v0
	s_barrier
	ds_write_b64 v1, v[39:40]
	ds_write_b64 v2, v[37:38]
	;; [unrolled: 1-line block ×4, first 2 shown]
	s_waitcnt lgkmcnt(0)
	s_barrier
	ds_read2st64_b64 v[9:12], v27 offset1:4
	ds_read2st64_b64 v[28:31], v27 offset0:8 offset1:12
	s_waitcnt lgkmcnt(0)
	s_barrier
	ds_write_b64 v1, v[25:26]
	ds_write_b64 v2, v[23:24]
	;; [unrolled: 1-line block ×4, first 2 shown]
	s_waitcnt lgkmcnt(0)
	s_barrier
	ds_read2st64_b64 v[5:8], v27 offset1:4
	ds_read2st64_b64 v[1:4], v27 offset0:8 offset1:12
	s_add_u32 s0, s38, s28
	s_addc_u32 s1, s39, s29
	v_mov_b32_e32 v14, s1
	v_add_co_u32_e64 v13, s[0:1], s0, v27
	v_xor_b32_e32 v18, 0x7fffffff, v10
	v_xor_b32_e32 v17, -1, v9
	v_xor_b32_e32 v16, 0x7fffffff, v12
	v_xor_b32_e32 v15, -1, v11
	v_xor_b32_e32 v12, 0x7fffffff, v29
	v_xor_b32_e32 v11, -1, v28
	v_xor_b32_e32 v10, 0x7fffffff, v31
	v_xor_b32_e32 v9, -1, v30
	s_andn2_b64 vcc, exec, s[30:31]
	v_addc_co_u32_e64 v14, s[0:1], 0, v14, s[0:1]
	s_cbranch_vccnz .LBB98_38
; %bb.37:
	v_add_co_u32_e32 v19, vcc, 0x1000, v13
	s_add_u32 s0, s42, s28
	v_addc_co_u32_e32 v20, vcc, 0, v14, vcc
	s_addc_u32 s1, s43, s29
	global_store_dwordx2 v[13:14], v[17:18], off
	global_store_dwordx2 v[13:14], v[15:16], off offset:2048
	global_store_dwordx2 v[19:20], v[11:12], off
	global_store_dwordx2 v[19:20], v[9:10], off offset:2048
	v_mov_b32_e32 v19, s1
	v_add_co_u32_e32 v20, vcc, s0, v27
	v_addc_co_u32_e32 v21, vcc, 0, v19, vcc
	v_add_co_u32_e32 v19, vcc, 0x1000, v20
	s_waitcnt lgkmcnt(1)
	global_store_dwordx2 v27, v[5:6], s[0:1]
	global_store_dwordx2 v27, v[7:8], s[0:1] offset:2048
	v_addc_co_u32_e32 v20, vcc, 0, v21, vcc
	s_mov_b64 s[6:7], -1
	s_waitcnt lgkmcnt(0)
	global_store_dwordx2 v[19:20], v[1:2], off
	s_cbranch_execz .LBB98_39
	s_branch .LBB98_52
.LBB98_38:
	s_mov_b64 s[6:7], 0
.LBB98_39:
	v_cmp_gt_u32_e64 s[0:1], s33, v0
	s_and_saveexec_b64 s[2:3], s[0:1]
	s_cbranch_execz .LBB98_41
; %bb.40:
	global_store_dwordx2 v[13:14], v[17:18], off
.LBB98_41:
	s_or_b64 exec, exec, s[2:3]
	v_or_b32_e32 v17, 0x100, v0
	v_cmp_gt_u32_e64 s[2:3], s33, v17
	s_and_saveexec_b64 s[4:5], s[2:3]
	s_cbranch_execz .LBB98_43
; %bb.42:
	global_store_dwordx2 v[13:14], v[15:16], off offset:2048
.LBB98_43:
	s_or_b64 exec, exec, s[4:5]
	v_or_b32_e32 v15, 0x200, v0
	v_cmp_gt_u32_e64 s[4:5], s33, v15
	s_and_saveexec_b64 s[6:7], s[4:5]
	s_cbranch_execz .LBB98_45
; %bb.44:
	v_add_co_u32_e32 v15, vcc, 0x1000, v13
	v_addc_co_u32_e32 v16, vcc, 0, v14, vcc
	global_store_dwordx2 v[15:16], v[11:12], off
.LBB98_45:
	s_or_b64 exec, exec, s[6:7]
	v_or_b32_e32 v0, 0x300, v0
	v_cmp_gt_u32_e64 s[6:7], s33, v0
	s_and_saveexec_b64 s[8:9], s[6:7]
	s_cbranch_execz .LBB98_47
; %bb.46:
	v_add_co_u32_e32 v11, vcc, 0x1000, v13
	v_addc_co_u32_e32 v12, vcc, 0, v14, vcc
	global_store_dwordx2 v[11:12], v[9:10], off offset:2048
.LBB98_47:
	s_or_b64 exec, exec, s[8:9]
	s_add_u32 s8, s42, s28
	s_addc_u32 s9, s43, s29
	v_mov_b32_e32 v0, s9
	v_add_co_u32_e32 v9, vcc, s8, v27
	v_addc_co_u32_e32 v10, vcc, 0, v0, vcc
	s_and_saveexec_b64 s[8:9], s[0:1]
	s_cbranch_execnz .LBB98_57
; %bb.48:
	s_or_b64 exec, exec, s[8:9]
	s_and_saveexec_b64 s[0:1], s[2:3]
	s_cbranch_execnz .LBB98_58
.LBB98_49:
	s_or_b64 exec, exec, s[0:1]
	s_and_saveexec_b64 s[0:1], s[4:5]
	s_cbranch_execz .LBB98_51
.LBB98_50:
	s_waitcnt lgkmcnt(1)
	v_add_co_u32_e32 v5, vcc, 0x1000, v9
	v_addc_co_u32_e32 v6, vcc, 0, v10, vcc
	s_waitcnt lgkmcnt(0)
	global_store_dwordx2 v[5:6], v[1:2], off
.LBB98_51:
	s_or_b64 exec, exec, s[0:1]
.LBB98_52:
	s_and_saveexec_b64 s[0:1], s[6:7]
	s_cbranch_execnz .LBB98_54
; %bb.53:
	s_endpgm
.LBB98_54:
	s_add_u32 s0, s42, s28
	s_addc_u32 s1, s43, s29
	v_mov_b32_e32 v0, s1
	s_waitcnt lgkmcnt(0)
	v_add_co_u32_e32 v1, vcc, s0, v27
	v_addc_co_u32_e32 v2, vcc, 0, v0, vcc
	v_add_co_u32_e32 v0, vcc, 0x1000, v1
	v_addc_co_u32_e32 v1, vcc, 0, v2, vcc
	global_store_dwordx2 v[0:1], v[3:4], off offset:2048
	s_endpgm
.LBB98_55:
	global_load_dwordx2 v[11:12], v[17:18], off
	s_or_b64 exec, exec, s[6:7]
	s_and_saveexec_b64 s[6:7], s[0:1]
	s_cbranch_execz .LBB98_13
.LBB98_56:
	global_load_dwordx2 v[13:14], v[17:18], off offset:512
	s_or_b64 exec, exec, s[6:7]
                                        ; implicit-def: $vgpr15_vgpr16
	s_and_saveexec_b64 s[0:1], s[2:3]
	s_cbranch_execnz .LBB98_14
	s_branch .LBB98_15
.LBB98_57:
	s_waitcnt lgkmcnt(1)
	global_store_dwordx2 v[9:10], v[5:6], off
	s_or_b64 exec, exec, s[8:9]
	s_and_saveexec_b64 s[0:1], s[2:3]
	s_cbranch_execz .LBB98_49
.LBB98_58:
	s_waitcnt lgkmcnt(1)
	global_store_dwordx2 v[9:10], v[7:8], off offset:2048
	s_or_b64 exec, exec, s[0:1]
	s_and_saveexec_b64 s[0:1], s[4:5]
	s_cbranch_execnz .LBB98_50
	s_branch .LBB98_51
	.section	.rodata,"a",@progbits
	.p2align	6, 0x0
	.amdhsa_kernel _ZN7rocprim17ROCPRIM_304000_NS6detail28radix_sort_block_sort_kernelINS1_36wrapped_radix_sort_block_sort_configINS0_13kernel_configILj256ELj4ELj4294967295EEElN2at4cuda3cub6detail10OpaqueTypeILi8EEEEELb1EPKlPlPKSB_PSB_NS0_19identity_decomposerEEEvT1_T2_T3_T4_jT5_jj
		.amdhsa_group_segment_fixed_size 8192
		.amdhsa_private_segment_fixed_size 0
		.amdhsa_kernarg_size 304
		.amdhsa_user_sgpr_count 6
		.amdhsa_user_sgpr_private_segment_buffer 1
		.amdhsa_user_sgpr_dispatch_ptr 0
		.amdhsa_user_sgpr_queue_ptr 0
		.amdhsa_user_sgpr_kernarg_segment_ptr 1
		.amdhsa_user_sgpr_dispatch_id 0
		.amdhsa_user_sgpr_flat_scratch_init 0
		.amdhsa_user_sgpr_private_segment_size 0
		.amdhsa_uses_dynamic_stack 0
		.amdhsa_system_sgpr_private_segment_wavefront_offset 0
		.amdhsa_system_sgpr_workgroup_id_x 1
		.amdhsa_system_sgpr_workgroup_id_y 0
		.amdhsa_system_sgpr_workgroup_id_z 0
		.amdhsa_system_sgpr_workgroup_info 0
		.amdhsa_system_vgpr_workitem_id 2
		.amdhsa_next_free_vgpr 49
		.amdhsa_next_free_sgpr 61
		.amdhsa_reserve_vcc 1
		.amdhsa_reserve_flat_scratch 0
		.amdhsa_float_round_mode_32 0
		.amdhsa_float_round_mode_16_64 0
		.amdhsa_float_denorm_mode_32 3
		.amdhsa_float_denorm_mode_16_64 3
		.amdhsa_dx10_clamp 1
		.amdhsa_ieee_mode 1
		.amdhsa_fp16_overflow 0
		.amdhsa_exception_fp_ieee_invalid_op 0
		.amdhsa_exception_fp_denorm_src 0
		.amdhsa_exception_fp_ieee_div_zero 0
		.amdhsa_exception_fp_ieee_overflow 0
		.amdhsa_exception_fp_ieee_underflow 0
		.amdhsa_exception_fp_ieee_inexact 0
		.amdhsa_exception_int_div_zero 0
	.end_amdhsa_kernel
	.section	.text._ZN7rocprim17ROCPRIM_304000_NS6detail28radix_sort_block_sort_kernelINS1_36wrapped_radix_sort_block_sort_configINS0_13kernel_configILj256ELj4ELj4294967295EEElN2at4cuda3cub6detail10OpaqueTypeILi8EEEEELb1EPKlPlPKSB_PSB_NS0_19identity_decomposerEEEvT1_T2_T3_T4_jT5_jj,"axG",@progbits,_ZN7rocprim17ROCPRIM_304000_NS6detail28radix_sort_block_sort_kernelINS1_36wrapped_radix_sort_block_sort_configINS0_13kernel_configILj256ELj4ELj4294967295EEElN2at4cuda3cub6detail10OpaqueTypeILi8EEEEELb1EPKlPlPKSB_PSB_NS0_19identity_decomposerEEEvT1_T2_T3_T4_jT5_jj,comdat
.Lfunc_end98:
	.size	_ZN7rocprim17ROCPRIM_304000_NS6detail28radix_sort_block_sort_kernelINS1_36wrapped_radix_sort_block_sort_configINS0_13kernel_configILj256ELj4ELj4294967295EEElN2at4cuda3cub6detail10OpaqueTypeILi8EEEEELb1EPKlPlPKSB_PSB_NS0_19identity_decomposerEEEvT1_T2_T3_T4_jT5_jj, .Lfunc_end98-_ZN7rocprim17ROCPRIM_304000_NS6detail28radix_sort_block_sort_kernelINS1_36wrapped_radix_sort_block_sort_configINS0_13kernel_configILj256ELj4ELj4294967295EEElN2at4cuda3cub6detail10OpaqueTypeILi8EEEEELb1EPKlPlPKSB_PSB_NS0_19identity_decomposerEEEvT1_T2_T3_T4_jT5_jj
                                        ; -- End function
	.set _ZN7rocprim17ROCPRIM_304000_NS6detail28radix_sort_block_sort_kernelINS1_36wrapped_radix_sort_block_sort_configINS0_13kernel_configILj256ELj4ELj4294967295EEElN2at4cuda3cub6detail10OpaqueTypeILi8EEEEELb1EPKlPlPKSB_PSB_NS0_19identity_decomposerEEEvT1_T2_T3_T4_jT5_jj.num_vgpr, 49
	.set _ZN7rocprim17ROCPRIM_304000_NS6detail28radix_sort_block_sort_kernelINS1_36wrapped_radix_sort_block_sort_configINS0_13kernel_configILj256ELj4ELj4294967295EEElN2at4cuda3cub6detail10OpaqueTypeILi8EEEEELb1EPKlPlPKSB_PSB_NS0_19identity_decomposerEEEvT1_T2_T3_T4_jT5_jj.num_agpr, 0
	.set _ZN7rocprim17ROCPRIM_304000_NS6detail28radix_sort_block_sort_kernelINS1_36wrapped_radix_sort_block_sort_configINS0_13kernel_configILj256ELj4ELj4294967295EEElN2at4cuda3cub6detail10OpaqueTypeILi8EEEEELb1EPKlPlPKSB_PSB_NS0_19identity_decomposerEEEvT1_T2_T3_T4_jT5_jj.numbered_sgpr, 44
	.set _ZN7rocprim17ROCPRIM_304000_NS6detail28radix_sort_block_sort_kernelINS1_36wrapped_radix_sort_block_sort_configINS0_13kernel_configILj256ELj4ELj4294967295EEElN2at4cuda3cub6detail10OpaqueTypeILi8EEEEELb1EPKlPlPKSB_PSB_NS0_19identity_decomposerEEEvT1_T2_T3_T4_jT5_jj.num_named_barrier, 0
	.set _ZN7rocprim17ROCPRIM_304000_NS6detail28radix_sort_block_sort_kernelINS1_36wrapped_radix_sort_block_sort_configINS0_13kernel_configILj256ELj4ELj4294967295EEElN2at4cuda3cub6detail10OpaqueTypeILi8EEEEELb1EPKlPlPKSB_PSB_NS0_19identity_decomposerEEEvT1_T2_T3_T4_jT5_jj.private_seg_size, 0
	.set _ZN7rocprim17ROCPRIM_304000_NS6detail28radix_sort_block_sort_kernelINS1_36wrapped_radix_sort_block_sort_configINS0_13kernel_configILj256ELj4ELj4294967295EEElN2at4cuda3cub6detail10OpaqueTypeILi8EEEEELb1EPKlPlPKSB_PSB_NS0_19identity_decomposerEEEvT1_T2_T3_T4_jT5_jj.uses_vcc, 1
	.set _ZN7rocprim17ROCPRIM_304000_NS6detail28radix_sort_block_sort_kernelINS1_36wrapped_radix_sort_block_sort_configINS0_13kernel_configILj256ELj4ELj4294967295EEElN2at4cuda3cub6detail10OpaqueTypeILi8EEEEELb1EPKlPlPKSB_PSB_NS0_19identity_decomposerEEEvT1_T2_T3_T4_jT5_jj.uses_flat_scratch, 0
	.set _ZN7rocprim17ROCPRIM_304000_NS6detail28radix_sort_block_sort_kernelINS1_36wrapped_radix_sort_block_sort_configINS0_13kernel_configILj256ELj4ELj4294967295EEElN2at4cuda3cub6detail10OpaqueTypeILi8EEEEELb1EPKlPlPKSB_PSB_NS0_19identity_decomposerEEEvT1_T2_T3_T4_jT5_jj.has_dyn_sized_stack, 0
	.set _ZN7rocprim17ROCPRIM_304000_NS6detail28radix_sort_block_sort_kernelINS1_36wrapped_radix_sort_block_sort_configINS0_13kernel_configILj256ELj4ELj4294967295EEElN2at4cuda3cub6detail10OpaqueTypeILi8EEEEELb1EPKlPlPKSB_PSB_NS0_19identity_decomposerEEEvT1_T2_T3_T4_jT5_jj.has_recursion, 0
	.set _ZN7rocprim17ROCPRIM_304000_NS6detail28radix_sort_block_sort_kernelINS1_36wrapped_radix_sort_block_sort_configINS0_13kernel_configILj256ELj4ELj4294967295EEElN2at4cuda3cub6detail10OpaqueTypeILi8EEEEELb1EPKlPlPKSB_PSB_NS0_19identity_decomposerEEEvT1_T2_T3_T4_jT5_jj.has_indirect_call, 0
	.section	.AMDGPU.csdata,"",@progbits
; Kernel info:
; codeLenInByte = 3844
; TotalNumSgprs: 48
; NumVgprs: 49
; ScratchSize: 0
; MemoryBound: 1
; FloatMode: 240
; IeeeMode: 1
; LDSByteSize: 8192 bytes/workgroup (compile time only)
; SGPRBlocks: 8
; VGPRBlocks: 12
; NumSGPRsForWavesPerEU: 65
; NumVGPRsForWavesPerEU: 49
; Occupancy: 4
; WaveLimiterHint : 1
; COMPUTE_PGM_RSRC2:SCRATCH_EN: 0
; COMPUTE_PGM_RSRC2:USER_SGPR: 6
; COMPUTE_PGM_RSRC2:TRAP_HANDLER: 0
; COMPUTE_PGM_RSRC2:TGID_X_EN: 1
; COMPUTE_PGM_RSRC2:TGID_Y_EN: 0
; COMPUTE_PGM_RSRC2:TGID_Z_EN: 0
; COMPUTE_PGM_RSRC2:TIDIG_COMP_CNT: 2
	.section	.text._ZN7rocprim17ROCPRIM_304000_NS6detail39device_merge_sort_compile_time_verifierINS1_36wrapped_merge_sort_block_sort_configINS1_28merge_sort_block_sort_configILj256ELj4ELNS0_20block_sort_algorithmE0EEElN2at4cuda3cub6detail10OpaqueTypeILi8EEEEENS1_37wrapped_merge_sort_block_merge_configINS0_14default_configElSC_EEEEvv,"axG",@progbits,_ZN7rocprim17ROCPRIM_304000_NS6detail39device_merge_sort_compile_time_verifierINS1_36wrapped_merge_sort_block_sort_configINS1_28merge_sort_block_sort_configILj256ELj4ELNS0_20block_sort_algorithmE0EEElN2at4cuda3cub6detail10OpaqueTypeILi8EEEEENS1_37wrapped_merge_sort_block_merge_configINS0_14default_configElSC_EEEEvv,comdat
	.protected	_ZN7rocprim17ROCPRIM_304000_NS6detail39device_merge_sort_compile_time_verifierINS1_36wrapped_merge_sort_block_sort_configINS1_28merge_sort_block_sort_configILj256ELj4ELNS0_20block_sort_algorithmE0EEElN2at4cuda3cub6detail10OpaqueTypeILi8EEEEENS1_37wrapped_merge_sort_block_merge_configINS0_14default_configElSC_EEEEvv ; -- Begin function _ZN7rocprim17ROCPRIM_304000_NS6detail39device_merge_sort_compile_time_verifierINS1_36wrapped_merge_sort_block_sort_configINS1_28merge_sort_block_sort_configILj256ELj4ELNS0_20block_sort_algorithmE0EEElN2at4cuda3cub6detail10OpaqueTypeILi8EEEEENS1_37wrapped_merge_sort_block_merge_configINS0_14default_configElSC_EEEEvv
	.globl	_ZN7rocprim17ROCPRIM_304000_NS6detail39device_merge_sort_compile_time_verifierINS1_36wrapped_merge_sort_block_sort_configINS1_28merge_sort_block_sort_configILj256ELj4ELNS0_20block_sort_algorithmE0EEElN2at4cuda3cub6detail10OpaqueTypeILi8EEEEENS1_37wrapped_merge_sort_block_merge_configINS0_14default_configElSC_EEEEvv
	.p2align	8
	.type	_ZN7rocprim17ROCPRIM_304000_NS6detail39device_merge_sort_compile_time_verifierINS1_36wrapped_merge_sort_block_sort_configINS1_28merge_sort_block_sort_configILj256ELj4ELNS0_20block_sort_algorithmE0EEElN2at4cuda3cub6detail10OpaqueTypeILi8EEEEENS1_37wrapped_merge_sort_block_merge_configINS0_14default_configElSC_EEEEvv,@function
_ZN7rocprim17ROCPRIM_304000_NS6detail39device_merge_sort_compile_time_verifierINS1_36wrapped_merge_sort_block_sort_configINS1_28merge_sort_block_sort_configILj256ELj4ELNS0_20block_sort_algorithmE0EEElN2at4cuda3cub6detail10OpaqueTypeILi8EEEEENS1_37wrapped_merge_sort_block_merge_configINS0_14default_configElSC_EEEEvv: ; @_ZN7rocprim17ROCPRIM_304000_NS6detail39device_merge_sort_compile_time_verifierINS1_36wrapped_merge_sort_block_sort_configINS1_28merge_sort_block_sort_configILj256ELj4ELNS0_20block_sort_algorithmE0EEElN2at4cuda3cub6detail10OpaqueTypeILi8EEEEENS1_37wrapped_merge_sort_block_merge_configINS0_14default_configElSC_EEEEvv
; %bb.0:
	s_endpgm
	.section	.rodata,"a",@progbits
	.p2align	6, 0x0
	.amdhsa_kernel _ZN7rocprim17ROCPRIM_304000_NS6detail39device_merge_sort_compile_time_verifierINS1_36wrapped_merge_sort_block_sort_configINS1_28merge_sort_block_sort_configILj256ELj4ELNS0_20block_sort_algorithmE0EEElN2at4cuda3cub6detail10OpaqueTypeILi8EEEEENS1_37wrapped_merge_sort_block_merge_configINS0_14default_configElSC_EEEEvv
		.amdhsa_group_segment_fixed_size 0
		.amdhsa_private_segment_fixed_size 0
		.amdhsa_kernarg_size 0
		.amdhsa_user_sgpr_count 4
		.amdhsa_user_sgpr_private_segment_buffer 1
		.amdhsa_user_sgpr_dispatch_ptr 0
		.amdhsa_user_sgpr_queue_ptr 0
		.amdhsa_user_sgpr_kernarg_segment_ptr 0
		.amdhsa_user_sgpr_dispatch_id 0
		.amdhsa_user_sgpr_flat_scratch_init 0
		.amdhsa_user_sgpr_private_segment_size 0
		.amdhsa_uses_dynamic_stack 0
		.amdhsa_system_sgpr_private_segment_wavefront_offset 0
		.amdhsa_system_sgpr_workgroup_id_x 1
		.amdhsa_system_sgpr_workgroup_id_y 0
		.amdhsa_system_sgpr_workgroup_id_z 0
		.amdhsa_system_sgpr_workgroup_info 0
		.amdhsa_system_vgpr_workitem_id 0
		.amdhsa_next_free_vgpr 1
		.amdhsa_next_free_sgpr 0
		.amdhsa_reserve_vcc 0
		.amdhsa_reserve_flat_scratch 0
		.amdhsa_float_round_mode_32 0
		.amdhsa_float_round_mode_16_64 0
		.amdhsa_float_denorm_mode_32 3
		.amdhsa_float_denorm_mode_16_64 3
		.amdhsa_dx10_clamp 1
		.amdhsa_ieee_mode 1
		.amdhsa_fp16_overflow 0
		.amdhsa_exception_fp_ieee_invalid_op 0
		.amdhsa_exception_fp_denorm_src 0
		.amdhsa_exception_fp_ieee_div_zero 0
		.amdhsa_exception_fp_ieee_overflow 0
		.amdhsa_exception_fp_ieee_underflow 0
		.amdhsa_exception_fp_ieee_inexact 0
		.amdhsa_exception_int_div_zero 0
	.end_amdhsa_kernel
	.section	.text._ZN7rocprim17ROCPRIM_304000_NS6detail39device_merge_sort_compile_time_verifierINS1_36wrapped_merge_sort_block_sort_configINS1_28merge_sort_block_sort_configILj256ELj4ELNS0_20block_sort_algorithmE0EEElN2at4cuda3cub6detail10OpaqueTypeILi8EEEEENS1_37wrapped_merge_sort_block_merge_configINS0_14default_configElSC_EEEEvv,"axG",@progbits,_ZN7rocprim17ROCPRIM_304000_NS6detail39device_merge_sort_compile_time_verifierINS1_36wrapped_merge_sort_block_sort_configINS1_28merge_sort_block_sort_configILj256ELj4ELNS0_20block_sort_algorithmE0EEElN2at4cuda3cub6detail10OpaqueTypeILi8EEEEENS1_37wrapped_merge_sort_block_merge_configINS0_14default_configElSC_EEEEvv,comdat
.Lfunc_end99:
	.size	_ZN7rocprim17ROCPRIM_304000_NS6detail39device_merge_sort_compile_time_verifierINS1_36wrapped_merge_sort_block_sort_configINS1_28merge_sort_block_sort_configILj256ELj4ELNS0_20block_sort_algorithmE0EEElN2at4cuda3cub6detail10OpaqueTypeILi8EEEEENS1_37wrapped_merge_sort_block_merge_configINS0_14default_configElSC_EEEEvv, .Lfunc_end99-_ZN7rocprim17ROCPRIM_304000_NS6detail39device_merge_sort_compile_time_verifierINS1_36wrapped_merge_sort_block_sort_configINS1_28merge_sort_block_sort_configILj256ELj4ELNS0_20block_sort_algorithmE0EEElN2at4cuda3cub6detail10OpaqueTypeILi8EEEEENS1_37wrapped_merge_sort_block_merge_configINS0_14default_configElSC_EEEEvv
                                        ; -- End function
	.set _ZN7rocprim17ROCPRIM_304000_NS6detail39device_merge_sort_compile_time_verifierINS1_36wrapped_merge_sort_block_sort_configINS1_28merge_sort_block_sort_configILj256ELj4ELNS0_20block_sort_algorithmE0EEElN2at4cuda3cub6detail10OpaqueTypeILi8EEEEENS1_37wrapped_merge_sort_block_merge_configINS0_14default_configElSC_EEEEvv.num_vgpr, 0
	.set _ZN7rocprim17ROCPRIM_304000_NS6detail39device_merge_sort_compile_time_verifierINS1_36wrapped_merge_sort_block_sort_configINS1_28merge_sort_block_sort_configILj256ELj4ELNS0_20block_sort_algorithmE0EEElN2at4cuda3cub6detail10OpaqueTypeILi8EEEEENS1_37wrapped_merge_sort_block_merge_configINS0_14default_configElSC_EEEEvv.num_agpr, 0
	.set _ZN7rocprim17ROCPRIM_304000_NS6detail39device_merge_sort_compile_time_verifierINS1_36wrapped_merge_sort_block_sort_configINS1_28merge_sort_block_sort_configILj256ELj4ELNS0_20block_sort_algorithmE0EEElN2at4cuda3cub6detail10OpaqueTypeILi8EEEEENS1_37wrapped_merge_sort_block_merge_configINS0_14default_configElSC_EEEEvv.numbered_sgpr, 0
	.set _ZN7rocprim17ROCPRIM_304000_NS6detail39device_merge_sort_compile_time_verifierINS1_36wrapped_merge_sort_block_sort_configINS1_28merge_sort_block_sort_configILj256ELj4ELNS0_20block_sort_algorithmE0EEElN2at4cuda3cub6detail10OpaqueTypeILi8EEEEENS1_37wrapped_merge_sort_block_merge_configINS0_14default_configElSC_EEEEvv.num_named_barrier, 0
	.set _ZN7rocprim17ROCPRIM_304000_NS6detail39device_merge_sort_compile_time_verifierINS1_36wrapped_merge_sort_block_sort_configINS1_28merge_sort_block_sort_configILj256ELj4ELNS0_20block_sort_algorithmE0EEElN2at4cuda3cub6detail10OpaqueTypeILi8EEEEENS1_37wrapped_merge_sort_block_merge_configINS0_14default_configElSC_EEEEvv.private_seg_size, 0
	.set _ZN7rocprim17ROCPRIM_304000_NS6detail39device_merge_sort_compile_time_verifierINS1_36wrapped_merge_sort_block_sort_configINS1_28merge_sort_block_sort_configILj256ELj4ELNS0_20block_sort_algorithmE0EEElN2at4cuda3cub6detail10OpaqueTypeILi8EEEEENS1_37wrapped_merge_sort_block_merge_configINS0_14default_configElSC_EEEEvv.uses_vcc, 0
	.set _ZN7rocprim17ROCPRIM_304000_NS6detail39device_merge_sort_compile_time_verifierINS1_36wrapped_merge_sort_block_sort_configINS1_28merge_sort_block_sort_configILj256ELj4ELNS0_20block_sort_algorithmE0EEElN2at4cuda3cub6detail10OpaqueTypeILi8EEEEENS1_37wrapped_merge_sort_block_merge_configINS0_14default_configElSC_EEEEvv.uses_flat_scratch, 0
	.set _ZN7rocprim17ROCPRIM_304000_NS6detail39device_merge_sort_compile_time_verifierINS1_36wrapped_merge_sort_block_sort_configINS1_28merge_sort_block_sort_configILj256ELj4ELNS0_20block_sort_algorithmE0EEElN2at4cuda3cub6detail10OpaqueTypeILi8EEEEENS1_37wrapped_merge_sort_block_merge_configINS0_14default_configElSC_EEEEvv.has_dyn_sized_stack, 0
	.set _ZN7rocprim17ROCPRIM_304000_NS6detail39device_merge_sort_compile_time_verifierINS1_36wrapped_merge_sort_block_sort_configINS1_28merge_sort_block_sort_configILj256ELj4ELNS0_20block_sort_algorithmE0EEElN2at4cuda3cub6detail10OpaqueTypeILi8EEEEENS1_37wrapped_merge_sort_block_merge_configINS0_14default_configElSC_EEEEvv.has_recursion, 0
	.set _ZN7rocprim17ROCPRIM_304000_NS6detail39device_merge_sort_compile_time_verifierINS1_36wrapped_merge_sort_block_sort_configINS1_28merge_sort_block_sort_configILj256ELj4ELNS0_20block_sort_algorithmE0EEElN2at4cuda3cub6detail10OpaqueTypeILi8EEEEENS1_37wrapped_merge_sort_block_merge_configINS0_14default_configElSC_EEEEvv.has_indirect_call, 0
	.section	.AMDGPU.csdata,"",@progbits
; Kernel info:
; codeLenInByte = 4
; TotalNumSgprs: 4
; NumVgprs: 0
; ScratchSize: 0
; MemoryBound: 0
; FloatMode: 240
; IeeeMode: 1
; LDSByteSize: 0 bytes/workgroup (compile time only)
; SGPRBlocks: 0
; VGPRBlocks: 0
; NumSGPRsForWavesPerEU: 4
; NumVGPRsForWavesPerEU: 1
; Occupancy: 10
; WaveLimiterHint : 0
; COMPUTE_PGM_RSRC2:SCRATCH_EN: 0
; COMPUTE_PGM_RSRC2:USER_SGPR: 4
; COMPUTE_PGM_RSRC2:TRAP_HANDLER: 0
; COMPUTE_PGM_RSRC2:TGID_X_EN: 1
; COMPUTE_PGM_RSRC2:TGID_Y_EN: 0
; COMPUTE_PGM_RSRC2:TGID_Z_EN: 0
; COMPUTE_PGM_RSRC2:TIDIG_COMP_CNT: 0
	.section	.text._ZN7rocprim17ROCPRIM_304000_NS6detail45device_block_merge_mergepath_partition_kernelINS1_37wrapped_merge_sort_block_merge_configINS0_14default_configElN2at4cuda3cub6detail10OpaqueTypeILi8EEEEEPljNS1_19radix_merge_compareILb1ELb0ElNS0_19identity_decomposerEEEEEvT0_T1_jPSH_T2_SH_,"axG",@progbits,_ZN7rocprim17ROCPRIM_304000_NS6detail45device_block_merge_mergepath_partition_kernelINS1_37wrapped_merge_sort_block_merge_configINS0_14default_configElN2at4cuda3cub6detail10OpaqueTypeILi8EEEEEPljNS1_19radix_merge_compareILb1ELb0ElNS0_19identity_decomposerEEEEEvT0_T1_jPSH_T2_SH_,comdat
	.protected	_ZN7rocprim17ROCPRIM_304000_NS6detail45device_block_merge_mergepath_partition_kernelINS1_37wrapped_merge_sort_block_merge_configINS0_14default_configElN2at4cuda3cub6detail10OpaqueTypeILi8EEEEEPljNS1_19radix_merge_compareILb1ELb0ElNS0_19identity_decomposerEEEEEvT0_T1_jPSH_T2_SH_ ; -- Begin function _ZN7rocprim17ROCPRIM_304000_NS6detail45device_block_merge_mergepath_partition_kernelINS1_37wrapped_merge_sort_block_merge_configINS0_14default_configElN2at4cuda3cub6detail10OpaqueTypeILi8EEEEEPljNS1_19radix_merge_compareILb1ELb0ElNS0_19identity_decomposerEEEEEvT0_T1_jPSH_T2_SH_
	.globl	_ZN7rocprim17ROCPRIM_304000_NS6detail45device_block_merge_mergepath_partition_kernelINS1_37wrapped_merge_sort_block_merge_configINS0_14default_configElN2at4cuda3cub6detail10OpaqueTypeILi8EEEEEPljNS1_19radix_merge_compareILb1ELb0ElNS0_19identity_decomposerEEEEEvT0_T1_jPSH_T2_SH_
	.p2align	8
	.type	_ZN7rocprim17ROCPRIM_304000_NS6detail45device_block_merge_mergepath_partition_kernelINS1_37wrapped_merge_sort_block_merge_configINS0_14default_configElN2at4cuda3cub6detail10OpaqueTypeILi8EEEEEPljNS1_19radix_merge_compareILb1ELb0ElNS0_19identity_decomposerEEEEEvT0_T1_jPSH_T2_SH_,@function
_ZN7rocprim17ROCPRIM_304000_NS6detail45device_block_merge_mergepath_partition_kernelINS1_37wrapped_merge_sort_block_merge_configINS0_14default_configElN2at4cuda3cub6detail10OpaqueTypeILi8EEEEEPljNS1_19radix_merge_compareILb1ELb0ElNS0_19identity_decomposerEEEEEvT0_T1_jPSH_T2_SH_: ; @_ZN7rocprim17ROCPRIM_304000_NS6detail45device_block_merge_mergepath_partition_kernelINS1_37wrapped_merge_sort_block_merge_configINS0_14default_configElN2at4cuda3cub6detail10OpaqueTypeILi8EEEEEPljNS1_19radix_merge_compareILb1ELb0ElNS0_19identity_decomposerEEEEEvT0_T1_jPSH_T2_SH_
; %bb.0:
	s_load_dwordx2 s[0:1], s[4:5], 0x8
	v_lshl_or_b32 v0, s6, 7, v0
	s_waitcnt lgkmcnt(0)
	v_cmp_gt_u32_e32 vcc, s1, v0
	s_and_saveexec_b64 s[2:3], vcc
	s_cbranch_execz .LBB100_6
; %bb.1:
	s_load_dword s1, s[4:5], 0x1c
	s_waitcnt lgkmcnt(0)
	s_lshr_b32 s2, s1, 9
	s_and_b32 s2, s2, 0x7ffffe
	s_add_i32 s3, s2, -1
	s_sub_i32 s2, 0, s2
	v_and_b32_e32 v1, s2, v0
	v_lshlrev_b32_e32 v3, 10, v1
	v_min_u32_e32 v1, s0, v3
	v_add_u32_e32 v3, s1, v3
	v_min_u32_e32 v3, s0, v3
	v_add_u32_e32 v4, s1, v3
	v_and_b32_e32 v2, s3, v0
	v_min_u32_e32 v4, s0, v4
	v_lshlrev_b32_e32 v2, 10, v2
	v_sub_u32_e32 v5, v4, v1
	v_min_u32_e32 v6, v5, v2
	v_sub_u32_e32 v2, v3, v1
	v_sub_u32_e32 v4, v4, v3
	v_sub_u32_e64 v5, v6, v4 clamp
	v_min_u32_e32 v7, v6, v2
	v_cmp_lt_u32_e32 vcc, v5, v7
	s_and_saveexec_b64 s[0:1], vcc
	s_cbranch_execz .LBB100_5
; %bb.2:
	s_load_dwordx2 s[2:3], s[4:5], 0x0
	v_mov_b32_e32 v4, 0
	v_mov_b32_e32 v2, v4
	v_lshlrev_b64 v[8:9], 3, v[1:2]
	s_waitcnt lgkmcnt(0)
	v_mov_b32_e32 v11, s3
	v_add_co_u32_e32 v2, vcc, s2, v8
	v_addc_co_u32_e32 v8, vcc, v11, v9, vcc
	v_lshlrev_b64 v[9:10], 3, v[3:4]
	v_add_co_u32_e32 v9, vcc, s2, v9
	v_addc_co_u32_e32 v10, vcc, v11, v10, vcc
	s_mov_b64 s[2:3], 0
.LBB100_3:                              ; =>This Inner Loop Header: Depth=1
	v_add_u32_e32 v3, v7, v5
	v_lshrrev_b32_e32 v3, 1, v3
	v_lshlrev_b64 v[13:14], 3, v[3:4]
	v_mov_b32_e32 v12, v4
	v_xad_u32 v11, v3, -1, v6
	v_lshlrev_b64 v[11:12], 3, v[11:12]
	v_add_co_u32_e32 v13, vcc, v2, v13
	v_addc_co_u32_e32 v14, vcc, v8, v14, vcc
	v_add_co_u32_e32 v11, vcc, v9, v11
	v_addc_co_u32_e32 v12, vcc, v10, v12, vcc
	global_load_dwordx2 v[15:16], v[13:14], off
	global_load_dwordx2 v[17:18], v[11:12], off
	v_add_u32_e32 v11, 1, v3
	s_waitcnt vmcnt(0)
	v_cmp_gt_i64_e32 vcc, v[17:18], v[15:16]
	v_cndmask_b32_e32 v7, v7, v3, vcc
	v_cndmask_b32_e32 v5, v11, v5, vcc
	v_cmp_ge_u32_e32 vcc, v5, v7
	s_or_b64 s[2:3], vcc, s[2:3]
	s_andn2_b64 exec, exec, s[2:3]
	s_cbranch_execnz .LBB100_3
; %bb.4:
	s_or_b64 exec, exec, s[2:3]
.LBB100_5:
	s_or_b64 exec, exec, s[0:1]
	s_load_dwordx2 s[0:1], s[4:5], 0x10
	v_add_u32_e32 v2, v5, v1
	v_mov_b32_e32 v1, 0
	v_lshlrev_b64 v[0:1], 2, v[0:1]
	s_waitcnt lgkmcnt(0)
	v_mov_b32_e32 v3, s1
	v_add_co_u32_e32 v0, vcc, s0, v0
	v_addc_co_u32_e32 v1, vcc, v3, v1, vcc
	global_store_dword v[0:1], v2, off
.LBB100_6:
	s_endpgm
	.section	.rodata,"a",@progbits
	.p2align	6, 0x0
	.amdhsa_kernel _ZN7rocprim17ROCPRIM_304000_NS6detail45device_block_merge_mergepath_partition_kernelINS1_37wrapped_merge_sort_block_merge_configINS0_14default_configElN2at4cuda3cub6detail10OpaqueTypeILi8EEEEEPljNS1_19radix_merge_compareILb1ELb0ElNS0_19identity_decomposerEEEEEvT0_T1_jPSH_T2_SH_
		.amdhsa_group_segment_fixed_size 0
		.amdhsa_private_segment_fixed_size 0
		.amdhsa_kernarg_size 32
		.amdhsa_user_sgpr_count 6
		.amdhsa_user_sgpr_private_segment_buffer 1
		.amdhsa_user_sgpr_dispatch_ptr 0
		.amdhsa_user_sgpr_queue_ptr 0
		.amdhsa_user_sgpr_kernarg_segment_ptr 1
		.amdhsa_user_sgpr_dispatch_id 0
		.amdhsa_user_sgpr_flat_scratch_init 0
		.amdhsa_user_sgpr_private_segment_size 0
		.amdhsa_uses_dynamic_stack 0
		.amdhsa_system_sgpr_private_segment_wavefront_offset 0
		.amdhsa_system_sgpr_workgroup_id_x 1
		.amdhsa_system_sgpr_workgroup_id_y 0
		.amdhsa_system_sgpr_workgroup_id_z 0
		.amdhsa_system_sgpr_workgroup_info 0
		.amdhsa_system_vgpr_workitem_id 0
		.amdhsa_next_free_vgpr 19
		.amdhsa_next_free_sgpr 7
		.amdhsa_reserve_vcc 1
		.amdhsa_reserve_flat_scratch 0
		.amdhsa_float_round_mode_32 0
		.amdhsa_float_round_mode_16_64 0
		.amdhsa_float_denorm_mode_32 3
		.amdhsa_float_denorm_mode_16_64 3
		.amdhsa_dx10_clamp 1
		.amdhsa_ieee_mode 1
		.amdhsa_fp16_overflow 0
		.amdhsa_exception_fp_ieee_invalid_op 0
		.amdhsa_exception_fp_denorm_src 0
		.amdhsa_exception_fp_ieee_div_zero 0
		.amdhsa_exception_fp_ieee_overflow 0
		.amdhsa_exception_fp_ieee_underflow 0
		.amdhsa_exception_fp_ieee_inexact 0
		.amdhsa_exception_int_div_zero 0
	.end_amdhsa_kernel
	.section	.text._ZN7rocprim17ROCPRIM_304000_NS6detail45device_block_merge_mergepath_partition_kernelINS1_37wrapped_merge_sort_block_merge_configINS0_14default_configElN2at4cuda3cub6detail10OpaqueTypeILi8EEEEEPljNS1_19radix_merge_compareILb1ELb0ElNS0_19identity_decomposerEEEEEvT0_T1_jPSH_T2_SH_,"axG",@progbits,_ZN7rocprim17ROCPRIM_304000_NS6detail45device_block_merge_mergepath_partition_kernelINS1_37wrapped_merge_sort_block_merge_configINS0_14default_configElN2at4cuda3cub6detail10OpaqueTypeILi8EEEEEPljNS1_19radix_merge_compareILb1ELb0ElNS0_19identity_decomposerEEEEEvT0_T1_jPSH_T2_SH_,comdat
.Lfunc_end100:
	.size	_ZN7rocprim17ROCPRIM_304000_NS6detail45device_block_merge_mergepath_partition_kernelINS1_37wrapped_merge_sort_block_merge_configINS0_14default_configElN2at4cuda3cub6detail10OpaqueTypeILi8EEEEEPljNS1_19radix_merge_compareILb1ELb0ElNS0_19identity_decomposerEEEEEvT0_T1_jPSH_T2_SH_, .Lfunc_end100-_ZN7rocprim17ROCPRIM_304000_NS6detail45device_block_merge_mergepath_partition_kernelINS1_37wrapped_merge_sort_block_merge_configINS0_14default_configElN2at4cuda3cub6detail10OpaqueTypeILi8EEEEEPljNS1_19radix_merge_compareILb1ELb0ElNS0_19identity_decomposerEEEEEvT0_T1_jPSH_T2_SH_
                                        ; -- End function
	.set _ZN7rocprim17ROCPRIM_304000_NS6detail45device_block_merge_mergepath_partition_kernelINS1_37wrapped_merge_sort_block_merge_configINS0_14default_configElN2at4cuda3cub6detail10OpaqueTypeILi8EEEEEPljNS1_19radix_merge_compareILb1ELb0ElNS0_19identity_decomposerEEEEEvT0_T1_jPSH_T2_SH_.num_vgpr, 19
	.set _ZN7rocprim17ROCPRIM_304000_NS6detail45device_block_merge_mergepath_partition_kernelINS1_37wrapped_merge_sort_block_merge_configINS0_14default_configElN2at4cuda3cub6detail10OpaqueTypeILi8EEEEEPljNS1_19radix_merge_compareILb1ELb0ElNS0_19identity_decomposerEEEEEvT0_T1_jPSH_T2_SH_.num_agpr, 0
	.set _ZN7rocprim17ROCPRIM_304000_NS6detail45device_block_merge_mergepath_partition_kernelINS1_37wrapped_merge_sort_block_merge_configINS0_14default_configElN2at4cuda3cub6detail10OpaqueTypeILi8EEEEEPljNS1_19radix_merge_compareILb1ELb0ElNS0_19identity_decomposerEEEEEvT0_T1_jPSH_T2_SH_.numbered_sgpr, 7
	.set _ZN7rocprim17ROCPRIM_304000_NS6detail45device_block_merge_mergepath_partition_kernelINS1_37wrapped_merge_sort_block_merge_configINS0_14default_configElN2at4cuda3cub6detail10OpaqueTypeILi8EEEEEPljNS1_19radix_merge_compareILb1ELb0ElNS0_19identity_decomposerEEEEEvT0_T1_jPSH_T2_SH_.num_named_barrier, 0
	.set _ZN7rocprim17ROCPRIM_304000_NS6detail45device_block_merge_mergepath_partition_kernelINS1_37wrapped_merge_sort_block_merge_configINS0_14default_configElN2at4cuda3cub6detail10OpaqueTypeILi8EEEEEPljNS1_19radix_merge_compareILb1ELb0ElNS0_19identity_decomposerEEEEEvT0_T1_jPSH_T2_SH_.private_seg_size, 0
	.set _ZN7rocprim17ROCPRIM_304000_NS6detail45device_block_merge_mergepath_partition_kernelINS1_37wrapped_merge_sort_block_merge_configINS0_14default_configElN2at4cuda3cub6detail10OpaqueTypeILi8EEEEEPljNS1_19radix_merge_compareILb1ELb0ElNS0_19identity_decomposerEEEEEvT0_T1_jPSH_T2_SH_.uses_vcc, 1
	.set _ZN7rocprim17ROCPRIM_304000_NS6detail45device_block_merge_mergepath_partition_kernelINS1_37wrapped_merge_sort_block_merge_configINS0_14default_configElN2at4cuda3cub6detail10OpaqueTypeILi8EEEEEPljNS1_19radix_merge_compareILb1ELb0ElNS0_19identity_decomposerEEEEEvT0_T1_jPSH_T2_SH_.uses_flat_scratch, 0
	.set _ZN7rocprim17ROCPRIM_304000_NS6detail45device_block_merge_mergepath_partition_kernelINS1_37wrapped_merge_sort_block_merge_configINS0_14default_configElN2at4cuda3cub6detail10OpaqueTypeILi8EEEEEPljNS1_19radix_merge_compareILb1ELb0ElNS0_19identity_decomposerEEEEEvT0_T1_jPSH_T2_SH_.has_dyn_sized_stack, 0
	.set _ZN7rocprim17ROCPRIM_304000_NS6detail45device_block_merge_mergepath_partition_kernelINS1_37wrapped_merge_sort_block_merge_configINS0_14default_configElN2at4cuda3cub6detail10OpaqueTypeILi8EEEEEPljNS1_19radix_merge_compareILb1ELb0ElNS0_19identity_decomposerEEEEEvT0_T1_jPSH_T2_SH_.has_recursion, 0
	.set _ZN7rocprim17ROCPRIM_304000_NS6detail45device_block_merge_mergepath_partition_kernelINS1_37wrapped_merge_sort_block_merge_configINS0_14default_configElN2at4cuda3cub6detail10OpaqueTypeILi8EEEEEPljNS1_19radix_merge_compareILb1ELb0ElNS0_19identity_decomposerEEEEEvT0_T1_jPSH_T2_SH_.has_indirect_call, 0
	.section	.AMDGPU.csdata,"",@progbits
; Kernel info:
; codeLenInByte = 364
; TotalNumSgprs: 11
; NumVgprs: 19
; ScratchSize: 0
; MemoryBound: 0
; FloatMode: 240
; IeeeMode: 1
; LDSByteSize: 0 bytes/workgroup (compile time only)
; SGPRBlocks: 1
; VGPRBlocks: 4
; NumSGPRsForWavesPerEU: 11
; NumVGPRsForWavesPerEU: 19
; Occupancy: 10
; WaveLimiterHint : 0
; COMPUTE_PGM_RSRC2:SCRATCH_EN: 0
; COMPUTE_PGM_RSRC2:USER_SGPR: 6
; COMPUTE_PGM_RSRC2:TRAP_HANDLER: 0
; COMPUTE_PGM_RSRC2:TGID_X_EN: 1
; COMPUTE_PGM_RSRC2:TGID_Y_EN: 0
; COMPUTE_PGM_RSRC2:TGID_Z_EN: 0
; COMPUTE_PGM_RSRC2:TIDIG_COMP_CNT: 0
	.section	.text._ZN7rocprim17ROCPRIM_304000_NS6detail35device_block_merge_mergepath_kernelINS1_37wrapped_merge_sort_block_merge_configINS0_14default_configElN2at4cuda3cub6detail10OpaqueTypeILi8EEEEEPlSC_PSA_SD_jNS1_19radix_merge_compareILb1ELb0ElNS0_19identity_decomposerEEEEEvT0_T1_T2_T3_T4_SL_jT5_PKSL_NS1_7vsmem_tE,"axG",@progbits,_ZN7rocprim17ROCPRIM_304000_NS6detail35device_block_merge_mergepath_kernelINS1_37wrapped_merge_sort_block_merge_configINS0_14default_configElN2at4cuda3cub6detail10OpaqueTypeILi8EEEEEPlSC_PSA_SD_jNS1_19radix_merge_compareILb1ELb0ElNS0_19identity_decomposerEEEEEvT0_T1_T2_T3_T4_SL_jT5_PKSL_NS1_7vsmem_tE,comdat
	.protected	_ZN7rocprim17ROCPRIM_304000_NS6detail35device_block_merge_mergepath_kernelINS1_37wrapped_merge_sort_block_merge_configINS0_14default_configElN2at4cuda3cub6detail10OpaqueTypeILi8EEEEEPlSC_PSA_SD_jNS1_19radix_merge_compareILb1ELb0ElNS0_19identity_decomposerEEEEEvT0_T1_T2_T3_T4_SL_jT5_PKSL_NS1_7vsmem_tE ; -- Begin function _ZN7rocprim17ROCPRIM_304000_NS6detail35device_block_merge_mergepath_kernelINS1_37wrapped_merge_sort_block_merge_configINS0_14default_configElN2at4cuda3cub6detail10OpaqueTypeILi8EEEEEPlSC_PSA_SD_jNS1_19radix_merge_compareILb1ELb0ElNS0_19identity_decomposerEEEEEvT0_T1_T2_T3_T4_SL_jT5_PKSL_NS1_7vsmem_tE
	.globl	_ZN7rocprim17ROCPRIM_304000_NS6detail35device_block_merge_mergepath_kernelINS1_37wrapped_merge_sort_block_merge_configINS0_14default_configElN2at4cuda3cub6detail10OpaqueTypeILi8EEEEEPlSC_PSA_SD_jNS1_19radix_merge_compareILb1ELb0ElNS0_19identity_decomposerEEEEEvT0_T1_T2_T3_T4_SL_jT5_PKSL_NS1_7vsmem_tE
	.p2align	8
	.type	_ZN7rocprim17ROCPRIM_304000_NS6detail35device_block_merge_mergepath_kernelINS1_37wrapped_merge_sort_block_merge_configINS0_14default_configElN2at4cuda3cub6detail10OpaqueTypeILi8EEEEEPlSC_PSA_SD_jNS1_19radix_merge_compareILb1ELb0ElNS0_19identity_decomposerEEEEEvT0_T1_T2_T3_T4_SL_jT5_PKSL_NS1_7vsmem_tE,@function
_ZN7rocprim17ROCPRIM_304000_NS6detail35device_block_merge_mergepath_kernelINS1_37wrapped_merge_sort_block_merge_configINS0_14default_configElN2at4cuda3cub6detail10OpaqueTypeILi8EEEEEPlSC_PSA_SD_jNS1_19radix_merge_compareILb1ELb0ElNS0_19identity_decomposerEEEEEvT0_T1_T2_T3_T4_SL_jT5_PKSL_NS1_7vsmem_tE: ; @_ZN7rocprim17ROCPRIM_304000_NS6detail35device_block_merge_mergepath_kernelINS1_37wrapped_merge_sort_block_merge_configINS0_14default_configElN2at4cuda3cub6detail10OpaqueTypeILi8EEEEEPlSC_PSA_SD_jNS1_19radix_merge_compareILb1ELb0ElNS0_19identity_decomposerEEEEEvT0_T1_T2_T3_T4_SL_jT5_PKSL_NS1_7vsmem_tE
; %bb.0:
	s_load_dwordx2 s[30:31], s[4:5], 0x40
	s_load_dwordx4 s[16:19], s[4:5], 0x20
	s_add_u32 s2, s4, 64
	s_addc_u32 s3, s5, 0
	s_waitcnt lgkmcnt(0)
	s_mul_i32 s0, s31, s8
	s_add_i32 s0, s0, s7
	s_mul_i32 s0, s0, s30
	s_add_i32 s0, s0, s6
	s_cmp_ge_u32 s0, s18
	s_cbranch_scc1 .LBB101_103
; %bb.1:
	s_load_dwordx8 s[8:15], s[4:5], 0x0
	s_load_dwordx2 s[18:19], s[4:5], 0x30
	s_lshr_b32 s31, s16, 10
	s_cmp_lg_u32 s0, s31
	s_mov_b32 s1, 0
	s_cselect_b64 s[20:21], -1, 0
	s_lshl_b64 s[4:5], s[0:1], 2
	s_waitcnt lgkmcnt(0)
	s_add_u32 s4, s18, s4
	s_addc_u32 s5, s19, s5
	s_load_dwordx2 s[22:23], s[4:5], 0x0
	s_lshr_b32 s4, s17, 9
	s_and_b32 s4, s4, 0x7ffffe
	s_sub_i32 s4, 0, s4
	s_and_b32 s5, s0, s4
	s_lshl_b32 s7, s5, 10
	s_lshl_b32 s18, s0, 10
	;; [unrolled: 1-line block ×3, first 2 shown]
	s_sub_i32 s19, s18, s7
	s_add_i32 s5, s5, s17
	s_add_i32 s19, s5, s19
	s_waitcnt lgkmcnt(0)
	s_sub_i32 s24, s19, s22
	s_sub_i32 s19, s19, s23
	;; [unrolled: 1-line block ×3, first 2 shown]
	s_min_u32 s24, s16, s24
	s_addk_i32 s19, 0x400
	s_or_b32 s4, s0, s4
	s_min_u32 s7, s16, s5
	s_add_i32 s5, s5, s17
	s_cmp_eq_u32 s4, -1
	s_cselect_b32 s4, s5, s19
	s_cselect_b32 s5, s7, s23
	s_min_u32 s4, s4, s16
	s_mov_b32 s23, s1
	s_sub_i32 s19, s5, s22
	s_sub_i32 s33, s4, s24
	s_lshl_b64 s[26:27], s[22:23], 3
	s_add_u32 s5, s8, s26
	s_mov_b32 s25, s1
	s_addc_u32 s7, s9, s27
	s_lshl_b64 s[28:29], s[24:25], 3
	s_add_u32 s4, s8, s28
	v_mov_b32_e32 v19, 0
	global_load_dword v1, v19, s[2:3] offset:14
	s_addc_u32 s8, s9, s29
	s_cmp_lt_u32 s6, s30
	s_cselect_b32 s1, 12, 18
	s_add_u32 s2, s2, s1
	s_addc_u32 s3, s3, 0
	global_load_ushort v2, v19, s[2:3]
	s_cmp_eq_u32 s0, s31
	v_cmp_gt_u32_e32 vcc, s19, v0
	v_lshlrev_b32_e32 v21, 3, v0
	s_waitcnt vmcnt(1)
	v_lshrrev_b32_e32 v3, 16, v1
	v_and_b32_e32 v1, 0xffff, v1
	v_mul_lo_u32 v1, v1, v3
	s_waitcnt vmcnt(0)
	v_mul_lo_u32 v20, v1, v2
	v_add_u32_e32 v18, v20, v0
	s_cbranch_scc1 .LBB101_3
; %bb.2:
	v_mov_b32_e32 v1, s7
	v_add_co_u32_e64 v3, s[0:1], s5, v21
	v_subrev_u32_e32 v2, s19, v0
	v_addc_co_u32_e64 v1, s[0:1], 0, v1, s[0:1]
	v_lshlrev_b32_e32 v2, 3, v2
	v_mov_b32_e32 v4, s8
	v_add_co_u32_e64 v5, s[0:1], s4, v2
	v_addc_co_u32_e64 v2, s[0:1], 0, v4, s[0:1]
	v_cndmask_b32_e32 v2, v2, v1, vcc
	v_cndmask_b32_e32 v1, v5, v3, vcc
	v_lshlrev_b64 v[3:4], 3, v[18:19]
	v_mov_b32_e32 v5, s7
	v_add_co_u32_e32 v6, vcc, s5, v3
	v_addc_co_u32_e32 v5, vcc, v5, v4, vcc
	v_subrev_co_u32_e32 v3, vcc, s19, v18
	v_mov_b32_e32 v4, v19
	v_lshlrev_b64 v[3:4], 3, v[3:4]
	v_mov_b32_e32 v7, s8
	v_add_co_u32_e64 v3, s[0:1], s4, v3
	v_addc_co_u32_e64 v4, s[0:1], v7, v4, s[0:1]
	v_add_u32_e32 v7, v18, v20
	v_mov_b32_e32 v8, v19
	v_cndmask_b32_e32 v4, v4, v5, vcc
	v_cndmask_b32_e32 v3, v3, v6, vcc
	v_lshlrev_b64 v[5:6], 3, v[7:8]
	v_mov_b32_e32 v8, s7
	v_add_co_u32_e32 v9, vcc, s5, v5
	v_addc_co_u32_e32 v8, vcc, v8, v6, vcc
	v_subrev_co_u32_e32 v5, vcc, s19, v7
	v_mov_b32_e32 v6, v19
	v_lshlrev_b64 v[5:6], 3, v[5:6]
	v_mov_b32_e32 v10, s8
	v_add_co_u32_e64 v5, s[0:1], s4, v5
	v_addc_co_u32_e64 v6, s[0:1], v10, v6, s[0:1]
	v_cndmask_b32_e32 v5, v5, v9, vcc
	v_add_u32_e32 v9, v7, v20
	v_mov_b32_e32 v10, v19
	v_cndmask_b32_e32 v6, v6, v8, vcc
	v_lshlrev_b64 v[7:8], 3, v[9:10]
	v_mov_b32_e32 v10, s7
	v_add_co_u32_e32 v11, vcc, s5, v7
	v_addc_co_u32_e32 v10, vcc, v10, v8, vcc
	v_subrev_co_u32_e32 v7, vcc, s19, v9
	v_mov_b32_e32 v8, v19
	v_lshlrev_b64 v[7:8], 3, v[7:8]
	v_mov_b32_e32 v12, s8
	v_add_co_u32_e64 v7, s[0:1], s4, v7
	v_addc_co_u32_e64 v8, s[0:1], v12, v8, s[0:1]
	v_cndmask_b32_e32 v7, v7, v11, vcc
	v_add_u32_e32 v11, v9, v20
	v_mov_b32_e32 v12, v19
	;; [unrolled: 14-line block ×5, first 2 shown]
	v_cndmask_b32_e32 v13, v13, v17, vcc
	v_lshlrev_b64 v[16:17], 3, v[15:16]
	v_mov_b32_e32 v22, s7
	v_add_co_u32_e32 v23, vcc, s5, v16
	v_addc_co_u32_e32 v17, vcc, v22, v17, vcc
	v_subrev_co_u32_e32 v15, vcc, s19, v15
	v_mov_b32_e32 v16, v19
	v_lshlrev_b64 v[15:16], 3, v[15:16]
	v_mov_b32_e32 v19, s8
	v_add_co_u32_e64 v15, s[0:1], s4, v15
	v_addc_co_u32_e64 v16, s[0:1], v19, v16, s[0:1]
	v_cndmask_b32_e32 v16, v16, v17, vcc
	v_cndmask_b32_e32 v15, v15, v23, vcc
	global_load_dwordx2 v[1:2], v[1:2], off
	s_add_i32 s17, s33, s19
	global_load_dwordx2 v[3:4], v[3:4], off
	s_nop 0
	global_load_dwordx2 v[5:6], v[5:6], off
	s_nop 0
	;; [unrolled: 2-line block ×6, first 2 shown]
	global_load_dwordx2 v[15:16], v[15:16], off
	s_cbranch_execz .LBB101_4
	s_branch .LBB101_21
.LBB101_3:
                                        ; implicit-def: $vgpr1_vgpr2_vgpr3_vgpr4_vgpr5_vgpr6_vgpr7_vgpr8_vgpr9_vgpr10_vgpr11_vgpr12_vgpr13_vgpr14_vgpr15_vgpr16
                                        ; implicit-def: $sgpr17
.LBB101_4:
	s_add_i32 s17, s33, s19
	s_waitcnt vmcnt(7)
	v_mov_b32_e32 v1, 0
	v_cmp_gt_u32_e32 vcc, s17, v0
	v_mov_b32_e32 v2, v1
	s_waitcnt vmcnt(6)
	v_mov_b32_e32 v3, v1
	v_mov_b32_e32 v4, v1
	s_waitcnt vmcnt(5)
	v_mov_b32_e32 v5, v1
	v_mov_b32_e32 v6, v1
	s_waitcnt vmcnt(4)
	v_mov_b32_e32 v7, v1
	v_mov_b32_e32 v8, v1
	s_waitcnt vmcnt(3)
	v_mov_b32_e32 v9, v1
	v_mov_b32_e32 v10, v1
	s_waitcnt vmcnt(2)
	v_mov_b32_e32 v11, v1
	v_mov_b32_e32 v12, v1
	s_waitcnt vmcnt(1)
	v_mov_b32_e32 v13, v1
	v_mov_b32_e32 v14, v1
	s_waitcnt vmcnt(0)
	v_mov_b32_e32 v15, v1
	v_mov_b32_e32 v16, v1
	s_and_saveexec_b64 s[0:1], vcc
	s_cbranch_execz .LBB101_6
; %bb.5:
	v_mov_b32_e32 v2, s7
	v_add_co_u32_e32 v4, vcc, s5, v21
	v_subrev_u32_e32 v3, s19, v0
	v_addc_co_u32_e32 v2, vcc, 0, v2, vcc
	v_lshlrev_b32_e32 v3, 3, v3
	v_mov_b32_e32 v5, s8
	v_add_co_u32_e32 v6, vcc, s4, v3
	v_addc_co_u32_e32 v3, vcc, 0, v5, vcc
	v_cmp_gt_u32_e32 vcc, s19, v0
	v_cndmask_b32_e32 v3, v3, v2, vcc
	v_cndmask_b32_e32 v2, v6, v4, vcc
	global_load_dwordx2 v[2:3], v[2:3], off
	v_mov_b32_e32 v4, v1
	v_mov_b32_e32 v5, v1
	;; [unrolled: 1-line block ×14, first 2 shown]
	s_waitcnt vmcnt(0)
	v_mov_b32_e32 v1, v2
	v_mov_b32_e32 v2, v3
	v_mov_b32_e32 v3, v4
	v_mov_b32_e32 v4, v5
	v_mov_b32_e32 v5, v6
	v_mov_b32_e32 v6, v7
	v_mov_b32_e32 v7, v8
	v_mov_b32_e32 v8, v9
	v_mov_b32_e32 v9, v10
	v_mov_b32_e32 v10, v11
	v_mov_b32_e32 v11, v12
	v_mov_b32_e32 v12, v13
	v_mov_b32_e32 v13, v14
	v_mov_b32_e32 v14, v15
	v_mov_b32_e32 v15, v16
	v_mov_b32_e32 v16, v17
.LBB101_6:
	s_or_b64 exec, exec, s[0:1]
	v_cmp_gt_u32_e32 vcc, s17, v18
	s_and_saveexec_b64 s[2:3], vcc
	s_cbranch_execz .LBB101_8
; %bb.7:
	v_mov_b32_e32 v19, 0
	v_lshlrev_b64 v[3:4], 3, v[18:19]
	v_mov_b32_e32 v17, s7
	v_add_co_u32_e32 v22, vcc, s5, v3
	v_addc_co_u32_e32 v17, vcc, v17, v4, vcc
	v_subrev_co_u32_e32 v3, vcc, s19, v18
	v_mov_b32_e32 v4, v19
	v_lshlrev_b64 v[3:4], 3, v[3:4]
	v_mov_b32_e32 v19, s8
	v_add_co_u32_e64 v3, s[0:1], s4, v3
	v_addc_co_u32_e64 v4, s[0:1], v19, v4, s[0:1]
	v_cndmask_b32_e32 v4, v4, v17, vcc
	v_cndmask_b32_e32 v3, v3, v22, vcc
	global_load_dwordx2 v[3:4], v[3:4], off
.LBB101_8:
	s_or_b64 exec, exec, s[2:3]
	v_add_u32_e32 v17, v18, v20
	v_cmp_gt_u32_e32 vcc, s17, v17
	s_and_saveexec_b64 s[2:3], vcc
	s_cbranch_execz .LBB101_10
; %bb.9:
	v_mov_b32_e32 v18, 0
	v_lshlrev_b64 v[5:6], 3, v[17:18]
	v_mov_b32_e32 v19, s7
	v_add_co_u32_e32 v22, vcc, s5, v5
	v_addc_co_u32_e32 v19, vcc, v19, v6, vcc
	v_subrev_co_u32_e32 v5, vcc, s19, v17
	v_mov_b32_e32 v6, v18
	v_lshlrev_b64 v[5:6], 3, v[5:6]
	v_mov_b32_e32 v18, s8
	v_add_co_u32_e64 v5, s[0:1], s4, v5
	v_addc_co_u32_e64 v6, s[0:1], v18, v6, s[0:1]
	v_cndmask_b32_e32 v6, v6, v19, vcc
	v_cndmask_b32_e32 v5, v5, v22, vcc
	global_load_dwordx2 v[5:6], v[5:6], off
.LBB101_10:
	s_or_b64 exec, exec, s[2:3]
	v_add_u32_e32 v17, v17, v20
	;; [unrolled: 21-line block ×6, first 2 shown]
	v_cmp_gt_u32_e32 vcc, s17, v17
	s_and_saveexec_b64 s[2:3], vcc
	s_cbranch_execz .LBB101_20
; %bb.19:
	v_mov_b32_e32 v18, 0
	v_lshlrev_b64 v[15:16], 3, v[17:18]
	v_mov_b32_e32 v19, s7
	v_add_co_u32_e32 v20, vcc, s5, v15
	v_addc_co_u32_e32 v19, vcc, v19, v16, vcc
	v_subrev_co_u32_e32 v17, vcc, s19, v17
	v_lshlrev_b64 v[15:16], 3, v[17:18]
	v_mov_b32_e32 v17, s8
	v_add_co_u32_e64 v15, s[0:1], s4, v15
	v_addc_co_u32_e64 v16, s[0:1], v17, v16, s[0:1]
	v_cndmask_b32_e32 v16, v16, v19, vcc
	v_cndmask_b32_e32 v15, v15, v20, vcc
	global_load_dwordx2 v[15:16], v[15:16], off
.LBB101_20:
	s_or_b64 exec, exec, s[2:3]
.LBB101_21:
	v_min_u32_e32 v18, s17, v21
	v_sub_u32_e64 v17, v18, s33 clamp
	v_min_u32_e32 v19, s19, v18
	v_cmp_lt_u32_e32 vcc, v17, v19
	s_waitcnt vmcnt(0)
	ds_write2st64_b64 v21, v[1:2], v[3:4] offset1:2
	ds_write2st64_b64 v21, v[5:6], v[7:8] offset0:4 offset1:6
	ds_write2st64_b64 v21, v[9:10], v[11:12] offset0:8 offset1:10
	;; [unrolled: 1-line block ×3, first 2 shown]
	s_waitcnt lgkmcnt(0)
	s_barrier
	s_and_saveexec_b64 s[0:1], vcc
	s_cbranch_execz .LBB101_25
; %bb.22:
	v_lshlrev_b32_e32 v20, 3, v18
	v_lshl_add_u32 v20, s19, 3, v20
	s_mov_b64 s[2:3], 0
.LBB101_23:                             ; =>This Inner Loop Header: Depth=1
	v_add_u32_e32 v22, v19, v17
	v_lshrrev_b32_e32 v26, 1, v22
	v_not_b32_e32 v22, v26
	v_lshlrev_b32_e32 v23, 3, v26
	v_lshl_add_u32 v24, v22, 3, v20
	ds_read_b64 v[22:23], v23
	ds_read_b64 v[24:25], v24
	v_add_u32_e32 v27, 1, v26
	s_waitcnt lgkmcnt(0)
	v_cmp_gt_i64_e32 vcc, v[24:25], v[22:23]
	v_cndmask_b32_e32 v19, v19, v26, vcc
	v_cndmask_b32_e32 v17, v27, v17, vcc
	v_cmp_ge_u32_e32 vcc, v17, v19
	s_or_b64 s[2:3], vcc, s[2:3]
	s_andn2_b64 exec, exec, s[2:3]
	s_cbranch_execnz .LBB101_23
; %bb.24:
	s_or_b64 exec, exec, s[2:3]
.LBB101_25:
	s_or_b64 exec, exec, s[0:1]
	v_sub_u32_e32 v18, v18, v17
	v_add_u32_e32 v18, s19, v18
	v_cmp_ge_u32_e32 vcc, s19, v17
	v_cmp_ge_u32_e64 s[0:1], s17, v18
	s_or_b64 s[0:1], vcc, s[0:1]
	v_mov_b32_e32 v22, 0
	v_mov_b32_e32 v23, 0
	;; [unrolled: 1-line block ×8, first 2 shown]
	s_and_saveexec_b64 s[30:31], s[0:1]
	s_cbranch_execz .LBB101_31
; %bb.26:
	v_cmp_gt_u32_e32 vcc, s19, v17
                                        ; implicit-def: $vgpr1_vgpr2
	s_and_saveexec_b64 s[0:1], vcc
; %bb.27:
	v_lshlrev_b32_e32 v1, 3, v17
	ds_read_b64 v[1:2], v1
; %bb.28:
	s_or_b64 exec, exec, s[0:1]
	v_cmp_le_u32_e64 s[0:1], s17, v18
	v_cmp_gt_u32_e64 s[2:3], s17, v18
                                        ; implicit-def: $vgpr3_vgpr4
	s_and_saveexec_b64 s[4:5], s[2:3]
; %bb.29:
	v_lshlrev_b32_e32 v3, 3, v18
	ds_read_b64 v[3:4], v3
; %bb.30:
	s_or_b64 exec, exec, s[4:5]
	s_waitcnt lgkmcnt(0)
	v_cmp_le_i64_e64 s[2:3], v[3:4], v[1:2]
	v_mov_b32_e32 v26, s17
	s_and_b64 s[2:3], vcc, s[2:3]
	s_or_b64 vcc, s[0:1], s[2:3]
	v_mov_b32_e32 v34, s19
	v_cndmask_b32_e32 v22, v18, v17, vcc
	v_cndmask_b32_e32 v5, v26, v34, vcc
	v_add_u32_e32 v9, 1, v22
	v_add_u32_e32 v5, -1, v5
	v_min_u32_e32 v5, v9, v5
	v_lshlrev_b32_e32 v5, 3, v5
	ds_read_b64 v[5:6], v5
	v_cndmask_b32_e32 v14, v17, v9, vcc
	v_cndmask_b32_e32 v13, v9, v18, vcc
	v_cmp_gt_u32_e64 s[4:5], s19, v14
	v_cmp_le_u32_e64 s[0:1], s17, v13
	s_waitcnt lgkmcnt(0)
	v_cndmask_b32_e32 v8, v6, v4, vcc
	v_cndmask_b32_e32 v7, v5, v3, vcc
	;; [unrolled: 1-line block ×4, first 2 shown]
	v_cmp_le_i64_e64 s[2:3], v[7:8], v[5:6]
	v_cndmask_b32_e32 v2, v4, v2, vcc
	s_and_b64 s[2:3], s[4:5], s[2:3]
	s_or_b64 s[0:1], s[0:1], s[2:3]
	v_cndmask_b32_e64 v23, v13, v14, s[0:1]
	v_cndmask_b32_e64 v9, v26, v34, s[0:1]
	v_add_u32_e32 v15, 1, v23
	v_add_u32_e32 v9, -1, v9
	v_min_u32_e32 v9, v15, v9
	v_lshlrev_b32_e32 v9, 3, v9
	ds_read_b64 v[9:10], v9
	v_cndmask_b32_e64 v18, v14, v15, s[0:1]
	v_cndmask_b32_e64 v17, v15, v13, s[0:1]
	v_cmp_gt_u32_e64 s[6:7], s19, v18
	v_cmp_le_u32_e64 s[2:3], s17, v17
	s_waitcnt lgkmcnt(0)
	v_cndmask_b32_e64 v12, v10, v8, s[0:1]
	v_cndmask_b32_e64 v11, v9, v7, s[0:1]
	;; [unrolled: 1-line block ×4, first 2 shown]
	v_cmp_le_i64_e64 s[4:5], v[11:12], v[9:10]
	v_cndmask_b32_e32 v1, v3, v1, vcc
	s_and_b64 s[4:5], s[6:7], s[4:5]
	s_or_b64 s[2:3], s[2:3], s[4:5]
	v_cndmask_b32_e64 v24, v17, v18, s[2:3]
	v_cndmask_b32_e64 v13, v26, v34, s[2:3]
	v_add_u32_e32 v19, 1, v24
	v_add_u32_e32 v13, -1, v13
	v_min_u32_e32 v13, v19, v13
	v_lshlrev_b32_e32 v13, 3, v13
	ds_read_b64 v[13:14], v13
	v_cndmask_b32_e64 v28, v18, v19, s[2:3]
	v_cndmask_b32_e64 v27, v19, v17, s[2:3]
	v_cmp_gt_u32_e64 s[8:9], s19, v28
	v_cmp_le_u32_e64 s[4:5], s17, v27
	s_waitcnt lgkmcnt(0)
	v_cndmask_b32_e64 v16, v14, v12, s[2:3]
	v_cndmask_b32_e64 v15, v13, v11, s[2:3]
	;; [unrolled: 1-line block ×4, first 2 shown]
	v_cmp_le_i64_e64 s[6:7], v[15:16], v[13:14]
	v_cndmask_b32_e64 v4, v8, v6, s[0:1]
	s_and_b64 s[6:7], s[8:9], s[6:7]
	s_or_b64 s[4:5], s[4:5], s[6:7]
	v_cndmask_b32_e64 v25, v27, v28, s[4:5]
	v_cndmask_b32_e64 v17, v26, v34, s[4:5]
	v_add_u32_e32 v29, 1, v25
	v_add_u32_e32 v17, -1, v17
	v_min_u32_e32 v17, v29, v17
	v_lshlrev_b32_e32 v17, 3, v17
	ds_read_b64 v[17:18], v17
	v_cndmask_b32_e64 v33, v28, v29, s[4:5]
	v_cndmask_b32_e64 v32, v29, v27, s[4:5]
	v_cmp_gt_u32_e64 s[8:9], s19, v33
	v_cmp_le_u32_e32 vcc, s17, v32
	s_waitcnt lgkmcnt(0)
	v_cndmask_b32_e64 v20, v18, v16, s[4:5]
	v_cndmask_b32_e64 v19, v17, v15, s[4:5]
	;; [unrolled: 1-line block ×4, first 2 shown]
	v_cmp_le_i64_e64 s[6:7], v[19:20], v[17:18]
	v_cndmask_b32_e64 v6, v12, v10, s[2:3]
	s_and_b64 s[6:7], s[8:9], s[6:7]
	s_or_b64 vcc, vcc, s[6:7]
	v_cndmask_b32_e32 v27, v32, v33, vcc
	v_cndmask_b32_e32 v3, v26, v34, vcc
	v_add_u32_e32 v35, 1, v27
	v_add_u32_e32 v3, -1, v3
	v_min_u32_e32 v3, v35, v3
	v_lshlrev_b32_e32 v3, 3, v3
	ds_read_b64 v[28:29], v3
	v_cndmask_b32_e64 v3, v7, v5, s[0:1]
	v_cndmask_b32_e64 v5, v11, v9, s[2:3]
	;; [unrolled: 1-line block ×3, first 2 shown]
	v_cndmask_b32_e32 v10, v20, v18, vcc
	s_waitcnt lgkmcnt(0)
	v_cndmask_b32_e32 v12, v29, v20, vcc
	v_cndmask_b32_e32 v11, v28, v19, vcc
	;; [unrolled: 1-line block ×6, first 2 shown]
	v_cmp_le_i64_e64 s[2:3], v[11:12], v[30:31]
	v_cmp_gt_u32_e64 s[6:7], s19, v35
	v_cmp_le_u32_e64 s[0:1], s17, v29
	s_and_b64 s[2:3], s[6:7], s[2:3]
	s_or_b64 s[0:1], s[0:1], s[2:3]
	v_cndmask_b32_e64 v28, v29, v35, s[0:1]
	v_cndmask_b32_e64 v7, v26, v34, s[0:1]
	v_add_u32_e32 v36, 1, v28
	v_add_u32_e32 v7, -1, v7
	v_min_u32_e32 v7, v36, v7
	v_lshlrev_b32_e32 v7, 3, v7
	ds_read_b64 v[32:33], v7
	v_cndmask_b32_e64 v7, v15, v13, s[4:5]
	v_cndmask_b32_e32 v9, v19, v17, vcc
	s_waitcnt lgkmcnt(0)
	v_cndmask_b32_e64 v16, v33, v12, s[0:1]
	v_cndmask_b32_e64 v15, v32, v11, s[0:1]
	v_cndmask_b32_e64 v18, v31, v33, s[0:1]
	v_cndmask_b32_e64 v17, v30, v32, s[0:1]
	v_cndmask_b32_e64 v33, v35, v36, s[0:1]
	v_cmp_le_i64_e64 s[2:3], v[15:16], v[17:18]
	v_cndmask_b32_e64 v32, v36, v29, s[0:1]
	v_cmp_gt_u32_e64 s[4:5], s19, v33
	v_cmp_le_u32_e32 vcc, s17, v32
	s_and_b64 s[2:3], s[4:5], s[2:3]
	s_or_b64 vcc, vcc, s[2:3]
	v_cndmask_b32_e32 v29, v32, v33, vcc
	v_cndmask_b32_e32 v13, v26, v34, vcc
	v_add_u32_e32 v26, 1, v29
	v_add_u32_e32 v13, -1, v13
	v_min_u32_e32 v13, v26, v13
	v_lshlrev_b32_e32 v13, 3, v13
	ds_read_b64 v[19:20], v13
	v_cndmask_b32_e32 v14, v16, v18, vcc
	v_cndmask_b32_e32 v13, v15, v17, vcc
	v_cndmask_b32_e64 v12, v12, v31, s[0:1]
	v_cndmask_b32_e64 v11, v11, v30, s[0:1]
	s_waitcnt lgkmcnt(0)
	v_cndmask_b32_e32 v16, v20, v16, vcc
	v_cndmask_b32_e32 v15, v19, v15, vcc
	;; [unrolled: 1-line block ×5, first 2 shown]
	v_cmp_le_i64_e64 s[0:1], v[15:16], v[17:18]
	v_cndmask_b32_e32 v19, v26, v32, vcc
	v_cmp_gt_u32_e64 s[2:3], s19, v20
	v_cmp_le_u32_e32 vcc, s17, v19
	s_and_b64 s[0:1], s[2:3], s[0:1]
	s_or_b64 vcc, vcc, s[0:1]
	v_cndmask_b32_e32 v26, v19, v20, vcc
	v_cndmask_b32_e32 v16, v16, v18, vcc
	;; [unrolled: 1-line block ×3, first 2 shown]
.LBB101_31:
	s_or_b64 exec, exec, s[30:31]
	s_add_u32 s8, s12, s26
	s_addc_u32 s9, s13, s27
	s_add_u32 s6, s12, s28
	v_cndmask_b32_e64 v17, 0, 1, s[20:21]
	s_addc_u32 s7, s13, s29
	v_cmp_gt_u32_e64 s[4:5], s19, v0
	v_cmp_ne_u32_e64 s[0:1], 1, v17
	s_andn2_b64 vcc, exec, s[20:21]
	v_cmp_le_u32_e64 s[2:3], s19, v0
	s_barrier
	s_cbranch_vccnz .LBB101_33
; %bb.32:
	v_subrev_u32_e32 v17, s19, v0
	v_lshlrev_b32_e32 v17, 3, v17
	v_mov_b32_e32 v18, s7
	v_add_co_u32_e32 v17, vcc, s6, v17
	v_addc_co_u32_e32 v18, vcc, 0, v18, vcc
	v_mov_b32_e32 v19, s9
	v_add_co_u32_e32 v20, vcc, s8, v21
	v_addc_co_u32_e32 v19, vcc, 0, v19, vcc
	v_cndmask_b32_e64 v18, v18, v19, s[4:5]
	v_or_b32_e32 v19, 0x80, v0
	v_cndmask_b32_e64 v17, v17, v20, s[4:5]
	v_subrev_u32_e32 v20, s19, v19
	v_min_u32_e32 v20, v19, v20
	v_cmp_gt_u32_e32 vcc, s19, v19
	v_mov_b32_e32 v42, s6
	v_mov_b32_e32 v43, s8
	;; [unrolled: 1-line block ×4, first 2 shown]
	v_cndmask_b32_e32 v19, v42, v43, vcc
	v_lshlrev_b32_e32 v20, 3, v20
	v_cndmask_b32_e32 v30, v40, v41, vcc
	v_add_co_u32_e32 v19, vcc, v19, v20
	v_addc_co_u32_e32 v20, vcc, 0, v30, vcc
	v_or_b32_e32 v30, 0x100, v0
	v_subrev_u32_e32 v31, s19, v30
	v_min_u32_e32 v31, v30, v31
	v_cmp_gt_u32_e32 vcc, s19, v30
	v_cndmask_b32_e32 v30, v42, v43, vcc
	v_lshlrev_b32_e32 v31, 3, v31
	v_cndmask_b32_e32 v32, v40, v41, vcc
	v_add_co_u32_e32 v30, vcc, v30, v31
	v_addc_co_u32_e32 v31, vcc, 0, v32, vcc
	v_or_b32_e32 v32, 0x180, v0
	v_subrev_u32_e32 v33, s19, v32
	v_min_u32_e32 v33, v32, v33
	v_cmp_gt_u32_e32 vcc, s19, v32
	;; [unrolled: 9-line block ×5, first 2 shown]
	global_load_dwordx2 v[17:18], v[17:18], off
	v_cndmask_b32_e32 v38, v42, v43, vcc
	global_load_dwordx2 v[19:20], v[19:20], off
	v_lshlrev_b32_e32 v39, 3, v39
	global_load_dwordx2 v[30:31], v[30:31], off
	v_cndmask_b32_e32 v44, v40, v41, vcc
	global_load_dwordx2 v[32:33], v[32:33], off
	v_add_co_u32_e32 v38, vcc, v38, v39
	global_load_dwordx2 v[34:35], v[34:35], off
	v_addc_co_u32_e32 v39, vcc, 0, v44, vcc
	global_load_dwordx2 v[36:37], v[36:37], off
	s_nop 0
	global_load_dwordx2 v[38:39], v[38:39], off
	s_mov_b64 s[4:5], -1
	s_waitcnt vmcnt(5)
	ds_write2st64_b64 v21, v[17:18], v[19:20] offset1:2
	s_waitcnt vmcnt(3)
	ds_write2st64_b64 v21, v[30:31], v[32:33] offset0:4 offset1:6
	s_waitcnt vmcnt(1)
	ds_write2st64_b64 v21, v[34:35], v[36:37] offset0:8 offset1:10
	s_waitcnt vmcnt(0)
	ds_write_b64 v21, v[38:39] offset:6144
	v_or_b32_e32 v30, 0x380, v0
	v_subrev_u32_e32 v17, s19, v30
	v_cmp_gt_u32_e32 vcc, s19, v30
	v_min_u32_e32 v19, v30, v17
	v_cndmask_b32_e32 v18, v40, v41, vcc
	v_cndmask_b32_e32 v17, v42, v43, vcc
	s_cbranch_execz .LBB101_34
	s_branch .LBB101_65
.LBB101_33:
	s_mov_b64 s[4:5], 0
                                        ; implicit-def: $vgpr30
                                        ; implicit-def: $vgpr17_vgpr18
                                        ; implicit-def: $vgpr19
.LBB101_34:
	s_mov_b64 s[4:5], 0
                                        ; implicit-def: $vgpr17_vgpr18
	s_and_saveexec_b64 s[26:27], s[2:3]
	s_xor_b64 s[2:3], exec, s[26:27]
	s_cbranch_execnz .LBB101_104
; %bb.35:
	s_andn2_saveexec_b64 s[2:3], s[2:3]
	s_cbranch_execnz .LBB101_107
.LBB101_36:
	s_or_b64 exec, exec, s[2:3]
	s_and_saveexec_b64 s[2:3], s[4:5]
	s_cbranch_execz .LBB101_38
.LBB101_37:
	global_load_dwordx2 v[17:18], v[17:18], off
	s_waitcnt vmcnt(0)
	ds_write_b64 v21, v[17:18]
.LBB101_38:
	s_or_b64 exec, exec, s[2:3]
	v_or_b32_e32 v19, 0x80, v0
	v_mov_b32_e32 v17, s22
	v_cmp_le_u32_e32 vcc, s19, v19
	s_mov_b64 s[2:3], -1
	v_mov_b32_e32 v18, s23
	s_and_saveexec_b64 s[4:5], vcc
; %bb.39:
	v_subrev_u32_e32 v19, s19, v19
	v_cmp_gt_u32_e32 vcc, s33, v19
	v_mov_b32_e32 v17, s24
	v_mov_b32_e32 v18, s25
	s_orn2_b64 s[2:3], vcc, exec
; %bb.40:
	s_or_b64 exec, exec, s[4:5]
	s_and_saveexec_b64 s[4:5], s[2:3]
	s_cbranch_execz .LBB101_42
; %bb.41:
	v_lshlrev_b64 v[17:18], 3, v[17:18]
	v_mov_b32_e32 v20, s13
	v_add_co_u32_e32 v17, vcc, s12, v17
	v_addc_co_u32_e32 v18, vcc, v20, v18, vcc
	v_lshlrev_b32_e32 v19, 3, v19
	v_add_co_u32_e32 v17, vcc, v17, v19
	v_addc_co_u32_e32 v18, vcc, 0, v18, vcc
	global_load_dwordx2 v[17:18], v[17:18], off
	s_waitcnt vmcnt(0)
	ds_write_b64 v21, v[17:18] offset:1024
.LBB101_42:
	s_or_b64 exec, exec, s[4:5]
	v_or_b32_e32 v19, 0x100, v0
	v_mov_b32_e32 v17, s22
	v_cmp_le_u32_e32 vcc, s19, v19
	s_mov_b64 s[2:3], -1
	v_mov_b32_e32 v18, s23
	s_and_saveexec_b64 s[4:5], vcc
; %bb.43:
	v_subrev_u32_e32 v19, s19, v19
	v_cmp_gt_u32_e32 vcc, s33, v19
	v_mov_b32_e32 v17, s24
	v_mov_b32_e32 v18, s25
	s_orn2_b64 s[2:3], vcc, exec
; %bb.44:
	s_or_b64 exec, exec, s[4:5]
	s_and_saveexec_b64 s[4:5], s[2:3]
	s_cbranch_execz .LBB101_46
; %bb.45:
	v_lshlrev_b64 v[17:18], 3, v[17:18]
	v_mov_b32_e32 v20, s13
	v_add_co_u32_e32 v17, vcc, s12, v17
	v_addc_co_u32_e32 v18, vcc, v20, v18, vcc
	v_lshlrev_b32_e32 v19, 3, v19
	v_add_co_u32_e32 v17, vcc, v17, v19
	v_addc_co_u32_e32 v18, vcc, 0, v18, vcc
	global_load_dwordx2 v[17:18], v[17:18], off
	s_waitcnt vmcnt(0)
	ds_write_b64 v21, v[17:18] offset:2048
.LBB101_46:
	;; [unrolled: 29-line block ×6, first 2 shown]
	s_or_b64 exec, exec, s[4:5]
	v_or_b32_e32 v30, 0x380, v0
	v_mov_b32_e32 v18, s9
	v_cmp_le_u32_e32 vcc, s19, v30
	s_mov_b64 s[4:5], -1
	v_mov_b32_e32 v17, s8
	v_mov_b32_e32 v19, v30
	s_and_saveexec_b64 s[2:3], vcc
; %bb.63:
	v_subrev_u32_e32 v19, s19, v30
	v_cmp_gt_u32_e32 vcc, s33, v19
	v_mov_b32_e32 v18, s7
	v_mov_b32_e32 v17, s6
	s_orn2_b64 s[4:5], vcc, exec
; %bb.64:
	s_or_b64 exec, exec, s[2:3]
.LBB101_65:
	s_and_saveexec_b64 s[2:3], s[4:5]
	s_cbranch_execz .LBB101_67
; %bb.66:
	v_mov_b32_e32 v20, 0
	v_lshlrev_b64 v[19:20], 3, v[19:20]
	v_add_co_u32_e32 v17, vcc, v17, v19
	v_addc_co_u32_e32 v18, vcc, v18, v20, vcc
	global_load_dwordx2 v[17:18], v[17:18], off
	v_lshlrev_b32_e32 v19, 3, v30
	s_waitcnt vmcnt(0)
	ds_write_b64 v19, v[17:18]
.LBB101_67:
	s_or_b64 exec, exec, s[2:3]
	s_and_b64 vcc, exec, s[0:1]
	v_add_u32_e32 v17, s18, v21
	s_waitcnt lgkmcnt(0)
	s_barrier
	s_cbranch_vccnz .LBB101_69
; %bb.68:
	v_lshlrev_b32_e32 v30, 3, v22
	v_lshlrev_b32_e32 v32, 3, v23
	;; [unrolled: 1-line block ×7, first 2 shown]
	v_mov_b32_e32 v18, 0
	ds_read_b64 v[30:31], v30
	ds_read_b64 v[32:33], v32
	;; [unrolled: 1-line block ×7, first 2 shown]
	v_lshlrev_b64 v[19:20], 3, v[17:18]
	v_mov_b32_e32 v44, s15
	v_add_co_u32_e32 v19, vcc, s14, v19
	v_addc_co_u32_e32 v20, vcc, v44, v20, vcc
	s_mov_b64 s[0:1], -1
	s_waitcnt lgkmcnt(5)
	global_store_dwordx4 v[19:20], v[30:33], off
	s_waitcnt lgkmcnt(3)
	global_store_dwordx4 v[19:20], v[34:37], off offset:16
	s_waitcnt lgkmcnt(1)
	global_store_dwordx4 v[19:20], v[38:41], off offset:32
	s_waitcnt lgkmcnt(0)
	global_store_dwordx2 v[19:20], v[42:43], off offset:48
	s_cbranch_execz .LBB101_70
	s_branch .LBB101_87
.LBB101_69:
	s_mov_b64 s[0:1], 0
.LBB101_70:
	v_cmp_gt_u32_e32 vcc, s17, v21
	s_and_saveexec_b64 s[2:3], vcc
	s_cbranch_execz .LBB101_72
; %bb.71:
	v_lshlrev_b32_e32 v22, 3, v22
	v_mov_b32_e32 v18, 0
	ds_read_b64 v[30:31], v22
	v_lshlrev_b64 v[18:19], 3, v[17:18]
	v_mov_b32_e32 v20, s15
	v_add_co_u32_e32 v18, vcc, s14, v18
	v_addc_co_u32_e32 v19, vcc, v20, v19, vcc
	s_waitcnt lgkmcnt(0)
	global_store_dwordx2 v[18:19], v[30:31], off
.LBB101_72:
	s_or_b64 exec, exec, s[2:3]
	v_or_b32_e32 v18, 1, v21
	v_cmp_gt_u32_e32 vcc, s17, v18
	s_and_saveexec_b64 s[2:3], vcc
	s_cbranch_execz .LBB101_74
; %bb.73:
	v_lshlrev_b32_e32 v22, 3, v23
	v_mov_b32_e32 v18, 0
	ds_read_b64 v[22:23], v22
	v_lshlrev_b64 v[18:19], 3, v[17:18]
	v_mov_b32_e32 v20, s15
	v_add_co_u32_e32 v18, vcc, s14, v18
	v_addc_co_u32_e32 v19, vcc, v20, v19, vcc
	s_waitcnt lgkmcnt(0)
	global_store_dwordx2 v[18:19], v[22:23], off offset:8
.LBB101_74:
	s_or_b64 exec, exec, s[2:3]
	v_or_b32_e32 v18, 2, v21
	v_cmp_gt_u32_e32 vcc, s17, v18
	s_and_saveexec_b64 s[2:3], vcc
	s_cbranch_execz .LBB101_76
; %bb.75:
	v_lshlrev_b32_e32 v22, 3, v24
	v_mov_b32_e32 v18, 0
	ds_read_b64 v[22:23], v22
	v_lshlrev_b64 v[18:19], 3, v[17:18]
	v_mov_b32_e32 v20, s15
	v_add_co_u32_e32 v18, vcc, s14, v18
	v_addc_co_u32_e32 v19, vcc, v20, v19, vcc
	s_waitcnt lgkmcnt(0)
	global_store_dwordx2 v[18:19], v[22:23], off offset:16
.LBB101_76:
	;; [unrolled: 16-line block ×6, first 2 shown]
	s_or_b64 exec, exec, s[2:3]
	v_or_b32_e32 v18, 7, v21
	v_cmp_gt_u32_e32 vcc, s17, v18
	s_and_saveexec_b64 s[2:3], vcc
; %bb.85:
	v_mov_b32_e32 v18, 0
	s_or_b64 s[0:1], s[0:1], exec
; %bb.86:
	s_or_b64 exec, exec, s[2:3]
.LBB101_87:
	s_and_saveexec_b64 s[2:3], s[0:1]
	s_cbranch_execz .LBB101_89
; %bb.88:
	v_lshlrev_b32_e32 v19, 3, v26
	ds_read_b64 v[19:20], v19
	v_lshlrev_b64 v[17:18], 3, v[17:18]
	v_mov_b32_e32 v22, s15
	v_add_co_u32_e32 v17, vcc, s14, v17
	v_addc_co_u32_e32 v18, vcc, v22, v18, vcc
	s_waitcnt lgkmcnt(0)
	global_store_dwordx2 v[17:18], v[19:20], off offset:56
.LBB101_89:
	s_or_b64 exec, exec, s[2:3]
	v_lshrrev_b32_e32 v17, 2, v0
	v_lshlrev_b32_e32 v18, 3, v21
	v_lshl_add_u32 v18, v17, 3, v18
	s_waitcnt vmcnt(0)
	s_barrier
	s_barrier
	ds_write2_b64 v18, v[1:2], v[3:4] offset1:1
	ds_write2_b64 v18, v[5:6], v[7:8] offset0:2 offset1:3
	ds_write2_b64 v18, v[9:10], v[11:12] offset0:4 offset1:5
	;; [unrolled: 1-line block ×3, first 2 shown]
	v_and_b32_e32 v1, 24, v17
	v_or_b32_e32 v24, 0x80, v0
	v_add_u32_e32 v25, v1, v21
	v_lshrrev_b32_e32 v1, 2, v24
	v_and_b32_e32 v1, 56, v1
	v_or_b32_e32 v23, 0x100, v0
	v_add_u32_e32 v5, v1, v21
	v_lshrrev_b32_e32 v1, 2, v23
	;; [unrolled: 4-line block ×5, first 2 shown]
	v_and_b32_e32 v1, 0xb8, v1
	v_or_b32_e32 v18, 0x300, v0
	s_mov_b32 s19, 0
	v_add_u32_e32 v26, v1, v21
	v_lshrrev_b32_e32 v1, 2, v18
	s_lshl_b64 s[0:1], s[18:19], 3
	v_and_b32_e32 v1, 0xd8, v1
	v_or_b32_e32 v17, 0x380, v0
	s_add_u32 s0, s10, s0
	v_add_u32_e32 v27, v1, v21
	v_lshrrev_b32_e32 v1, 2, v17
	s_addc_u32 s1, s11, s1
	v_and_b32_e32 v1, 0xf8, v1
	v_add_u32_e32 v28, v1, v21
	v_mov_b32_e32 v2, s1
	v_add_co_u32_e32 v1, vcc, s0, v21
	v_addc_co_u32_e32 v2, vcc, 0, v2, vcc
	s_and_b64 vcc, exec, s[20:21]
	s_waitcnt lgkmcnt(0)
	s_cbranch_vccz .LBB101_91
; %bb.90:
	s_barrier
	ds_read_b64 v[9:10], v25
	ds_read_b64 v[11:12], v5 offset:1024
	ds_read_b64 v[13:14], v6 offset:2048
	;; [unrolled: 1-line block ×7, first 2 shown]
	s_waitcnt lgkmcnt(7)
	global_store_dwordx2 v[1:2], v[9:10], off
	s_waitcnt lgkmcnt(6)
	global_store_dwordx2 v[1:2], v[11:12], off offset:1024
	s_waitcnt lgkmcnt(5)
	global_store_dwordx2 v[1:2], v[13:14], off offset:2048
	;; [unrolled: 2-line block ×3, first 2 shown]
	v_add_co_u32_e32 v9, vcc, 0x1000, v1
	v_addc_co_u32_e32 v10, vcc, 0, v2, vcc
	s_waitcnt lgkmcnt(3)
	global_store_dwordx2 v[9:10], v[29:30], off
	s_waitcnt lgkmcnt(2)
	global_store_dwordx2 v[9:10], v[31:32], off offset:1024
	s_waitcnt lgkmcnt(1)
	global_store_dwordx2 v[9:10], v[33:34], off offset:2048
	s_mov_b64 s[0:1], -1
	s_cbranch_execz .LBB101_92
	s_branch .LBB101_101
.LBB101_91:
	s_mov_b64 s[0:1], 0
                                        ; implicit-def: $vgpr3_vgpr4
.LBB101_92:
	s_waitcnt vmcnt(0) lgkmcnt(0)
	s_barrier
	ds_read_b64 v[15:16], v5 offset:1024
	ds_read_b64 v[13:14], v6 offset:2048
	;; [unrolled: 1-line block ×7, first 2 shown]
	s_sub_i32 s2, s16, s18
	v_cmp_gt_u32_e32 vcc, s2, v0
	s_and_saveexec_b64 s[0:1], vcc
	s_cbranch_execnz .LBB101_108
; %bb.93:
	s_or_b64 exec, exec, s[0:1]
	v_cmp_gt_u32_e32 vcc, s2, v24
	s_and_saveexec_b64 s[0:1], vcc
	s_cbranch_execnz .LBB101_109
.LBB101_94:
	s_or_b64 exec, exec, s[0:1]
	v_cmp_gt_u32_e32 vcc, s2, v23
	s_and_saveexec_b64 s[0:1], vcc
	s_cbranch_execnz .LBB101_110
.LBB101_95:
	s_or_b64 exec, exec, s[0:1]
	v_cmp_gt_u32_e32 vcc, s2, v22
	s_and_saveexec_b64 s[0:1], vcc
	s_cbranch_execnz .LBB101_111
.LBB101_96:
	s_or_b64 exec, exec, s[0:1]
	v_cmp_gt_u32_e32 vcc, s2, v20
	s_and_saveexec_b64 s[0:1], vcc
	s_cbranch_execnz .LBB101_112
.LBB101_97:
	s_or_b64 exec, exec, s[0:1]
	v_cmp_gt_u32_e32 vcc, s2, v19
	s_and_saveexec_b64 s[0:1], vcc
	s_cbranch_execnz .LBB101_113
.LBB101_98:
	s_or_b64 exec, exec, s[0:1]
	v_cmp_gt_u32_e32 vcc, s2, v18
	s_and_saveexec_b64 s[0:1], vcc
	s_cbranch_execz .LBB101_100
.LBB101_99:
	s_waitcnt lgkmcnt(2)
	v_add_co_u32_e32 v7, vcc, 0x1000, v1
	v_addc_co_u32_e32 v8, vcc, 0, v2, vcc
	s_waitcnt lgkmcnt(1)
	global_store_dwordx2 v[7:8], v[5:6], off offset:2048
.LBB101_100:
	s_or_b64 exec, exec, s[0:1]
	v_cmp_gt_u32_e64 s[0:1], s2, v17
.LBB101_101:
	s_and_saveexec_b64 s[2:3], s[0:1]
	s_cbranch_execz .LBB101_103
; %bb.102:
	v_add_co_u32_e32 v0, vcc, 0x1000, v1
	v_addc_co_u32_e32 v1, vcc, 0, v2, vcc
	s_waitcnt lgkmcnt(0)
	global_store_dwordx2 v[0:1], v[3:4], off offset:3072
.LBB101_103:
	s_endpgm
.LBB101_104:
	v_subrev_u32_e32 v19, s19, v0
	v_cmp_gt_u32_e32 vcc, s33, v19
                                        ; implicit-def: $vgpr17_vgpr18
	s_and_saveexec_b64 s[26:27], vcc
	s_xor_b64 s[26:27], exec, s[26:27]
; %bb.105:
	v_lshlrev_b32_e32 v17, 3, v19
	v_mov_b32_e32 v18, s7
	v_add_co_u32_e32 v17, vcc, s6, v17
	s_mov_b64 s[4:5], exec
	v_addc_co_u32_e32 v18, vcc, 0, v18, vcc
; %bb.106:
	s_or_b64 exec, exec, s[26:27]
	s_and_b64 s[4:5], s[4:5], exec
	s_andn2_saveexec_b64 s[2:3], s[2:3]
	s_cbranch_execz .LBB101_36
.LBB101_107:
	v_mov_b32_e32 v18, s9
	v_add_co_u32_e32 v17, vcc, s8, v21
	v_addc_co_u32_e32 v18, vcc, 0, v18, vcc
	s_or_b64 s[4:5], s[4:5], exec
	s_or_b64 exec, exec, s[2:3]
	s_and_saveexec_b64 s[2:3], s[4:5]
	s_cbranch_execnz .LBB101_37
	s_branch .LBB101_38
.LBB101_108:
	ds_read_b64 v[25:26], v25
	s_waitcnt lgkmcnt(0)
	global_store_dwordx2 v[1:2], v[25:26], off
	s_or_b64 exec, exec, s[0:1]
	v_cmp_gt_u32_e32 vcc, s2, v24
	s_and_saveexec_b64 s[0:1], vcc
	s_cbranch_execz .LBB101_94
.LBB101_109:
	s_waitcnt lgkmcnt(6)
	global_store_dwordx2 v[1:2], v[15:16], off offset:1024
	s_or_b64 exec, exec, s[0:1]
	v_cmp_gt_u32_e32 vcc, s2, v23
	s_and_saveexec_b64 s[0:1], vcc
	s_cbranch_execz .LBB101_95
.LBB101_110:
	s_waitcnt lgkmcnt(5)
	global_store_dwordx2 v[1:2], v[13:14], off offset:2048
	s_or_b64 exec, exec, s[0:1]
	v_cmp_gt_u32_e32 vcc, s2, v22
	s_and_saveexec_b64 s[0:1], vcc
	s_cbranch_execz .LBB101_96
.LBB101_111:
	s_waitcnt lgkmcnt(4)
	global_store_dwordx2 v[1:2], v[11:12], off offset:3072
	s_or_b64 exec, exec, s[0:1]
	v_cmp_gt_u32_e32 vcc, s2, v20
	s_and_saveexec_b64 s[0:1], vcc
	s_cbranch_execz .LBB101_97
.LBB101_112:
	s_waitcnt lgkmcnt(4)
	v_add_co_u32_e32 v11, vcc, 0x1000, v1
	v_addc_co_u32_e32 v12, vcc, 0, v2, vcc
	s_waitcnt lgkmcnt(3)
	global_store_dwordx2 v[11:12], v[9:10], off
	s_or_b64 exec, exec, s[0:1]
	v_cmp_gt_u32_e32 vcc, s2, v19
	s_and_saveexec_b64 s[0:1], vcc
	s_cbranch_execz .LBB101_98
.LBB101_113:
	s_waitcnt lgkmcnt(3)
	v_add_co_u32_e32 v9, vcc, 0x1000, v1
	v_addc_co_u32_e32 v10, vcc, 0, v2, vcc
	s_waitcnt lgkmcnt(2)
	global_store_dwordx2 v[9:10], v[7:8], off offset:1024
	s_or_b64 exec, exec, s[0:1]
	v_cmp_gt_u32_e32 vcc, s2, v18
	s_and_saveexec_b64 s[0:1], vcc
	s_cbranch_execnz .LBB101_99
	s_branch .LBB101_100
	.section	.rodata,"a",@progbits
	.p2align	6, 0x0
	.amdhsa_kernel _ZN7rocprim17ROCPRIM_304000_NS6detail35device_block_merge_mergepath_kernelINS1_37wrapped_merge_sort_block_merge_configINS0_14default_configElN2at4cuda3cub6detail10OpaqueTypeILi8EEEEEPlSC_PSA_SD_jNS1_19radix_merge_compareILb1ELb0ElNS0_19identity_decomposerEEEEEvT0_T1_T2_T3_T4_SL_jT5_PKSL_NS1_7vsmem_tE
		.amdhsa_group_segment_fixed_size 8448
		.amdhsa_private_segment_fixed_size 0
		.amdhsa_kernarg_size 320
		.amdhsa_user_sgpr_count 6
		.amdhsa_user_sgpr_private_segment_buffer 1
		.amdhsa_user_sgpr_dispatch_ptr 0
		.amdhsa_user_sgpr_queue_ptr 0
		.amdhsa_user_sgpr_kernarg_segment_ptr 1
		.amdhsa_user_sgpr_dispatch_id 0
		.amdhsa_user_sgpr_flat_scratch_init 0
		.amdhsa_user_sgpr_private_segment_size 0
		.amdhsa_uses_dynamic_stack 0
		.amdhsa_system_sgpr_private_segment_wavefront_offset 0
		.amdhsa_system_sgpr_workgroup_id_x 1
		.amdhsa_system_sgpr_workgroup_id_y 1
		.amdhsa_system_sgpr_workgroup_id_z 1
		.amdhsa_system_sgpr_workgroup_info 0
		.amdhsa_system_vgpr_workitem_id 0
		.amdhsa_next_free_vgpr 49
		.amdhsa_next_free_sgpr 98
		.amdhsa_reserve_vcc 1
		.amdhsa_reserve_flat_scratch 0
		.amdhsa_float_round_mode_32 0
		.amdhsa_float_round_mode_16_64 0
		.amdhsa_float_denorm_mode_32 3
		.amdhsa_float_denorm_mode_16_64 3
		.amdhsa_dx10_clamp 1
		.amdhsa_ieee_mode 1
		.amdhsa_fp16_overflow 0
		.amdhsa_exception_fp_ieee_invalid_op 0
		.amdhsa_exception_fp_denorm_src 0
		.amdhsa_exception_fp_ieee_div_zero 0
		.amdhsa_exception_fp_ieee_overflow 0
		.amdhsa_exception_fp_ieee_underflow 0
		.amdhsa_exception_fp_ieee_inexact 0
		.amdhsa_exception_int_div_zero 0
	.end_amdhsa_kernel
	.section	.text._ZN7rocprim17ROCPRIM_304000_NS6detail35device_block_merge_mergepath_kernelINS1_37wrapped_merge_sort_block_merge_configINS0_14default_configElN2at4cuda3cub6detail10OpaqueTypeILi8EEEEEPlSC_PSA_SD_jNS1_19radix_merge_compareILb1ELb0ElNS0_19identity_decomposerEEEEEvT0_T1_T2_T3_T4_SL_jT5_PKSL_NS1_7vsmem_tE,"axG",@progbits,_ZN7rocprim17ROCPRIM_304000_NS6detail35device_block_merge_mergepath_kernelINS1_37wrapped_merge_sort_block_merge_configINS0_14default_configElN2at4cuda3cub6detail10OpaqueTypeILi8EEEEEPlSC_PSA_SD_jNS1_19radix_merge_compareILb1ELb0ElNS0_19identity_decomposerEEEEEvT0_T1_T2_T3_T4_SL_jT5_PKSL_NS1_7vsmem_tE,comdat
.Lfunc_end101:
	.size	_ZN7rocprim17ROCPRIM_304000_NS6detail35device_block_merge_mergepath_kernelINS1_37wrapped_merge_sort_block_merge_configINS0_14default_configElN2at4cuda3cub6detail10OpaqueTypeILi8EEEEEPlSC_PSA_SD_jNS1_19radix_merge_compareILb1ELb0ElNS0_19identity_decomposerEEEEEvT0_T1_T2_T3_T4_SL_jT5_PKSL_NS1_7vsmem_tE, .Lfunc_end101-_ZN7rocprim17ROCPRIM_304000_NS6detail35device_block_merge_mergepath_kernelINS1_37wrapped_merge_sort_block_merge_configINS0_14default_configElN2at4cuda3cub6detail10OpaqueTypeILi8EEEEEPlSC_PSA_SD_jNS1_19radix_merge_compareILb1ELb0ElNS0_19identity_decomposerEEEEEvT0_T1_T2_T3_T4_SL_jT5_PKSL_NS1_7vsmem_tE
                                        ; -- End function
	.set _ZN7rocprim17ROCPRIM_304000_NS6detail35device_block_merge_mergepath_kernelINS1_37wrapped_merge_sort_block_merge_configINS0_14default_configElN2at4cuda3cub6detail10OpaqueTypeILi8EEEEEPlSC_PSA_SD_jNS1_19radix_merge_compareILb1ELb0ElNS0_19identity_decomposerEEEEEvT0_T1_T2_T3_T4_SL_jT5_PKSL_NS1_7vsmem_tE.num_vgpr, 45
	.set _ZN7rocprim17ROCPRIM_304000_NS6detail35device_block_merge_mergepath_kernelINS1_37wrapped_merge_sort_block_merge_configINS0_14default_configElN2at4cuda3cub6detail10OpaqueTypeILi8EEEEEPlSC_PSA_SD_jNS1_19radix_merge_compareILb1ELb0ElNS0_19identity_decomposerEEEEEvT0_T1_T2_T3_T4_SL_jT5_PKSL_NS1_7vsmem_tE.num_agpr, 0
	.set _ZN7rocprim17ROCPRIM_304000_NS6detail35device_block_merge_mergepath_kernelINS1_37wrapped_merge_sort_block_merge_configINS0_14default_configElN2at4cuda3cub6detail10OpaqueTypeILi8EEEEEPlSC_PSA_SD_jNS1_19radix_merge_compareILb1ELb0ElNS0_19identity_decomposerEEEEEvT0_T1_T2_T3_T4_SL_jT5_PKSL_NS1_7vsmem_tE.numbered_sgpr, 34
	.set _ZN7rocprim17ROCPRIM_304000_NS6detail35device_block_merge_mergepath_kernelINS1_37wrapped_merge_sort_block_merge_configINS0_14default_configElN2at4cuda3cub6detail10OpaqueTypeILi8EEEEEPlSC_PSA_SD_jNS1_19radix_merge_compareILb1ELb0ElNS0_19identity_decomposerEEEEEvT0_T1_T2_T3_T4_SL_jT5_PKSL_NS1_7vsmem_tE.num_named_barrier, 0
	.set _ZN7rocprim17ROCPRIM_304000_NS6detail35device_block_merge_mergepath_kernelINS1_37wrapped_merge_sort_block_merge_configINS0_14default_configElN2at4cuda3cub6detail10OpaqueTypeILi8EEEEEPlSC_PSA_SD_jNS1_19radix_merge_compareILb1ELb0ElNS0_19identity_decomposerEEEEEvT0_T1_T2_T3_T4_SL_jT5_PKSL_NS1_7vsmem_tE.private_seg_size, 0
	.set _ZN7rocprim17ROCPRIM_304000_NS6detail35device_block_merge_mergepath_kernelINS1_37wrapped_merge_sort_block_merge_configINS0_14default_configElN2at4cuda3cub6detail10OpaqueTypeILi8EEEEEPlSC_PSA_SD_jNS1_19radix_merge_compareILb1ELb0ElNS0_19identity_decomposerEEEEEvT0_T1_T2_T3_T4_SL_jT5_PKSL_NS1_7vsmem_tE.uses_vcc, 1
	.set _ZN7rocprim17ROCPRIM_304000_NS6detail35device_block_merge_mergepath_kernelINS1_37wrapped_merge_sort_block_merge_configINS0_14default_configElN2at4cuda3cub6detail10OpaqueTypeILi8EEEEEPlSC_PSA_SD_jNS1_19radix_merge_compareILb1ELb0ElNS0_19identity_decomposerEEEEEvT0_T1_T2_T3_T4_SL_jT5_PKSL_NS1_7vsmem_tE.uses_flat_scratch, 0
	.set _ZN7rocprim17ROCPRIM_304000_NS6detail35device_block_merge_mergepath_kernelINS1_37wrapped_merge_sort_block_merge_configINS0_14default_configElN2at4cuda3cub6detail10OpaqueTypeILi8EEEEEPlSC_PSA_SD_jNS1_19radix_merge_compareILb1ELb0ElNS0_19identity_decomposerEEEEEvT0_T1_T2_T3_T4_SL_jT5_PKSL_NS1_7vsmem_tE.has_dyn_sized_stack, 0
	.set _ZN7rocprim17ROCPRIM_304000_NS6detail35device_block_merge_mergepath_kernelINS1_37wrapped_merge_sort_block_merge_configINS0_14default_configElN2at4cuda3cub6detail10OpaqueTypeILi8EEEEEPlSC_PSA_SD_jNS1_19radix_merge_compareILb1ELb0ElNS0_19identity_decomposerEEEEEvT0_T1_T2_T3_T4_SL_jT5_PKSL_NS1_7vsmem_tE.has_recursion, 0
	.set _ZN7rocprim17ROCPRIM_304000_NS6detail35device_block_merge_mergepath_kernelINS1_37wrapped_merge_sort_block_merge_configINS0_14default_configElN2at4cuda3cub6detail10OpaqueTypeILi8EEEEEPlSC_PSA_SD_jNS1_19radix_merge_compareILb1ELb0ElNS0_19identity_decomposerEEEEEvT0_T1_T2_T3_T4_SL_jT5_PKSL_NS1_7vsmem_tE.has_indirect_call, 0
	.section	.AMDGPU.csdata,"",@progbits
; Kernel info:
; codeLenInByte = 6260
; TotalNumSgprs: 38
; NumVgprs: 45
; ScratchSize: 0
; MemoryBound: 1
; FloatMode: 240
; IeeeMode: 1
; LDSByteSize: 8448 bytes/workgroup (compile time only)
; SGPRBlocks: 12
; VGPRBlocks: 12
; NumSGPRsForWavesPerEU: 102
; NumVGPRsForWavesPerEU: 49
; Occupancy: 4
; WaveLimiterHint : 1
; COMPUTE_PGM_RSRC2:SCRATCH_EN: 0
; COMPUTE_PGM_RSRC2:USER_SGPR: 6
; COMPUTE_PGM_RSRC2:TRAP_HANDLER: 0
; COMPUTE_PGM_RSRC2:TGID_X_EN: 1
; COMPUTE_PGM_RSRC2:TGID_Y_EN: 1
; COMPUTE_PGM_RSRC2:TGID_Z_EN: 1
; COMPUTE_PGM_RSRC2:TIDIG_COMP_CNT: 0
	.section	.text._ZN7rocprim17ROCPRIM_304000_NS6detail33device_block_merge_oddeven_kernelINS1_37wrapped_merge_sort_block_merge_configINS0_14default_configElN2at4cuda3cub6detail10OpaqueTypeILi8EEEEEPlSC_PSA_SD_jNS1_19radix_merge_compareILb1ELb0ElNS0_19identity_decomposerEEEEEvT0_T1_T2_T3_T4_SL_T5_,"axG",@progbits,_ZN7rocprim17ROCPRIM_304000_NS6detail33device_block_merge_oddeven_kernelINS1_37wrapped_merge_sort_block_merge_configINS0_14default_configElN2at4cuda3cub6detail10OpaqueTypeILi8EEEEEPlSC_PSA_SD_jNS1_19radix_merge_compareILb1ELb0ElNS0_19identity_decomposerEEEEEvT0_T1_T2_T3_T4_SL_T5_,comdat
	.protected	_ZN7rocprim17ROCPRIM_304000_NS6detail33device_block_merge_oddeven_kernelINS1_37wrapped_merge_sort_block_merge_configINS0_14default_configElN2at4cuda3cub6detail10OpaqueTypeILi8EEEEEPlSC_PSA_SD_jNS1_19radix_merge_compareILb1ELb0ElNS0_19identity_decomposerEEEEEvT0_T1_T2_T3_T4_SL_T5_ ; -- Begin function _ZN7rocprim17ROCPRIM_304000_NS6detail33device_block_merge_oddeven_kernelINS1_37wrapped_merge_sort_block_merge_configINS0_14default_configElN2at4cuda3cub6detail10OpaqueTypeILi8EEEEEPlSC_PSA_SD_jNS1_19radix_merge_compareILb1ELb0ElNS0_19identity_decomposerEEEEEvT0_T1_T2_T3_T4_SL_T5_
	.globl	_ZN7rocprim17ROCPRIM_304000_NS6detail33device_block_merge_oddeven_kernelINS1_37wrapped_merge_sort_block_merge_configINS0_14default_configElN2at4cuda3cub6detail10OpaqueTypeILi8EEEEEPlSC_PSA_SD_jNS1_19radix_merge_compareILb1ELb0ElNS0_19identity_decomposerEEEEEvT0_T1_T2_T3_T4_SL_T5_
	.p2align	8
	.type	_ZN7rocprim17ROCPRIM_304000_NS6detail33device_block_merge_oddeven_kernelINS1_37wrapped_merge_sort_block_merge_configINS0_14default_configElN2at4cuda3cub6detail10OpaqueTypeILi8EEEEEPlSC_PSA_SD_jNS1_19radix_merge_compareILb1ELb0ElNS0_19identity_decomposerEEEEEvT0_T1_T2_T3_T4_SL_T5_,@function
_ZN7rocprim17ROCPRIM_304000_NS6detail33device_block_merge_oddeven_kernelINS1_37wrapped_merge_sort_block_merge_configINS0_14default_configElN2at4cuda3cub6detail10OpaqueTypeILi8EEEEEPlSC_PSA_SD_jNS1_19radix_merge_compareILb1ELb0ElNS0_19identity_decomposerEEEEEvT0_T1_T2_T3_T4_SL_T5_: ; @_ZN7rocprim17ROCPRIM_304000_NS6detail33device_block_merge_oddeven_kernelINS1_37wrapped_merge_sort_block_merge_configINS0_14default_configElN2at4cuda3cub6detail10OpaqueTypeILi8EEEEEPlSC_PSA_SD_jNS1_19radix_merge_compareILb1ELb0ElNS0_19identity_decomposerEEEEEvT0_T1_T2_T3_T4_SL_T5_
; %bb.0:
	s_load_dwordx2 s[18:19], s[4:5], 0x20
	s_waitcnt lgkmcnt(0)
	s_lshr_b32 s0, s18, 8
	s_cmp_eq_u32 s6, s0
	s_cselect_b64 s[16:17], -1, 0
	s_cmp_lg_u32 s6, s0
	s_cselect_b64 s[0:1], -1, 0
	s_lshl_b32 s20, s6, 8
	s_sub_i32 s2, s18, s20
	v_cmp_gt_u32_e64 s[2:3], s2, v0
	s_or_b64 s[0:1], s[0:1], s[2:3]
	s_and_saveexec_b64 s[8:9], s[0:1]
	s_cbranch_execz .LBB102_24
; %bb.1:
	s_load_dwordx8 s[8:15], s[4:5], 0x0
	s_mov_b32 s21, 0
	s_lshl_b64 s[0:1], s[20:21], 3
	v_lshlrev_b32_e32 v5, 3, v0
	s_waitcnt lgkmcnt(0)
	s_add_u32 s4, s8, s0
	s_addc_u32 s5, s9, s1
	s_add_u32 s0, s12, s0
	s_addc_u32 s1, s13, s1
	global_load_dwordx2 v[1:2], v5, s[0:1]
	global_load_dwordx2 v[3:4], v5, s[4:5]
	s_lshr_b32 s0, s19, 8
	s_sub_i32 s1, 0, s0
	s_and_b32 s1, s6, s1
	s_and_b32 s0, s1, s0
	s_lshl_b32 s13, s1, 8
	s_sub_i32 s6, 0, s19
	s_cmp_eq_u32 s0, 0
	s_cselect_b64 s[0:1], -1, 0
	s_and_b64 s[4:5], s[0:1], exec
	s_cselect_b32 s6, s19, s6
	s_add_i32 s6, s6, s13
	s_mov_b64 s[4:5], -1
	s_cmp_gt_u32 s18, s6
	v_add_u32_e32 v5, s20, v0
	s_cbranch_scc1 .LBB102_9
; %bb.2:
	s_and_b64 vcc, exec, s[16:17]
	s_cbranch_vccz .LBB102_6
; %bb.3:
	v_cmp_gt_u32_e32 vcc, s18, v5
	s_and_saveexec_b64 s[4:5], vcc
	s_cbranch_execz .LBB102_5
; %bb.4:
	v_mov_b32_e32 v6, 0
	v_lshlrev_b64 v[6:7], 3, v[5:6]
	v_mov_b32_e32 v0, s15
	v_add_co_u32_e32 v8, vcc, s14, v6
	v_addc_co_u32_e32 v9, vcc, v0, v7, vcc
	v_mov_b32_e32 v0, s11
	v_add_co_u32_e32 v6, vcc, s10, v6
	v_addc_co_u32_e32 v7, vcc, v0, v7, vcc
	s_waitcnt vmcnt(0)
	global_store_dwordx2 v[6:7], v[3:4], off
	global_store_dwordx2 v[8:9], v[1:2], off
.LBB102_5:
	s_or_b64 exec, exec, s[4:5]
	s_mov_b64 s[4:5], 0
.LBB102_6:
	s_andn2_b64 vcc, exec, s[4:5]
	s_cbranch_vccnz .LBB102_8
; %bb.7:
	v_mov_b32_e32 v6, 0
	v_lshlrev_b64 v[6:7], 3, v[5:6]
	v_mov_b32_e32 v0, s11
	v_add_co_u32_e32 v8, vcc, s10, v6
	v_addc_co_u32_e32 v9, vcc, v0, v7, vcc
	v_mov_b32_e32 v0, s15
	v_add_co_u32_e32 v6, vcc, s14, v6
	v_addc_co_u32_e32 v7, vcc, v0, v7, vcc
	s_waitcnt vmcnt(0)
	global_store_dwordx2 v[8:9], v[3:4], off
	global_store_dwordx2 v[6:7], v[1:2], off
.LBB102_8:
	s_mov_b64 s[4:5], 0
.LBB102_9:
	s_andn2_b64 vcc, exec, s[4:5]
	s_cbranch_vccnz .LBB102_24
; %bb.10:
	s_min_u32 s7, s6, s18
	s_add_i32 s4, s7, s19
	s_min_u32 s12, s4, s18
	s_min_u32 s4, s13, s7
	s_add_i32 s13, s13, s7
	v_subrev_u32_e32 v0, s13, v5
	v_add_u32_e32 v0, s4, v0
	s_andn2_b64 vcc, exec, s[16:17]
	s_mov_b64 s[4:5], -1
	s_cbranch_vccnz .LBB102_18
; %bb.11:
	s_and_saveexec_b64 s[4:5], s[2:3]
	s_cbranch_execz .LBB102_17
; %bb.12:
	s_cmp_ge_u32 s6, s12
	v_mov_b32_e32 v7, s7
	s_cbranch_scc1 .LBB102_16
; %bb.13:
	s_mov_b64 s[2:3], 0
	v_mov_b32_e32 v8, s12
	v_mov_b32_e32 v7, s7
	;; [unrolled: 1-line block ×4, first 2 shown]
.LBB102_14:                             ; =>This Inner Loop Header: Depth=1
	v_add_u32_e32 v5, v7, v8
	v_lshrrev_b32_e32 v5, 1, v5
	v_lshlrev_b64 v[10:11], 3, v[5:6]
	v_add_u32_e32 v12, 1, v5
	v_add_co_u32_e32 v10, vcc, s8, v10
	v_addc_co_u32_e32 v11, vcc, v9, v11, vcc
	global_load_dwordx2 v[10:11], v[10:11], off
	s_waitcnt vmcnt(0)
	v_cmp_gt_i64_e32 vcc, v[10:11], v[3:4]
	v_cndmask_b32_e64 v13, 0, 1, vcc
	v_cmp_le_i64_e32 vcc, v[3:4], v[10:11]
	v_cndmask_b32_e64 v10, 0, 1, vcc
	v_cndmask_b32_e64 v10, v10, v13, s[0:1]
	v_and_b32_e32 v10, 1, v10
	v_cmp_eq_u32_e32 vcc, 1, v10
	v_cndmask_b32_e32 v8, v5, v8, vcc
	v_cndmask_b32_e32 v7, v7, v12, vcc
	v_cmp_ge_u32_e32 vcc, v7, v8
	s_or_b64 s[2:3], vcc, s[2:3]
	s_andn2_b64 exec, exec, s[2:3]
	s_cbranch_execnz .LBB102_14
; %bb.15:
	s_or_b64 exec, exec, s[2:3]
.LBB102_16:
	v_add_u32_e32 v5, v7, v0
	v_mov_b32_e32 v6, 0
	v_lshlrev_b64 v[5:6], 3, v[5:6]
	v_mov_b32_e32 v8, s11
	v_add_co_u32_e32 v7, vcc, s10, v5
	v_addc_co_u32_e32 v8, vcc, v8, v6, vcc
	s_waitcnt vmcnt(0)
	global_store_dwordx2 v[7:8], v[3:4], off
	v_mov_b32_e32 v7, s15
	v_add_co_u32_e32 v5, vcc, s14, v5
	v_addc_co_u32_e32 v6, vcc, v7, v6, vcc
	global_store_dwordx2 v[5:6], v[1:2], off
.LBB102_17:
	s_or_b64 exec, exec, s[4:5]
	s_mov_b64 s[4:5], 0
.LBB102_18:
	s_andn2_b64 vcc, exec, s[4:5]
	s_cbranch_vccnz .LBB102_24
; %bb.19:
	s_cmp_ge_u32 s6, s12
	v_mov_b32_e32 v7, s7
	s_cbranch_scc1 .LBB102_23
; %bb.20:
	s_mov_b64 s[2:3], 0
	v_mov_b32_e32 v8, s12
	v_mov_b32_e32 v7, s7
	;; [unrolled: 1-line block ×4, first 2 shown]
.LBB102_21:                             ; =>This Inner Loop Header: Depth=1
	v_add_u32_e32 v5, v7, v8
	v_lshrrev_b32_e32 v5, 1, v5
	v_lshlrev_b64 v[10:11], 3, v[5:6]
	v_add_u32_e32 v12, 1, v5
	v_add_co_u32_e32 v10, vcc, s8, v10
	v_addc_co_u32_e32 v11, vcc, v9, v11, vcc
	global_load_dwordx2 v[10:11], v[10:11], off
	s_waitcnt vmcnt(0)
	v_cmp_gt_i64_e32 vcc, v[10:11], v[3:4]
	v_cndmask_b32_e64 v13, 0, 1, vcc
	v_cmp_le_i64_e32 vcc, v[3:4], v[10:11]
	v_cndmask_b32_e64 v10, 0, 1, vcc
	v_cndmask_b32_e64 v10, v10, v13, s[0:1]
	v_and_b32_e32 v10, 1, v10
	v_cmp_eq_u32_e32 vcc, 1, v10
	v_cndmask_b32_e32 v8, v5, v8, vcc
	v_cndmask_b32_e32 v7, v7, v12, vcc
	v_cmp_ge_u32_e32 vcc, v7, v8
	s_or_b64 s[2:3], vcc, s[2:3]
	s_andn2_b64 exec, exec, s[2:3]
	s_cbranch_execnz .LBB102_21
; %bb.22:
	s_or_b64 exec, exec, s[2:3]
.LBB102_23:
	v_add_u32_e32 v5, v7, v0
	v_mov_b32_e32 v6, 0
	v_lshlrev_b64 v[5:6], 3, v[5:6]
	v_mov_b32_e32 v0, s11
	v_add_co_u32_e32 v7, vcc, s10, v5
	v_addc_co_u32_e32 v8, vcc, v0, v6, vcc
	s_waitcnt vmcnt(0)
	global_store_dwordx2 v[7:8], v[3:4], off
	v_mov_b32_e32 v0, s15
	v_add_co_u32_e32 v3, vcc, s14, v5
	v_addc_co_u32_e32 v4, vcc, v0, v6, vcc
	global_store_dwordx2 v[3:4], v[1:2], off
.LBB102_24:
	s_endpgm
	.section	.rodata,"a",@progbits
	.p2align	6, 0x0
	.amdhsa_kernel _ZN7rocprim17ROCPRIM_304000_NS6detail33device_block_merge_oddeven_kernelINS1_37wrapped_merge_sort_block_merge_configINS0_14default_configElN2at4cuda3cub6detail10OpaqueTypeILi8EEEEEPlSC_PSA_SD_jNS1_19radix_merge_compareILb1ELb0ElNS0_19identity_decomposerEEEEEvT0_T1_T2_T3_T4_SL_T5_
		.amdhsa_group_segment_fixed_size 0
		.amdhsa_private_segment_fixed_size 0
		.amdhsa_kernarg_size 44
		.amdhsa_user_sgpr_count 6
		.amdhsa_user_sgpr_private_segment_buffer 1
		.amdhsa_user_sgpr_dispatch_ptr 0
		.amdhsa_user_sgpr_queue_ptr 0
		.amdhsa_user_sgpr_kernarg_segment_ptr 1
		.amdhsa_user_sgpr_dispatch_id 0
		.amdhsa_user_sgpr_flat_scratch_init 0
		.amdhsa_user_sgpr_private_segment_size 0
		.amdhsa_uses_dynamic_stack 0
		.amdhsa_system_sgpr_private_segment_wavefront_offset 0
		.amdhsa_system_sgpr_workgroup_id_x 1
		.amdhsa_system_sgpr_workgroup_id_y 0
		.amdhsa_system_sgpr_workgroup_id_z 0
		.amdhsa_system_sgpr_workgroup_info 0
		.amdhsa_system_vgpr_workitem_id 0
		.amdhsa_next_free_vgpr 14
		.amdhsa_next_free_sgpr 22
		.amdhsa_reserve_vcc 1
		.amdhsa_reserve_flat_scratch 0
		.amdhsa_float_round_mode_32 0
		.amdhsa_float_round_mode_16_64 0
		.amdhsa_float_denorm_mode_32 3
		.amdhsa_float_denorm_mode_16_64 3
		.amdhsa_dx10_clamp 1
		.amdhsa_ieee_mode 1
		.amdhsa_fp16_overflow 0
		.amdhsa_exception_fp_ieee_invalid_op 0
		.amdhsa_exception_fp_denorm_src 0
		.amdhsa_exception_fp_ieee_div_zero 0
		.amdhsa_exception_fp_ieee_overflow 0
		.amdhsa_exception_fp_ieee_underflow 0
		.amdhsa_exception_fp_ieee_inexact 0
		.amdhsa_exception_int_div_zero 0
	.end_amdhsa_kernel
	.section	.text._ZN7rocprim17ROCPRIM_304000_NS6detail33device_block_merge_oddeven_kernelINS1_37wrapped_merge_sort_block_merge_configINS0_14default_configElN2at4cuda3cub6detail10OpaqueTypeILi8EEEEEPlSC_PSA_SD_jNS1_19radix_merge_compareILb1ELb0ElNS0_19identity_decomposerEEEEEvT0_T1_T2_T3_T4_SL_T5_,"axG",@progbits,_ZN7rocprim17ROCPRIM_304000_NS6detail33device_block_merge_oddeven_kernelINS1_37wrapped_merge_sort_block_merge_configINS0_14default_configElN2at4cuda3cub6detail10OpaqueTypeILi8EEEEEPlSC_PSA_SD_jNS1_19radix_merge_compareILb1ELb0ElNS0_19identity_decomposerEEEEEvT0_T1_T2_T3_T4_SL_T5_,comdat
.Lfunc_end102:
	.size	_ZN7rocprim17ROCPRIM_304000_NS6detail33device_block_merge_oddeven_kernelINS1_37wrapped_merge_sort_block_merge_configINS0_14default_configElN2at4cuda3cub6detail10OpaqueTypeILi8EEEEEPlSC_PSA_SD_jNS1_19radix_merge_compareILb1ELb0ElNS0_19identity_decomposerEEEEEvT0_T1_T2_T3_T4_SL_T5_, .Lfunc_end102-_ZN7rocprim17ROCPRIM_304000_NS6detail33device_block_merge_oddeven_kernelINS1_37wrapped_merge_sort_block_merge_configINS0_14default_configElN2at4cuda3cub6detail10OpaqueTypeILi8EEEEEPlSC_PSA_SD_jNS1_19radix_merge_compareILb1ELb0ElNS0_19identity_decomposerEEEEEvT0_T1_T2_T3_T4_SL_T5_
                                        ; -- End function
	.set _ZN7rocprim17ROCPRIM_304000_NS6detail33device_block_merge_oddeven_kernelINS1_37wrapped_merge_sort_block_merge_configINS0_14default_configElN2at4cuda3cub6detail10OpaqueTypeILi8EEEEEPlSC_PSA_SD_jNS1_19radix_merge_compareILb1ELb0ElNS0_19identity_decomposerEEEEEvT0_T1_T2_T3_T4_SL_T5_.num_vgpr, 14
	.set _ZN7rocprim17ROCPRIM_304000_NS6detail33device_block_merge_oddeven_kernelINS1_37wrapped_merge_sort_block_merge_configINS0_14default_configElN2at4cuda3cub6detail10OpaqueTypeILi8EEEEEPlSC_PSA_SD_jNS1_19radix_merge_compareILb1ELb0ElNS0_19identity_decomposerEEEEEvT0_T1_T2_T3_T4_SL_T5_.num_agpr, 0
	.set _ZN7rocprim17ROCPRIM_304000_NS6detail33device_block_merge_oddeven_kernelINS1_37wrapped_merge_sort_block_merge_configINS0_14default_configElN2at4cuda3cub6detail10OpaqueTypeILi8EEEEEPlSC_PSA_SD_jNS1_19radix_merge_compareILb1ELb0ElNS0_19identity_decomposerEEEEEvT0_T1_T2_T3_T4_SL_T5_.numbered_sgpr, 22
	.set _ZN7rocprim17ROCPRIM_304000_NS6detail33device_block_merge_oddeven_kernelINS1_37wrapped_merge_sort_block_merge_configINS0_14default_configElN2at4cuda3cub6detail10OpaqueTypeILi8EEEEEPlSC_PSA_SD_jNS1_19radix_merge_compareILb1ELb0ElNS0_19identity_decomposerEEEEEvT0_T1_T2_T3_T4_SL_T5_.num_named_barrier, 0
	.set _ZN7rocprim17ROCPRIM_304000_NS6detail33device_block_merge_oddeven_kernelINS1_37wrapped_merge_sort_block_merge_configINS0_14default_configElN2at4cuda3cub6detail10OpaqueTypeILi8EEEEEPlSC_PSA_SD_jNS1_19radix_merge_compareILb1ELb0ElNS0_19identity_decomposerEEEEEvT0_T1_T2_T3_T4_SL_T5_.private_seg_size, 0
	.set _ZN7rocprim17ROCPRIM_304000_NS6detail33device_block_merge_oddeven_kernelINS1_37wrapped_merge_sort_block_merge_configINS0_14default_configElN2at4cuda3cub6detail10OpaqueTypeILi8EEEEEPlSC_PSA_SD_jNS1_19radix_merge_compareILb1ELb0ElNS0_19identity_decomposerEEEEEvT0_T1_T2_T3_T4_SL_T5_.uses_vcc, 1
	.set _ZN7rocprim17ROCPRIM_304000_NS6detail33device_block_merge_oddeven_kernelINS1_37wrapped_merge_sort_block_merge_configINS0_14default_configElN2at4cuda3cub6detail10OpaqueTypeILi8EEEEEPlSC_PSA_SD_jNS1_19radix_merge_compareILb1ELb0ElNS0_19identity_decomposerEEEEEvT0_T1_T2_T3_T4_SL_T5_.uses_flat_scratch, 0
	.set _ZN7rocprim17ROCPRIM_304000_NS6detail33device_block_merge_oddeven_kernelINS1_37wrapped_merge_sort_block_merge_configINS0_14default_configElN2at4cuda3cub6detail10OpaqueTypeILi8EEEEEPlSC_PSA_SD_jNS1_19radix_merge_compareILb1ELb0ElNS0_19identity_decomposerEEEEEvT0_T1_T2_T3_T4_SL_T5_.has_dyn_sized_stack, 0
	.set _ZN7rocprim17ROCPRIM_304000_NS6detail33device_block_merge_oddeven_kernelINS1_37wrapped_merge_sort_block_merge_configINS0_14default_configElN2at4cuda3cub6detail10OpaqueTypeILi8EEEEEPlSC_PSA_SD_jNS1_19radix_merge_compareILb1ELb0ElNS0_19identity_decomposerEEEEEvT0_T1_T2_T3_T4_SL_T5_.has_recursion, 0
	.set _ZN7rocprim17ROCPRIM_304000_NS6detail33device_block_merge_oddeven_kernelINS1_37wrapped_merge_sort_block_merge_configINS0_14default_configElN2at4cuda3cub6detail10OpaqueTypeILi8EEEEEPlSC_PSA_SD_jNS1_19radix_merge_compareILb1ELb0ElNS0_19identity_decomposerEEEEEvT0_T1_T2_T3_T4_SL_T5_.has_indirect_call, 0
	.section	.AMDGPU.csdata,"",@progbits
; Kernel info:
; codeLenInByte = 804
; TotalNumSgprs: 26
; NumVgprs: 14
; ScratchSize: 0
; MemoryBound: 0
; FloatMode: 240
; IeeeMode: 1
; LDSByteSize: 0 bytes/workgroup (compile time only)
; SGPRBlocks: 3
; VGPRBlocks: 3
; NumSGPRsForWavesPerEU: 26
; NumVGPRsForWavesPerEU: 14
; Occupancy: 10
; WaveLimiterHint : 0
; COMPUTE_PGM_RSRC2:SCRATCH_EN: 0
; COMPUTE_PGM_RSRC2:USER_SGPR: 6
; COMPUTE_PGM_RSRC2:TRAP_HANDLER: 0
; COMPUTE_PGM_RSRC2:TGID_X_EN: 1
; COMPUTE_PGM_RSRC2:TGID_Y_EN: 0
; COMPUTE_PGM_RSRC2:TGID_Z_EN: 0
; COMPUTE_PGM_RSRC2:TIDIG_COMP_CNT: 0
	.section	.text._ZN7rocprim17ROCPRIM_304000_NS6detail16transform_kernelINS1_24wrapped_transform_configINS0_14default_configElEElPlS6_NS0_8identityIlEEEEvT1_mT2_T3_,"axG",@progbits,_ZN7rocprim17ROCPRIM_304000_NS6detail16transform_kernelINS1_24wrapped_transform_configINS0_14default_configElEElPlS6_NS0_8identityIlEEEEvT1_mT2_T3_,comdat
	.protected	_ZN7rocprim17ROCPRIM_304000_NS6detail16transform_kernelINS1_24wrapped_transform_configINS0_14default_configElEElPlS6_NS0_8identityIlEEEEvT1_mT2_T3_ ; -- Begin function _ZN7rocprim17ROCPRIM_304000_NS6detail16transform_kernelINS1_24wrapped_transform_configINS0_14default_configElEElPlS6_NS0_8identityIlEEEEvT1_mT2_T3_
	.globl	_ZN7rocprim17ROCPRIM_304000_NS6detail16transform_kernelINS1_24wrapped_transform_configINS0_14default_configElEElPlS6_NS0_8identityIlEEEEvT1_mT2_T3_
	.p2align	8
	.type	_ZN7rocprim17ROCPRIM_304000_NS6detail16transform_kernelINS1_24wrapped_transform_configINS0_14default_configElEElPlS6_NS0_8identityIlEEEEvT1_mT2_T3_,@function
_ZN7rocprim17ROCPRIM_304000_NS6detail16transform_kernelINS1_24wrapped_transform_configINS0_14default_configElEElPlS6_NS0_8identityIlEEEEvT1_mT2_T3_: ; @_ZN7rocprim17ROCPRIM_304000_NS6detail16transform_kernelINS1_24wrapped_transform_configINS0_14default_configElEElPlS6_NS0_8identityIlEEEEvT1_mT2_T3_
; %bb.0:
	s_load_dword s7, s[4:5], 0x20
	s_load_dwordx4 s[0:3], s[4:5], 0x0
	s_lshl_b32 s8, s6, 9
	s_waitcnt lgkmcnt(0)
	s_add_i32 s7, s7, -1
	s_cmp_lg_u32 s6, s7
	s_cselect_b64 s[6:7], -1, 0
	s_sub_i32 s2, s2, s8
	v_cmp_gt_u32_e32 vcc, s2, v0
	s_or_b64 s[2:3], vcc, s[6:7]
	s_and_saveexec_b64 s[6:7], s[2:3]
	s_cbranch_execz .LBB103_2
; %bb.1:
	s_load_dwordx2 s[2:3], s[4:5], 0x10
	s_mov_b32 s9, 0
	s_lshl_b64 s[4:5], s[8:9], 3
	v_lshlrev_b32_e32 v2, 3, v0
	s_waitcnt lgkmcnt(0)
	s_add_u32 s2, s2, s4
	s_addc_u32 s3, s3, s5
	s_add_u32 s0, s0, s4
	s_addc_u32 s1, s1, s5
	global_load_dwordx2 v[0:1], v2, s[0:1]
	s_waitcnt vmcnt(0)
	global_store_dwordx2 v2, v[0:1], s[2:3]
.LBB103_2:
	s_endpgm
	.section	.rodata,"a",@progbits
	.p2align	6, 0x0
	.amdhsa_kernel _ZN7rocprim17ROCPRIM_304000_NS6detail16transform_kernelINS1_24wrapped_transform_configINS0_14default_configElEElPlS6_NS0_8identityIlEEEEvT1_mT2_T3_
		.amdhsa_group_segment_fixed_size 0
		.amdhsa_private_segment_fixed_size 0
		.amdhsa_kernarg_size 288
		.amdhsa_user_sgpr_count 6
		.amdhsa_user_sgpr_private_segment_buffer 1
		.amdhsa_user_sgpr_dispatch_ptr 0
		.amdhsa_user_sgpr_queue_ptr 0
		.amdhsa_user_sgpr_kernarg_segment_ptr 1
		.amdhsa_user_sgpr_dispatch_id 0
		.amdhsa_user_sgpr_flat_scratch_init 0
		.amdhsa_user_sgpr_private_segment_size 0
		.amdhsa_uses_dynamic_stack 0
		.amdhsa_system_sgpr_private_segment_wavefront_offset 0
		.amdhsa_system_sgpr_workgroup_id_x 1
		.amdhsa_system_sgpr_workgroup_id_y 0
		.amdhsa_system_sgpr_workgroup_id_z 0
		.amdhsa_system_sgpr_workgroup_info 0
		.amdhsa_system_vgpr_workitem_id 0
		.amdhsa_next_free_vgpr 3
		.amdhsa_next_free_sgpr 10
		.amdhsa_reserve_vcc 1
		.amdhsa_reserve_flat_scratch 0
		.amdhsa_float_round_mode_32 0
		.amdhsa_float_round_mode_16_64 0
		.amdhsa_float_denorm_mode_32 3
		.amdhsa_float_denorm_mode_16_64 3
		.amdhsa_dx10_clamp 1
		.amdhsa_ieee_mode 1
		.amdhsa_fp16_overflow 0
		.amdhsa_exception_fp_ieee_invalid_op 0
		.amdhsa_exception_fp_denorm_src 0
		.amdhsa_exception_fp_ieee_div_zero 0
		.amdhsa_exception_fp_ieee_overflow 0
		.amdhsa_exception_fp_ieee_underflow 0
		.amdhsa_exception_fp_ieee_inexact 0
		.amdhsa_exception_int_div_zero 0
	.end_amdhsa_kernel
	.section	.text._ZN7rocprim17ROCPRIM_304000_NS6detail16transform_kernelINS1_24wrapped_transform_configINS0_14default_configElEElPlS6_NS0_8identityIlEEEEvT1_mT2_T3_,"axG",@progbits,_ZN7rocprim17ROCPRIM_304000_NS6detail16transform_kernelINS1_24wrapped_transform_configINS0_14default_configElEElPlS6_NS0_8identityIlEEEEvT1_mT2_T3_,comdat
.Lfunc_end103:
	.size	_ZN7rocprim17ROCPRIM_304000_NS6detail16transform_kernelINS1_24wrapped_transform_configINS0_14default_configElEElPlS6_NS0_8identityIlEEEEvT1_mT2_T3_, .Lfunc_end103-_ZN7rocprim17ROCPRIM_304000_NS6detail16transform_kernelINS1_24wrapped_transform_configINS0_14default_configElEElPlS6_NS0_8identityIlEEEEvT1_mT2_T3_
                                        ; -- End function
	.set _ZN7rocprim17ROCPRIM_304000_NS6detail16transform_kernelINS1_24wrapped_transform_configINS0_14default_configElEElPlS6_NS0_8identityIlEEEEvT1_mT2_T3_.num_vgpr, 3
	.set _ZN7rocprim17ROCPRIM_304000_NS6detail16transform_kernelINS1_24wrapped_transform_configINS0_14default_configElEElPlS6_NS0_8identityIlEEEEvT1_mT2_T3_.num_agpr, 0
	.set _ZN7rocprim17ROCPRIM_304000_NS6detail16transform_kernelINS1_24wrapped_transform_configINS0_14default_configElEElPlS6_NS0_8identityIlEEEEvT1_mT2_T3_.numbered_sgpr, 10
	.set _ZN7rocprim17ROCPRIM_304000_NS6detail16transform_kernelINS1_24wrapped_transform_configINS0_14default_configElEElPlS6_NS0_8identityIlEEEEvT1_mT2_T3_.num_named_barrier, 0
	.set _ZN7rocprim17ROCPRIM_304000_NS6detail16transform_kernelINS1_24wrapped_transform_configINS0_14default_configElEElPlS6_NS0_8identityIlEEEEvT1_mT2_T3_.private_seg_size, 0
	.set _ZN7rocprim17ROCPRIM_304000_NS6detail16transform_kernelINS1_24wrapped_transform_configINS0_14default_configElEElPlS6_NS0_8identityIlEEEEvT1_mT2_T3_.uses_vcc, 1
	.set _ZN7rocprim17ROCPRIM_304000_NS6detail16transform_kernelINS1_24wrapped_transform_configINS0_14default_configElEElPlS6_NS0_8identityIlEEEEvT1_mT2_T3_.uses_flat_scratch, 0
	.set _ZN7rocprim17ROCPRIM_304000_NS6detail16transform_kernelINS1_24wrapped_transform_configINS0_14default_configElEElPlS6_NS0_8identityIlEEEEvT1_mT2_T3_.has_dyn_sized_stack, 0
	.set _ZN7rocprim17ROCPRIM_304000_NS6detail16transform_kernelINS1_24wrapped_transform_configINS0_14default_configElEElPlS6_NS0_8identityIlEEEEvT1_mT2_T3_.has_recursion, 0
	.set _ZN7rocprim17ROCPRIM_304000_NS6detail16transform_kernelINS1_24wrapped_transform_configINS0_14default_configElEElPlS6_NS0_8identityIlEEEEvT1_mT2_T3_.has_indirect_call, 0
	.section	.AMDGPU.csdata,"",@progbits
; Kernel info:
; codeLenInByte = 120
; TotalNumSgprs: 14
; NumVgprs: 3
; ScratchSize: 0
; MemoryBound: 0
; FloatMode: 240
; IeeeMode: 1
; LDSByteSize: 0 bytes/workgroup (compile time only)
; SGPRBlocks: 1
; VGPRBlocks: 0
; NumSGPRsForWavesPerEU: 14
; NumVGPRsForWavesPerEU: 3
; Occupancy: 10
; WaveLimiterHint : 0
; COMPUTE_PGM_RSRC2:SCRATCH_EN: 0
; COMPUTE_PGM_RSRC2:USER_SGPR: 6
; COMPUTE_PGM_RSRC2:TRAP_HANDLER: 0
; COMPUTE_PGM_RSRC2:TGID_X_EN: 1
; COMPUTE_PGM_RSRC2:TGID_Y_EN: 0
; COMPUTE_PGM_RSRC2:TGID_Z_EN: 0
; COMPUTE_PGM_RSRC2:TIDIG_COMP_CNT: 0
	.section	.text._ZN7rocprim17ROCPRIM_304000_NS6detail45device_block_merge_mergepath_partition_kernelINS1_37wrapped_merge_sort_block_merge_configINS0_14default_configElN2at4cuda3cub6detail10OpaqueTypeILi8EEEEEPljNS1_19radix_merge_compareILb1ELb1ElNS0_19identity_decomposerEEEEEvT0_T1_jPSH_T2_SH_,"axG",@progbits,_ZN7rocprim17ROCPRIM_304000_NS6detail45device_block_merge_mergepath_partition_kernelINS1_37wrapped_merge_sort_block_merge_configINS0_14default_configElN2at4cuda3cub6detail10OpaqueTypeILi8EEEEEPljNS1_19radix_merge_compareILb1ELb1ElNS0_19identity_decomposerEEEEEvT0_T1_jPSH_T2_SH_,comdat
	.protected	_ZN7rocprim17ROCPRIM_304000_NS6detail45device_block_merge_mergepath_partition_kernelINS1_37wrapped_merge_sort_block_merge_configINS0_14default_configElN2at4cuda3cub6detail10OpaqueTypeILi8EEEEEPljNS1_19radix_merge_compareILb1ELb1ElNS0_19identity_decomposerEEEEEvT0_T1_jPSH_T2_SH_ ; -- Begin function _ZN7rocprim17ROCPRIM_304000_NS6detail45device_block_merge_mergepath_partition_kernelINS1_37wrapped_merge_sort_block_merge_configINS0_14default_configElN2at4cuda3cub6detail10OpaqueTypeILi8EEEEEPljNS1_19radix_merge_compareILb1ELb1ElNS0_19identity_decomposerEEEEEvT0_T1_jPSH_T2_SH_
	.globl	_ZN7rocprim17ROCPRIM_304000_NS6detail45device_block_merge_mergepath_partition_kernelINS1_37wrapped_merge_sort_block_merge_configINS0_14default_configElN2at4cuda3cub6detail10OpaqueTypeILi8EEEEEPljNS1_19radix_merge_compareILb1ELb1ElNS0_19identity_decomposerEEEEEvT0_T1_jPSH_T2_SH_
	.p2align	8
	.type	_ZN7rocprim17ROCPRIM_304000_NS6detail45device_block_merge_mergepath_partition_kernelINS1_37wrapped_merge_sort_block_merge_configINS0_14default_configElN2at4cuda3cub6detail10OpaqueTypeILi8EEEEEPljNS1_19radix_merge_compareILb1ELb1ElNS0_19identity_decomposerEEEEEvT0_T1_jPSH_T2_SH_,@function
_ZN7rocprim17ROCPRIM_304000_NS6detail45device_block_merge_mergepath_partition_kernelINS1_37wrapped_merge_sort_block_merge_configINS0_14default_configElN2at4cuda3cub6detail10OpaqueTypeILi8EEEEEPljNS1_19radix_merge_compareILb1ELb1ElNS0_19identity_decomposerEEEEEvT0_T1_jPSH_T2_SH_: ; @_ZN7rocprim17ROCPRIM_304000_NS6detail45device_block_merge_mergepath_partition_kernelINS1_37wrapped_merge_sort_block_merge_configINS0_14default_configElN2at4cuda3cub6detail10OpaqueTypeILi8EEEEEPljNS1_19radix_merge_compareILb1ELb1ElNS0_19identity_decomposerEEEEEvT0_T1_jPSH_T2_SH_
; %bb.0:
	s_load_dwordx2 s[8:9], s[4:5], 0x8
	v_lshl_or_b32 v0, s6, 7, v0
	s_waitcnt lgkmcnt(0)
	v_cmp_gt_u32_e32 vcc, s9, v0
	s_and_saveexec_b64 s[0:1], vcc
	s_cbranch_execz .LBB104_6
; %bb.1:
	s_load_dword s6, s[4:5], 0x20
	s_load_dwordx4 s[0:3], s[4:5], 0x10
	s_waitcnt lgkmcnt(0)
	s_lshr_b32 s7, s6, 9
	s_and_b32 s7, s7, 0x7ffffe
	s_add_i32 s9, s7, -1
	s_sub_i32 s7, 0, s7
	v_and_b32_e32 v1, s7, v0
	v_lshlrev_b32_e32 v3, 10, v1
	v_min_u32_e32 v1, s8, v3
	v_add_u32_e32 v3, s6, v3
	v_min_u32_e32 v3, s8, v3
	v_add_u32_e32 v4, s6, v3
	v_and_b32_e32 v2, s9, v0
	v_min_u32_e32 v4, s8, v4
	v_sub_u32_e32 v5, v4, v1
	v_lshlrev_b32_e32 v2, 10, v2
	v_min_u32_e32 v6, v5, v2
	v_sub_u32_e32 v2, v3, v1
	v_sub_u32_e32 v4, v4, v3
	v_sub_u32_e64 v5, v6, v4 clamp
	v_min_u32_e32 v7, v6, v2
	v_cmp_lt_u32_e32 vcc, v5, v7
	s_and_saveexec_b64 s[6:7], vcc
	s_cbranch_execz .LBB104_5
; %bb.2:
	s_load_dwordx2 s[4:5], s[4:5], 0x0
	v_mov_b32_e32 v4, 0
	v_mov_b32_e32 v2, v4
	v_lshlrev_b64 v[8:9], 3, v[1:2]
	s_waitcnt lgkmcnt(0)
	v_mov_b32_e32 v11, s5
	v_add_co_u32_e32 v2, vcc, s4, v8
	v_addc_co_u32_e32 v8, vcc, v11, v9, vcc
	v_lshlrev_b64 v[9:10], 3, v[3:4]
	v_add_co_u32_e32 v9, vcc, s4, v9
	v_addc_co_u32_e32 v10, vcc, v11, v10, vcc
	s_mov_b64 s[4:5], 0
.LBB104_3:                              ; =>This Inner Loop Header: Depth=1
	v_add_u32_e32 v3, v7, v5
	v_lshrrev_b32_e32 v3, 1, v3
	v_lshlrev_b64 v[13:14], 3, v[3:4]
	v_mov_b32_e32 v12, v4
	v_xad_u32 v11, v3, -1, v6
	v_lshlrev_b64 v[11:12], 3, v[11:12]
	v_add_co_u32_e32 v13, vcc, v2, v13
	v_addc_co_u32_e32 v14, vcc, v8, v14, vcc
	v_add_co_u32_e32 v11, vcc, v9, v11
	v_addc_co_u32_e32 v12, vcc, v10, v12, vcc
	global_load_dwordx2 v[13:14], v[13:14], off
	v_add_u32_e32 v15, 1, v3
	global_load_dwordx2 v[11:12], v[11:12], off
	s_waitcnt vmcnt(1)
	v_and_b32_e32 v14, s3, v14
	v_and_b32_e32 v13, s2, v13
	s_waitcnt vmcnt(0)
	v_and_b32_e32 v12, s3, v12
	v_and_b32_e32 v11, s2, v11
	v_cmp_gt_i64_e32 vcc, v[11:12], v[13:14]
	v_cndmask_b32_e32 v7, v7, v3, vcc
	v_cndmask_b32_e32 v5, v15, v5, vcc
	v_cmp_ge_u32_e32 vcc, v5, v7
	s_or_b64 s[4:5], vcc, s[4:5]
	s_andn2_b64 exec, exec, s[4:5]
	s_cbranch_execnz .LBB104_3
; %bb.4:
	s_or_b64 exec, exec, s[4:5]
.LBB104_5:
	s_or_b64 exec, exec, s[6:7]
	v_add_u32_e32 v2, v5, v1
	v_mov_b32_e32 v1, 0
	v_lshlrev_b64 v[0:1], 2, v[0:1]
	v_mov_b32_e32 v3, s1
	v_add_co_u32_e32 v0, vcc, s0, v0
	v_addc_co_u32_e32 v1, vcc, v3, v1, vcc
	global_store_dword v[0:1], v2, off
.LBB104_6:
	s_endpgm
	.section	.rodata,"a",@progbits
	.p2align	6, 0x0
	.amdhsa_kernel _ZN7rocprim17ROCPRIM_304000_NS6detail45device_block_merge_mergepath_partition_kernelINS1_37wrapped_merge_sort_block_merge_configINS0_14default_configElN2at4cuda3cub6detail10OpaqueTypeILi8EEEEEPljNS1_19radix_merge_compareILb1ELb1ElNS0_19identity_decomposerEEEEEvT0_T1_jPSH_T2_SH_
		.amdhsa_group_segment_fixed_size 0
		.amdhsa_private_segment_fixed_size 0
		.amdhsa_kernarg_size 36
		.amdhsa_user_sgpr_count 6
		.amdhsa_user_sgpr_private_segment_buffer 1
		.amdhsa_user_sgpr_dispatch_ptr 0
		.amdhsa_user_sgpr_queue_ptr 0
		.amdhsa_user_sgpr_kernarg_segment_ptr 1
		.amdhsa_user_sgpr_dispatch_id 0
		.amdhsa_user_sgpr_flat_scratch_init 0
		.amdhsa_user_sgpr_private_segment_size 0
		.amdhsa_uses_dynamic_stack 0
		.amdhsa_system_sgpr_private_segment_wavefront_offset 0
		.amdhsa_system_sgpr_workgroup_id_x 1
		.amdhsa_system_sgpr_workgroup_id_y 0
		.amdhsa_system_sgpr_workgroup_id_z 0
		.amdhsa_system_sgpr_workgroup_info 0
		.amdhsa_system_vgpr_workitem_id 0
		.amdhsa_next_free_vgpr 16
		.amdhsa_next_free_sgpr 10
		.amdhsa_reserve_vcc 1
		.amdhsa_reserve_flat_scratch 0
		.amdhsa_float_round_mode_32 0
		.amdhsa_float_round_mode_16_64 0
		.amdhsa_float_denorm_mode_32 3
		.amdhsa_float_denorm_mode_16_64 3
		.amdhsa_dx10_clamp 1
		.amdhsa_ieee_mode 1
		.amdhsa_fp16_overflow 0
		.amdhsa_exception_fp_ieee_invalid_op 0
		.amdhsa_exception_fp_denorm_src 0
		.amdhsa_exception_fp_ieee_div_zero 0
		.amdhsa_exception_fp_ieee_overflow 0
		.amdhsa_exception_fp_ieee_underflow 0
		.amdhsa_exception_fp_ieee_inexact 0
		.amdhsa_exception_int_div_zero 0
	.end_amdhsa_kernel
	.section	.text._ZN7rocprim17ROCPRIM_304000_NS6detail45device_block_merge_mergepath_partition_kernelINS1_37wrapped_merge_sort_block_merge_configINS0_14default_configElN2at4cuda3cub6detail10OpaqueTypeILi8EEEEEPljNS1_19radix_merge_compareILb1ELb1ElNS0_19identity_decomposerEEEEEvT0_T1_jPSH_T2_SH_,"axG",@progbits,_ZN7rocprim17ROCPRIM_304000_NS6detail45device_block_merge_mergepath_partition_kernelINS1_37wrapped_merge_sort_block_merge_configINS0_14default_configElN2at4cuda3cub6detail10OpaqueTypeILi8EEEEEPljNS1_19radix_merge_compareILb1ELb1ElNS0_19identity_decomposerEEEEEvT0_T1_jPSH_T2_SH_,comdat
.Lfunc_end104:
	.size	_ZN7rocprim17ROCPRIM_304000_NS6detail45device_block_merge_mergepath_partition_kernelINS1_37wrapped_merge_sort_block_merge_configINS0_14default_configElN2at4cuda3cub6detail10OpaqueTypeILi8EEEEEPljNS1_19radix_merge_compareILb1ELb1ElNS0_19identity_decomposerEEEEEvT0_T1_jPSH_T2_SH_, .Lfunc_end104-_ZN7rocprim17ROCPRIM_304000_NS6detail45device_block_merge_mergepath_partition_kernelINS1_37wrapped_merge_sort_block_merge_configINS0_14default_configElN2at4cuda3cub6detail10OpaqueTypeILi8EEEEEPljNS1_19radix_merge_compareILb1ELb1ElNS0_19identity_decomposerEEEEEvT0_T1_jPSH_T2_SH_
                                        ; -- End function
	.set _ZN7rocprim17ROCPRIM_304000_NS6detail45device_block_merge_mergepath_partition_kernelINS1_37wrapped_merge_sort_block_merge_configINS0_14default_configElN2at4cuda3cub6detail10OpaqueTypeILi8EEEEEPljNS1_19radix_merge_compareILb1ELb1ElNS0_19identity_decomposerEEEEEvT0_T1_jPSH_T2_SH_.num_vgpr, 16
	.set _ZN7rocprim17ROCPRIM_304000_NS6detail45device_block_merge_mergepath_partition_kernelINS1_37wrapped_merge_sort_block_merge_configINS0_14default_configElN2at4cuda3cub6detail10OpaqueTypeILi8EEEEEPljNS1_19radix_merge_compareILb1ELb1ElNS0_19identity_decomposerEEEEEvT0_T1_jPSH_T2_SH_.num_agpr, 0
	.set _ZN7rocprim17ROCPRIM_304000_NS6detail45device_block_merge_mergepath_partition_kernelINS1_37wrapped_merge_sort_block_merge_configINS0_14default_configElN2at4cuda3cub6detail10OpaqueTypeILi8EEEEEPljNS1_19radix_merge_compareILb1ELb1ElNS0_19identity_decomposerEEEEEvT0_T1_jPSH_T2_SH_.numbered_sgpr, 10
	.set _ZN7rocprim17ROCPRIM_304000_NS6detail45device_block_merge_mergepath_partition_kernelINS1_37wrapped_merge_sort_block_merge_configINS0_14default_configElN2at4cuda3cub6detail10OpaqueTypeILi8EEEEEPljNS1_19radix_merge_compareILb1ELb1ElNS0_19identity_decomposerEEEEEvT0_T1_jPSH_T2_SH_.num_named_barrier, 0
	.set _ZN7rocprim17ROCPRIM_304000_NS6detail45device_block_merge_mergepath_partition_kernelINS1_37wrapped_merge_sort_block_merge_configINS0_14default_configElN2at4cuda3cub6detail10OpaqueTypeILi8EEEEEPljNS1_19radix_merge_compareILb1ELb1ElNS0_19identity_decomposerEEEEEvT0_T1_jPSH_T2_SH_.private_seg_size, 0
	.set _ZN7rocprim17ROCPRIM_304000_NS6detail45device_block_merge_mergepath_partition_kernelINS1_37wrapped_merge_sort_block_merge_configINS0_14default_configElN2at4cuda3cub6detail10OpaqueTypeILi8EEEEEPljNS1_19radix_merge_compareILb1ELb1ElNS0_19identity_decomposerEEEEEvT0_T1_jPSH_T2_SH_.uses_vcc, 1
	.set _ZN7rocprim17ROCPRIM_304000_NS6detail45device_block_merge_mergepath_partition_kernelINS1_37wrapped_merge_sort_block_merge_configINS0_14default_configElN2at4cuda3cub6detail10OpaqueTypeILi8EEEEEPljNS1_19radix_merge_compareILb1ELb1ElNS0_19identity_decomposerEEEEEvT0_T1_jPSH_T2_SH_.uses_flat_scratch, 0
	.set _ZN7rocprim17ROCPRIM_304000_NS6detail45device_block_merge_mergepath_partition_kernelINS1_37wrapped_merge_sort_block_merge_configINS0_14default_configElN2at4cuda3cub6detail10OpaqueTypeILi8EEEEEPljNS1_19radix_merge_compareILb1ELb1ElNS0_19identity_decomposerEEEEEvT0_T1_jPSH_T2_SH_.has_dyn_sized_stack, 0
	.set _ZN7rocprim17ROCPRIM_304000_NS6detail45device_block_merge_mergepath_partition_kernelINS1_37wrapped_merge_sort_block_merge_configINS0_14default_configElN2at4cuda3cub6detail10OpaqueTypeILi8EEEEEPljNS1_19radix_merge_compareILb1ELb1ElNS0_19identity_decomposerEEEEEvT0_T1_jPSH_T2_SH_.has_recursion, 0
	.set _ZN7rocprim17ROCPRIM_304000_NS6detail45device_block_merge_mergepath_partition_kernelINS1_37wrapped_merge_sort_block_merge_configINS0_14default_configElN2at4cuda3cub6detail10OpaqueTypeILi8EEEEEPljNS1_19radix_merge_compareILb1ELb1ElNS0_19identity_decomposerEEEEEvT0_T1_jPSH_T2_SH_.has_indirect_call, 0
	.section	.AMDGPU.csdata,"",@progbits
; Kernel info:
; codeLenInByte = 380
; TotalNumSgprs: 14
; NumVgprs: 16
; ScratchSize: 0
; MemoryBound: 0
; FloatMode: 240
; IeeeMode: 1
; LDSByteSize: 0 bytes/workgroup (compile time only)
; SGPRBlocks: 1
; VGPRBlocks: 3
; NumSGPRsForWavesPerEU: 14
; NumVGPRsForWavesPerEU: 16
; Occupancy: 10
; WaveLimiterHint : 0
; COMPUTE_PGM_RSRC2:SCRATCH_EN: 0
; COMPUTE_PGM_RSRC2:USER_SGPR: 6
; COMPUTE_PGM_RSRC2:TRAP_HANDLER: 0
; COMPUTE_PGM_RSRC2:TGID_X_EN: 1
; COMPUTE_PGM_RSRC2:TGID_Y_EN: 0
; COMPUTE_PGM_RSRC2:TGID_Z_EN: 0
; COMPUTE_PGM_RSRC2:TIDIG_COMP_CNT: 0
	.section	.text._ZN7rocprim17ROCPRIM_304000_NS6detail35device_block_merge_mergepath_kernelINS1_37wrapped_merge_sort_block_merge_configINS0_14default_configElN2at4cuda3cub6detail10OpaqueTypeILi8EEEEEPlSC_PSA_SD_jNS1_19radix_merge_compareILb1ELb1ElNS0_19identity_decomposerEEEEEvT0_T1_T2_T3_T4_SL_jT5_PKSL_NS1_7vsmem_tE,"axG",@progbits,_ZN7rocprim17ROCPRIM_304000_NS6detail35device_block_merge_mergepath_kernelINS1_37wrapped_merge_sort_block_merge_configINS0_14default_configElN2at4cuda3cub6detail10OpaqueTypeILi8EEEEEPlSC_PSA_SD_jNS1_19radix_merge_compareILb1ELb1ElNS0_19identity_decomposerEEEEEvT0_T1_T2_T3_T4_SL_jT5_PKSL_NS1_7vsmem_tE,comdat
	.protected	_ZN7rocprim17ROCPRIM_304000_NS6detail35device_block_merge_mergepath_kernelINS1_37wrapped_merge_sort_block_merge_configINS0_14default_configElN2at4cuda3cub6detail10OpaqueTypeILi8EEEEEPlSC_PSA_SD_jNS1_19radix_merge_compareILb1ELb1ElNS0_19identity_decomposerEEEEEvT0_T1_T2_T3_T4_SL_jT5_PKSL_NS1_7vsmem_tE ; -- Begin function _ZN7rocprim17ROCPRIM_304000_NS6detail35device_block_merge_mergepath_kernelINS1_37wrapped_merge_sort_block_merge_configINS0_14default_configElN2at4cuda3cub6detail10OpaqueTypeILi8EEEEEPlSC_PSA_SD_jNS1_19radix_merge_compareILb1ELb1ElNS0_19identity_decomposerEEEEEvT0_T1_T2_T3_T4_SL_jT5_PKSL_NS1_7vsmem_tE
	.globl	_ZN7rocprim17ROCPRIM_304000_NS6detail35device_block_merge_mergepath_kernelINS1_37wrapped_merge_sort_block_merge_configINS0_14default_configElN2at4cuda3cub6detail10OpaqueTypeILi8EEEEEPlSC_PSA_SD_jNS1_19radix_merge_compareILb1ELb1ElNS0_19identity_decomposerEEEEEvT0_T1_T2_T3_T4_SL_jT5_PKSL_NS1_7vsmem_tE
	.p2align	8
	.type	_ZN7rocprim17ROCPRIM_304000_NS6detail35device_block_merge_mergepath_kernelINS1_37wrapped_merge_sort_block_merge_configINS0_14default_configElN2at4cuda3cub6detail10OpaqueTypeILi8EEEEEPlSC_PSA_SD_jNS1_19radix_merge_compareILb1ELb1ElNS0_19identity_decomposerEEEEEvT0_T1_T2_T3_T4_SL_jT5_PKSL_NS1_7vsmem_tE,@function
_ZN7rocprim17ROCPRIM_304000_NS6detail35device_block_merge_mergepath_kernelINS1_37wrapped_merge_sort_block_merge_configINS0_14default_configElN2at4cuda3cub6detail10OpaqueTypeILi8EEEEEPlSC_PSA_SD_jNS1_19radix_merge_compareILb1ELb1ElNS0_19identity_decomposerEEEEEvT0_T1_T2_T3_T4_SL_jT5_PKSL_NS1_7vsmem_tE: ; @_ZN7rocprim17ROCPRIM_304000_NS6detail35device_block_merge_mergepath_kernelINS1_37wrapped_merge_sort_block_merge_configINS0_14default_configElN2at4cuda3cub6detail10OpaqueTypeILi8EEEEEPlSC_PSA_SD_jNS1_19radix_merge_compareILb1ELb1ElNS0_19identity_decomposerEEEEEvT0_T1_T2_T3_T4_SL_jT5_PKSL_NS1_7vsmem_tE
; %bb.0:
	s_load_dwordx2 s[34:35], s[4:5], 0x48
	s_load_dwordx4 s[16:19], s[4:5], 0x20
	s_add_u32 s2, s4, 0x48
	s_addc_u32 s3, s5, 0
	s_waitcnt lgkmcnt(0)
	s_mul_i32 s0, s35, s8
	s_add_i32 s0, s0, s7
	s_mul_i32 s0, s0, s34
	s_add_i32 s0, s0, s6
	s_cmp_ge_u32 s0, s18
	s_cbranch_scc1 .LBB105_103
; %bb.1:
	s_load_dwordx8 s[8:15], s[4:5], 0x0
	s_load_dwordx4 s[20:23], s[4:5], 0x30
	s_lshr_b32 s35, s16, 10
	s_cmp_lg_u32 s0, s35
	s_mov_b32 s1, 0
	s_cselect_b64 s[24:25], -1, 0
	s_lshl_b64 s[4:5], s[0:1], 2
	s_waitcnt lgkmcnt(0)
	s_add_u32 s4, s22, s4
	s_addc_u32 s5, s23, s5
	s_load_dwordx2 s[22:23], s[4:5], 0x0
	s_lshr_b32 s4, s17, 9
	s_and_b32 s4, s4, 0x7ffffe
	s_sub_i32 s4, 0, s4
	s_and_b32 s5, s0, s4
	s_lshl_b32 s7, s5, 10
	s_lshl_b32 s18, s0, 10
	;; [unrolled: 1-line block ×3, first 2 shown]
	s_sub_i32 s19, s18, s7
	s_add_i32 s5, s5, s17
	s_add_i32 s19, s5, s19
	s_waitcnt lgkmcnt(0)
	s_sub_i32 s26, s19, s22
	s_sub_i32 s19, s19, s23
	;; [unrolled: 1-line block ×3, first 2 shown]
	s_min_u32 s26, s16, s26
	s_addk_i32 s19, 0x400
	s_or_b32 s4, s0, s4
	s_min_u32 s7, s16, s5
	s_add_i32 s5, s5, s17
	s_cmp_eq_u32 s4, -1
	s_cselect_b32 s4, s5, s19
	s_cselect_b32 s5, s7, s23
	s_min_u32 s4, s4, s16
	s_mov_b32 s23, s1
	s_sub_i32 s19, s5, s22
	s_sub_i32 s33, s4, s26
	s_lshl_b64 s[28:29], s[22:23], 3
	s_add_u32 s5, s8, s28
	s_mov_b32 s27, s1
	s_addc_u32 s7, s9, s29
	s_lshl_b64 s[30:31], s[26:27], 3
	s_add_u32 s4, s8, s30
	v_mov_b32_e32 v19, 0
	global_load_dword v1, v19, s[2:3] offset:14
	s_addc_u32 s8, s9, s31
	s_cmp_lt_u32 s6, s34
	s_cselect_b32 s1, 12, 18
	s_add_u32 s2, s2, s1
	s_addc_u32 s3, s3, 0
	global_load_ushort v2, v19, s[2:3]
	s_cmp_eq_u32 s0, s35
	v_cmp_gt_u32_e32 vcc, s19, v0
	v_lshlrev_b32_e32 v21, 3, v0
	s_waitcnt vmcnt(1)
	v_lshrrev_b32_e32 v3, 16, v1
	v_and_b32_e32 v1, 0xffff, v1
	v_mul_lo_u32 v1, v1, v3
	s_waitcnt vmcnt(0)
	v_mul_lo_u32 v20, v1, v2
	v_add_u32_e32 v18, v20, v0
	s_cbranch_scc1 .LBB105_3
; %bb.2:
	v_mov_b32_e32 v1, s7
	v_add_co_u32_e64 v3, s[0:1], s5, v21
	v_subrev_u32_e32 v2, s19, v0
	v_addc_co_u32_e64 v1, s[0:1], 0, v1, s[0:1]
	v_lshlrev_b32_e32 v2, 3, v2
	v_mov_b32_e32 v4, s8
	v_add_co_u32_e64 v5, s[0:1], s4, v2
	v_addc_co_u32_e64 v2, s[0:1], 0, v4, s[0:1]
	v_cndmask_b32_e32 v2, v2, v1, vcc
	v_cndmask_b32_e32 v1, v5, v3, vcc
	v_lshlrev_b64 v[3:4], 3, v[18:19]
	v_mov_b32_e32 v5, s7
	v_add_co_u32_e32 v6, vcc, s5, v3
	v_addc_co_u32_e32 v5, vcc, v5, v4, vcc
	v_subrev_co_u32_e32 v3, vcc, s19, v18
	v_mov_b32_e32 v4, v19
	v_lshlrev_b64 v[3:4], 3, v[3:4]
	v_mov_b32_e32 v7, s8
	v_add_co_u32_e64 v3, s[0:1], s4, v3
	v_addc_co_u32_e64 v4, s[0:1], v7, v4, s[0:1]
	v_add_u32_e32 v7, v18, v20
	v_mov_b32_e32 v8, v19
	v_cndmask_b32_e32 v4, v4, v5, vcc
	v_cndmask_b32_e32 v3, v3, v6, vcc
	v_lshlrev_b64 v[5:6], 3, v[7:8]
	v_mov_b32_e32 v8, s7
	v_add_co_u32_e32 v9, vcc, s5, v5
	v_addc_co_u32_e32 v8, vcc, v8, v6, vcc
	v_subrev_co_u32_e32 v5, vcc, s19, v7
	v_mov_b32_e32 v6, v19
	v_lshlrev_b64 v[5:6], 3, v[5:6]
	v_mov_b32_e32 v10, s8
	v_add_co_u32_e64 v5, s[0:1], s4, v5
	v_addc_co_u32_e64 v6, s[0:1], v10, v6, s[0:1]
	v_cndmask_b32_e32 v5, v5, v9, vcc
	v_add_u32_e32 v9, v7, v20
	v_mov_b32_e32 v10, v19
	v_cndmask_b32_e32 v6, v6, v8, vcc
	v_lshlrev_b64 v[7:8], 3, v[9:10]
	v_mov_b32_e32 v10, s7
	v_add_co_u32_e32 v11, vcc, s5, v7
	v_addc_co_u32_e32 v10, vcc, v10, v8, vcc
	v_subrev_co_u32_e32 v7, vcc, s19, v9
	v_mov_b32_e32 v8, v19
	v_lshlrev_b64 v[7:8], 3, v[7:8]
	v_mov_b32_e32 v12, s8
	v_add_co_u32_e64 v7, s[0:1], s4, v7
	v_addc_co_u32_e64 v8, s[0:1], v12, v8, s[0:1]
	v_cndmask_b32_e32 v7, v7, v11, vcc
	v_add_u32_e32 v11, v9, v20
	v_mov_b32_e32 v12, v19
	;; [unrolled: 14-line block ×5, first 2 shown]
	v_cndmask_b32_e32 v13, v13, v17, vcc
	v_lshlrev_b64 v[16:17], 3, v[15:16]
	v_mov_b32_e32 v22, s7
	v_add_co_u32_e32 v23, vcc, s5, v16
	v_addc_co_u32_e32 v17, vcc, v22, v17, vcc
	v_subrev_co_u32_e32 v15, vcc, s19, v15
	v_mov_b32_e32 v16, v19
	v_lshlrev_b64 v[15:16], 3, v[15:16]
	v_mov_b32_e32 v19, s8
	v_add_co_u32_e64 v15, s[0:1], s4, v15
	v_addc_co_u32_e64 v16, s[0:1], v19, v16, s[0:1]
	v_cndmask_b32_e32 v16, v16, v17, vcc
	v_cndmask_b32_e32 v15, v15, v23, vcc
	global_load_dwordx2 v[1:2], v[1:2], off
	s_add_i32 s17, s33, s19
	global_load_dwordx2 v[3:4], v[3:4], off
	s_nop 0
	global_load_dwordx2 v[5:6], v[5:6], off
	s_nop 0
	;; [unrolled: 2-line block ×6, first 2 shown]
	global_load_dwordx2 v[15:16], v[15:16], off
	s_cbranch_execz .LBB105_4
	s_branch .LBB105_21
.LBB105_3:
                                        ; implicit-def: $vgpr1_vgpr2_vgpr3_vgpr4_vgpr5_vgpr6_vgpr7_vgpr8_vgpr9_vgpr10_vgpr11_vgpr12_vgpr13_vgpr14_vgpr15_vgpr16
                                        ; implicit-def: $sgpr17
.LBB105_4:
	s_add_i32 s17, s33, s19
	s_waitcnt vmcnt(7)
	v_mov_b32_e32 v1, 0
	v_cmp_gt_u32_e32 vcc, s17, v0
	v_mov_b32_e32 v2, v1
	s_waitcnt vmcnt(6)
	v_mov_b32_e32 v3, v1
	v_mov_b32_e32 v4, v1
	s_waitcnt vmcnt(5)
	v_mov_b32_e32 v5, v1
	;; [unrolled: 3-line block ×7, first 2 shown]
	v_mov_b32_e32 v16, v1
	s_and_saveexec_b64 s[0:1], vcc
	s_cbranch_execz .LBB105_6
; %bb.5:
	v_mov_b32_e32 v2, s7
	v_add_co_u32_e32 v4, vcc, s5, v21
	v_subrev_u32_e32 v3, s19, v0
	v_addc_co_u32_e32 v2, vcc, 0, v2, vcc
	v_lshlrev_b32_e32 v3, 3, v3
	v_mov_b32_e32 v5, s8
	v_add_co_u32_e32 v6, vcc, s4, v3
	v_addc_co_u32_e32 v3, vcc, 0, v5, vcc
	v_cmp_gt_u32_e32 vcc, s19, v0
	v_cndmask_b32_e32 v3, v3, v2, vcc
	v_cndmask_b32_e32 v2, v6, v4, vcc
	global_load_dwordx2 v[2:3], v[2:3], off
	v_mov_b32_e32 v4, v1
	v_mov_b32_e32 v5, v1
	;; [unrolled: 1-line block ×14, first 2 shown]
	s_waitcnt vmcnt(0)
	v_mov_b32_e32 v1, v2
	v_mov_b32_e32 v2, v3
	;; [unrolled: 1-line block ×16, first 2 shown]
.LBB105_6:
	s_or_b64 exec, exec, s[0:1]
	v_cmp_gt_u32_e32 vcc, s17, v18
	s_and_saveexec_b64 s[2:3], vcc
	s_cbranch_execz .LBB105_8
; %bb.7:
	v_mov_b32_e32 v19, 0
	v_lshlrev_b64 v[3:4], 3, v[18:19]
	v_mov_b32_e32 v17, s7
	v_add_co_u32_e32 v22, vcc, s5, v3
	v_addc_co_u32_e32 v17, vcc, v17, v4, vcc
	v_subrev_co_u32_e32 v3, vcc, s19, v18
	v_mov_b32_e32 v4, v19
	v_lshlrev_b64 v[3:4], 3, v[3:4]
	v_mov_b32_e32 v19, s8
	v_add_co_u32_e64 v3, s[0:1], s4, v3
	v_addc_co_u32_e64 v4, s[0:1], v19, v4, s[0:1]
	v_cndmask_b32_e32 v4, v4, v17, vcc
	v_cndmask_b32_e32 v3, v3, v22, vcc
	global_load_dwordx2 v[3:4], v[3:4], off
.LBB105_8:
	s_or_b64 exec, exec, s[2:3]
	v_add_u32_e32 v17, v18, v20
	v_cmp_gt_u32_e32 vcc, s17, v17
	s_and_saveexec_b64 s[2:3], vcc
	s_cbranch_execz .LBB105_10
; %bb.9:
	v_mov_b32_e32 v18, 0
	v_lshlrev_b64 v[5:6], 3, v[17:18]
	v_mov_b32_e32 v19, s7
	v_add_co_u32_e32 v22, vcc, s5, v5
	v_addc_co_u32_e32 v19, vcc, v19, v6, vcc
	v_subrev_co_u32_e32 v5, vcc, s19, v17
	v_mov_b32_e32 v6, v18
	v_lshlrev_b64 v[5:6], 3, v[5:6]
	v_mov_b32_e32 v18, s8
	v_add_co_u32_e64 v5, s[0:1], s4, v5
	v_addc_co_u32_e64 v6, s[0:1], v18, v6, s[0:1]
	v_cndmask_b32_e32 v6, v6, v19, vcc
	v_cndmask_b32_e32 v5, v5, v22, vcc
	global_load_dwordx2 v[5:6], v[5:6], off
.LBB105_10:
	s_or_b64 exec, exec, s[2:3]
	v_add_u32_e32 v17, v17, v20
	;; [unrolled: 21-line block ×6, first 2 shown]
	v_cmp_gt_u32_e32 vcc, s17, v17
	s_and_saveexec_b64 s[2:3], vcc
	s_cbranch_execz .LBB105_20
; %bb.19:
	v_mov_b32_e32 v18, 0
	v_lshlrev_b64 v[15:16], 3, v[17:18]
	v_mov_b32_e32 v19, s7
	v_add_co_u32_e32 v20, vcc, s5, v15
	v_addc_co_u32_e32 v19, vcc, v19, v16, vcc
	v_subrev_co_u32_e32 v17, vcc, s19, v17
	v_lshlrev_b64 v[15:16], 3, v[17:18]
	v_mov_b32_e32 v17, s8
	v_add_co_u32_e64 v15, s[0:1], s4, v15
	v_addc_co_u32_e64 v16, s[0:1], v17, v16, s[0:1]
	v_cndmask_b32_e32 v16, v16, v19, vcc
	v_cndmask_b32_e32 v15, v15, v20, vcc
	global_load_dwordx2 v[15:16], v[15:16], off
.LBB105_20:
	s_or_b64 exec, exec, s[2:3]
.LBB105_21:
	v_min_u32_e32 v18, s17, v21
	v_sub_u32_e64 v17, v18, s33 clamp
	v_min_u32_e32 v19, s19, v18
	v_cmp_lt_u32_e32 vcc, v17, v19
	s_waitcnt vmcnt(0)
	ds_write2st64_b64 v21, v[1:2], v[3:4] offset1:2
	ds_write2st64_b64 v21, v[5:6], v[7:8] offset0:4 offset1:6
	ds_write2st64_b64 v21, v[9:10], v[11:12] offset0:8 offset1:10
	;; [unrolled: 1-line block ×3, first 2 shown]
	s_waitcnt lgkmcnt(0)
	s_barrier
	s_and_saveexec_b64 s[0:1], vcc
	s_cbranch_execz .LBB105_25
; %bb.22:
	v_lshlrev_b32_e32 v20, 3, v18
	v_lshl_add_u32 v20, s19, 3, v20
	s_mov_b64 s[2:3], 0
.LBB105_23:                             ; =>This Inner Loop Header: Depth=1
	v_add_u32_e32 v22, v19, v17
	v_lshrrev_b32_e32 v26, 1, v22
	v_not_b32_e32 v24, v26
	v_lshlrev_b32_e32 v22, 3, v26
	v_lshl_add_u32 v24, v24, 3, v20
	ds_read_b64 v[22:23], v22
	ds_read_b64 v[24:25], v24
	v_add_u32_e32 v27, 1, v26
	s_waitcnt lgkmcnt(1)
	v_and_b32_e32 v23, s21, v23
	v_and_b32_e32 v22, s20, v22
	s_waitcnt lgkmcnt(0)
	v_and_b32_e32 v25, s21, v25
	v_and_b32_e32 v24, s20, v24
	v_cmp_gt_i64_e32 vcc, v[24:25], v[22:23]
	v_cndmask_b32_e32 v19, v19, v26, vcc
	v_cndmask_b32_e32 v17, v27, v17, vcc
	v_cmp_ge_u32_e32 vcc, v17, v19
	s_or_b64 s[2:3], vcc, s[2:3]
	s_andn2_b64 exec, exec, s[2:3]
	s_cbranch_execnz .LBB105_23
; %bb.24:
	s_or_b64 exec, exec, s[2:3]
.LBB105_25:
	s_or_b64 exec, exec, s[0:1]
	v_sub_u32_e32 v18, v18, v17
	v_add_u32_e32 v18, s19, v18
	v_cmp_ge_u32_e32 vcc, s19, v17
	v_cmp_ge_u32_e64 s[0:1], s17, v18
	s_or_b64 s[0:1], vcc, s[0:1]
	v_mov_b32_e32 v22, 0
	v_mov_b32_e32 v23, 0
	;; [unrolled: 1-line block ×8, first 2 shown]
	s_and_saveexec_b64 s[34:35], s[0:1]
	s_cbranch_execz .LBB105_31
; %bb.26:
	v_cmp_gt_u32_e32 vcc, s19, v17
                                        ; implicit-def: $vgpr1_vgpr2
	s_and_saveexec_b64 s[0:1], vcc
; %bb.27:
	v_lshlrev_b32_e32 v1, 3, v17
	ds_read_b64 v[1:2], v1
; %bb.28:
	s_or_b64 exec, exec, s[0:1]
	v_cmp_le_u32_e64 s[0:1], s17, v18
	v_cmp_gt_u32_e64 s[2:3], s17, v18
                                        ; implicit-def: $vgpr3_vgpr4
	s_and_saveexec_b64 s[4:5], s[2:3]
; %bb.29:
	v_lshlrev_b32_e32 v3, 3, v18
	ds_read_b64 v[3:4], v3
; %bb.30:
	s_or_b64 exec, exec, s[4:5]
	s_waitcnt lgkmcnt(0)
	v_and_b32_e32 v6, s21, v4
	v_and_b32_e32 v5, s20, v3
	;; [unrolled: 1-line block ×4, first 2 shown]
	v_cmp_le_i64_e64 s[2:3], v[5:6], v[7:8]
	v_mov_b32_e32 v15, s17
	s_and_b64 s[2:3], vcc, s[2:3]
	s_or_b64 vcc, s[0:1], s[2:3]
	v_mov_b32_e32 v16, s19
	v_cndmask_b32_e32 v22, v18, v17, vcc
	v_cndmask_b32_e32 v5, v15, v16, vcc
	v_add_u32_e32 v7, 1, v22
	v_add_u32_e32 v5, -1, v5
	v_min_u32_e32 v5, v7, v5
	v_lshlrev_b32_e32 v5, 3, v5
	ds_read_b64 v[5:6], v5
	v_cndmask_b32_e32 v13, v7, v18, vcc
	v_cndmask_b32_e32 v14, v17, v7, vcc
	v_cmp_gt_u32_e64 s[4:5], s19, v14
	v_cmp_le_u32_e64 s[0:1], s17, v13
	s_waitcnt lgkmcnt(0)
	v_cndmask_b32_e32 v9, v6, v4, vcc
	v_cndmask_b32_e32 v10, v5, v3, vcc
	;; [unrolled: 1-line block ×4, first 2 shown]
	v_and_b32_e32 v6, s21, v9
	v_and_b32_e32 v5, s20, v10
	;; [unrolled: 1-line block ×4, first 2 shown]
	v_cmp_le_i64_e64 s[2:3], v[5:6], v[7:8]
	v_cndmask_b32_e32 v2, v4, v2, vcc
	s_and_b64 s[2:3], s[4:5], s[2:3]
	s_or_b64 s[0:1], s[0:1], s[2:3]
	v_cndmask_b32_e64 v23, v13, v14, s[0:1]
	v_cndmask_b32_e64 v5, v15, v16, s[0:1]
	v_add_u32_e32 v7, 1, v23
	v_add_u32_e32 v5, -1, v5
	v_min_u32_e32 v5, v7, v5
	v_lshlrev_b32_e32 v5, 3, v5
	ds_read_b64 v[5:6], v5
	v_cndmask_b32_e64 v13, v7, v13, s[0:1]
	v_cndmask_b32_e64 v14, v14, v7, s[0:1]
	v_cmp_gt_u32_e64 s[6:7], s19, v14
	v_cmp_le_u32_e64 s[2:3], s17, v13
	s_waitcnt lgkmcnt(0)
	v_cndmask_b32_e64 v17, v6, v9, s[0:1]
	v_cndmask_b32_e64 v18, v5, v10, s[0:1]
	;; [unrolled: 1-line block ×4, first 2 shown]
	v_and_b32_e32 v6, s21, v17
	v_and_b32_e32 v5, s20, v18
	;; [unrolled: 1-line block ×4, first 2 shown]
	v_cmp_le_i64_e64 s[4:5], v[5:6], v[7:8]
	v_cndmask_b32_e32 v1, v3, v1, vcc
	s_and_b64 s[4:5], s[6:7], s[4:5]
	s_or_b64 s[2:3], s[2:3], s[4:5]
	v_cndmask_b32_e64 v24, v13, v14, s[2:3]
	v_cndmask_b32_e64 v5, v15, v16, s[2:3]
	v_add_u32_e32 v7, 1, v24
	v_add_u32_e32 v5, -1, v5
	v_min_u32_e32 v5, v7, v5
	v_lshlrev_b32_e32 v5, 3, v5
	ds_read_b64 v[5:6], v5
	v_cndmask_b32_e64 v13, v7, v13, s[2:3]
	v_cndmask_b32_e64 v14, v14, v7, s[2:3]
	v_cmp_gt_u32_e64 s[8:9], s19, v14
	v_cmp_le_u32_e64 s[4:5], s17, v13
	s_waitcnt lgkmcnt(0)
	v_cndmask_b32_e64 v28, v6, v17, s[2:3]
	v_cndmask_b32_e64 v29, v5, v18, s[2:3]
	;; [unrolled: 1-line block ×4, first 2 shown]
	v_and_b32_e32 v6, s21, v28
	v_and_b32_e32 v5, s20, v29
	;; [unrolled: 1-line block ×4, first 2 shown]
	v_cmp_le_i64_e64 s[6:7], v[5:6], v[7:8]
	s_and_b64 s[6:7], s[8:9], s[6:7]
	s_or_b64 s[4:5], s[4:5], s[6:7]
	v_cndmask_b32_e64 v25, v13, v14, s[4:5]
	v_cndmask_b32_e64 v5, v15, v16, s[4:5]
	v_add_u32_e32 v7, 1, v25
	v_add_u32_e32 v5, -1, v5
	v_min_u32_e32 v5, v7, v5
	v_lshlrev_b32_e32 v5, 3, v5
	ds_read_b64 v[5:6], v5
	v_cndmask_b32_e64 v14, v14, v7, s[4:5]
	v_cndmask_b32_e64 v13, v7, v13, s[4:5]
	v_cmp_gt_u32_e64 s[8:9], s19, v14
	v_cmp_le_u32_e32 vcc, s17, v13
	s_waitcnt lgkmcnt(0)
	v_cndmask_b32_e64 v32, v6, v28, s[4:5]
	v_cndmask_b32_e64 v33, v5, v29, s[4:5]
	;; [unrolled: 1-line block ×4, first 2 shown]
	v_and_b32_e32 v4, s21, v32
	v_and_b32_e32 v3, s20, v33
	;; [unrolled: 1-line block ×4, first 2 shown]
	v_cmp_le_i64_e64 s[6:7], v[3:4], v[5:6]
	v_cndmask_b32_e64 v6, v17, v19, s[2:3]
	s_and_b64 s[6:7], s[8:9], s[6:7]
	s_or_b64 vcc, vcc, s[6:7]
	v_cndmask_b32_e32 v26, v13, v14, vcc
	v_cndmask_b32_e32 v3, v15, v16, vcc
	v_add_u32_e32 v27, 1, v26
	v_add_u32_e32 v3, -1, v3
	v_min_u32_e32 v3, v27, v3
	v_lshlrev_b32_e32 v3, 3, v3
	ds_read_b64 v[7:8], v3
	v_cndmask_b32_e64 v5, v18, v20, s[2:3]
	v_cndmask_b32_e64 v4, v9, v11, s[0:1]
	;; [unrolled: 1-line block ×3, first 2 shown]
	v_cndmask_b32_e32 v14, v14, v27, vcc
	s_waitcnt lgkmcnt(0)
	v_cndmask_b32_e32 v17, v8, v32, vcc
	v_cndmask_b32_e32 v18, v7, v33, vcc
	;; [unrolled: 1-line block ×4, first 2 shown]
	v_and_b32_e32 v8, s21, v17
	v_and_b32_e32 v7, s20, v18
	;; [unrolled: 1-line block ×4, first 2 shown]
	v_cmp_le_i64_e64 s[2:3], v[7:8], v[9:10]
	v_cndmask_b32_e32 v13, v27, v13, vcc
	v_cmp_gt_u32_e64 s[6:7], s19, v14
	v_cmp_le_u32_e64 s[0:1], s17, v13
	s_and_b64 s[2:3], s[6:7], s[2:3]
	s_or_b64 s[0:1], s[0:1], s[2:3]
	v_cndmask_b32_e64 v27, v13, v14, s[0:1]
	v_cndmask_b32_e64 v7, v15, v16, s[0:1]
	v_add_u32_e32 v36, 1, v27
	v_add_u32_e32 v7, -1, v7
	v_min_u32_e32 v7, v36, v7
	v_lshlrev_b32_e32 v7, 3, v7
	ds_read_b64 v[11:12], v7
	v_cndmask_b32_e64 v8, v28, v30, s[4:5]
	v_cndmask_b32_e64 v7, v29, v31, s[4:5]
	v_cndmask_b32_e32 v10, v32, v34, vcc
	v_cndmask_b32_e32 v9, v33, v35, vcc
	s_waitcnt lgkmcnt(0)
	v_cndmask_b32_e64 v28, v12, v17, s[0:1]
	v_cndmask_b32_e64 v30, v11, v18, s[0:1]
	;; [unrolled: 1-line block ×6, first 2 shown]
	v_and_b32_e32 v12, s21, v28
	v_and_b32_e32 v11, s20, v30
	;; [unrolled: 1-line block ×4, first 2 shown]
	v_cmp_le_i64_e64 s[2:3], v[11:12], v[13:14]
	v_cmp_gt_u32_e64 s[4:5], s19, v34
	v_cmp_le_u32_e32 vcc, s17, v33
	s_and_b64 s[2:3], s[4:5], s[2:3]
	s_or_b64 vcc, vcc, s[2:3]
	v_cndmask_b32_e32 v29, v33, v34, vcc
	v_cndmask_b32_e32 v11, v15, v16, vcc
	v_add_u32_e32 v35, 1, v29
	v_add_u32_e32 v11, -1, v11
	v_min_u32_e32 v11, v35, v11
	v_lshlrev_b32_e32 v11, 3, v11
	ds_read_b64 v[15:16], v11
	v_cndmask_b32_e64 v12, v17, v19, s[0:1]
	v_cndmask_b32_e64 v11, v18, v20, s[0:1]
	v_cndmask_b32_e32 v14, v28, v31, vcc
	v_cndmask_b32_e32 v13, v30, v32, vcc
	s_waitcnt lgkmcnt(0)
	v_cndmask_b32_e32 v19, v16, v28, vcc
	v_cndmask_b32_e32 v20, v15, v30, vcc
	;; [unrolled: 1-line block ×4, first 2 shown]
	v_and_b32_e32 v16, s21, v19
	v_and_b32_e32 v15, s20, v20
	;; [unrolled: 1-line block ×4, first 2 shown]
	v_cndmask_b32_e32 v32, v34, v35, vcc
	v_cmp_le_i64_e64 s[0:1], v[15:16], v[17:18]
	v_cndmask_b32_e32 v28, v35, v33, vcc
	v_cmp_gt_u32_e64 s[2:3], s19, v32
	v_cmp_le_u32_e32 vcc, s17, v28
	s_and_b64 s[0:1], s[2:3], s[0:1]
	s_or_b64 vcc, vcc, s[0:1]
	v_cndmask_b32_e32 v28, v28, v32, vcc
	v_cndmask_b32_e32 v16, v19, v30, vcc
	v_cndmask_b32_e32 v15, v20, v31, vcc
.LBB105_31:
	s_or_b64 exec, exec, s[34:35]
	s_add_u32 s8, s12, s28
	s_addc_u32 s9, s13, s29
	s_add_u32 s6, s12, s30
	v_cndmask_b32_e64 v17, 0, 1, s[24:25]
	s_addc_u32 s7, s13, s31
	v_cmp_gt_u32_e64 s[4:5], s19, v0
	v_cmp_ne_u32_e64 s[0:1], 1, v17
	s_andn2_b64 vcc, exec, s[24:25]
	v_cmp_le_u32_e64 s[2:3], s19, v0
	s_barrier
	s_cbranch_vccnz .LBB105_33
; %bb.32:
	v_subrev_u32_e32 v17, s19, v0
	v_lshlrev_b32_e32 v17, 3, v17
	v_mov_b32_e32 v18, s7
	v_add_co_u32_e32 v17, vcc, s6, v17
	v_addc_co_u32_e32 v18, vcc, 0, v18, vcc
	v_mov_b32_e32 v19, s9
	v_add_co_u32_e32 v20, vcc, s8, v21
	v_addc_co_u32_e32 v19, vcc, 0, v19, vcc
	v_cndmask_b32_e64 v18, v18, v19, s[4:5]
	v_or_b32_e32 v19, 0x80, v0
	v_cndmask_b32_e64 v17, v17, v20, s[4:5]
	v_subrev_u32_e32 v20, s19, v19
	v_min_u32_e32 v20, v19, v20
	v_cmp_gt_u32_e32 vcc, s19, v19
	v_mov_b32_e32 v42, s6
	v_mov_b32_e32 v43, s8
	;; [unrolled: 1-line block ×4, first 2 shown]
	v_cndmask_b32_e32 v19, v42, v43, vcc
	v_lshlrev_b32_e32 v20, 3, v20
	v_cndmask_b32_e32 v30, v40, v41, vcc
	v_add_co_u32_e32 v19, vcc, v19, v20
	v_addc_co_u32_e32 v20, vcc, 0, v30, vcc
	v_or_b32_e32 v30, 0x100, v0
	v_subrev_u32_e32 v31, s19, v30
	v_min_u32_e32 v31, v30, v31
	v_cmp_gt_u32_e32 vcc, s19, v30
	v_cndmask_b32_e32 v30, v42, v43, vcc
	v_lshlrev_b32_e32 v31, 3, v31
	v_cndmask_b32_e32 v32, v40, v41, vcc
	v_add_co_u32_e32 v30, vcc, v30, v31
	v_addc_co_u32_e32 v31, vcc, 0, v32, vcc
	v_or_b32_e32 v32, 0x180, v0
	v_subrev_u32_e32 v33, s19, v32
	v_min_u32_e32 v33, v32, v33
	v_cmp_gt_u32_e32 vcc, s19, v32
	;; [unrolled: 9-line block ×5, first 2 shown]
	global_load_dwordx2 v[17:18], v[17:18], off
	v_cndmask_b32_e32 v38, v42, v43, vcc
	global_load_dwordx2 v[19:20], v[19:20], off
	v_lshlrev_b32_e32 v39, 3, v39
	global_load_dwordx2 v[30:31], v[30:31], off
	v_cndmask_b32_e32 v44, v40, v41, vcc
	global_load_dwordx2 v[32:33], v[32:33], off
	v_add_co_u32_e32 v38, vcc, v38, v39
	global_load_dwordx2 v[34:35], v[34:35], off
	v_addc_co_u32_e32 v39, vcc, 0, v44, vcc
	global_load_dwordx2 v[36:37], v[36:37], off
	s_nop 0
	global_load_dwordx2 v[38:39], v[38:39], off
	s_mov_b64 s[4:5], -1
	s_waitcnt vmcnt(5)
	ds_write2st64_b64 v21, v[17:18], v[19:20] offset1:2
	s_waitcnt vmcnt(3)
	ds_write2st64_b64 v21, v[30:31], v[32:33] offset0:4 offset1:6
	s_waitcnt vmcnt(1)
	ds_write2st64_b64 v21, v[34:35], v[36:37] offset0:8 offset1:10
	s_waitcnt vmcnt(0)
	ds_write_b64 v21, v[38:39] offset:6144
	v_or_b32_e32 v30, 0x380, v0
	v_subrev_u32_e32 v17, s19, v30
	v_cmp_gt_u32_e32 vcc, s19, v30
	v_min_u32_e32 v19, v30, v17
	v_cndmask_b32_e32 v18, v40, v41, vcc
	v_cndmask_b32_e32 v17, v42, v43, vcc
	s_cbranch_execz .LBB105_34
	s_branch .LBB105_65
.LBB105_33:
	s_mov_b64 s[4:5], 0
                                        ; implicit-def: $vgpr30
                                        ; implicit-def: $vgpr17_vgpr18
                                        ; implicit-def: $vgpr19
.LBB105_34:
	s_mov_b64 s[4:5], 0
                                        ; implicit-def: $vgpr17_vgpr18
	s_and_saveexec_b64 s[20:21], s[2:3]
	s_xor_b64 s[2:3], exec, s[20:21]
	s_cbranch_execnz .LBB105_104
; %bb.35:
	s_andn2_saveexec_b64 s[2:3], s[2:3]
	s_cbranch_execnz .LBB105_107
.LBB105_36:
	s_or_b64 exec, exec, s[2:3]
	s_and_saveexec_b64 s[2:3], s[4:5]
	s_cbranch_execz .LBB105_38
.LBB105_37:
	global_load_dwordx2 v[17:18], v[17:18], off
	s_waitcnt vmcnt(0)
	ds_write_b64 v21, v[17:18]
.LBB105_38:
	s_or_b64 exec, exec, s[2:3]
	v_or_b32_e32 v19, 0x80, v0
	v_mov_b32_e32 v17, s22
	v_cmp_le_u32_e32 vcc, s19, v19
	s_mov_b64 s[2:3], -1
	v_mov_b32_e32 v18, s23
	s_and_saveexec_b64 s[4:5], vcc
; %bb.39:
	v_subrev_u32_e32 v19, s19, v19
	v_cmp_gt_u32_e32 vcc, s33, v19
	v_mov_b32_e32 v17, s26
	v_mov_b32_e32 v18, s27
	s_orn2_b64 s[2:3], vcc, exec
; %bb.40:
	s_or_b64 exec, exec, s[4:5]
	s_and_saveexec_b64 s[4:5], s[2:3]
	s_cbranch_execz .LBB105_42
; %bb.41:
	v_lshlrev_b64 v[17:18], 3, v[17:18]
	v_mov_b32_e32 v20, s13
	v_add_co_u32_e32 v17, vcc, s12, v17
	v_addc_co_u32_e32 v18, vcc, v20, v18, vcc
	v_lshlrev_b32_e32 v19, 3, v19
	v_add_co_u32_e32 v17, vcc, v17, v19
	v_addc_co_u32_e32 v18, vcc, 0, v18, vcc
	global_load_dwordx2 v[17:18], v[17:18], off
	s_waitcnt vmcnt(0)
	ds_write_b64 v21, v[17:18] offset:1024
.LBB105_42:
	s_or_b64 exec, exec, s[4:5]
	v_or_b32_e32 v19, 0x100, v0
	v_mov_b32_e32 v17, s22
	v_cmp_le_u32_e32 vcc, s19, v19
	s_mov_b64 s[2:3], -1
	v_mov_b32_e32 v18, s23
	s_and_saveexec_b64 s[4:5], vcc
; %bb.43:
	v_subrev_u32_e32 v19, s19, v19
	v_cmp_gt_u32_e32 vcc, s33, v19
	v_mov_b32_e32 v17, s26
	v_mov_b32_e32 v18, s27
	s_orn2_b64 s[2:3], vcc, exec
; %bb.44:
	s_or_b64 exec, exec, s[4:5]
	s_and_saveexec_b64 s[4:5], s[2:3]
	s_cbranch_execz .LBB105_46
; %bb.45:
	v_lshlrev_b64 v[17:18], 3, v[17:18]
	v_mov_b32_e32 v20, s13
	v_add_co_u32_e32 v17, vcc, s12, v17
	v_addc_co_u32_e32 v18, vcc, v20, v18, vcc
	v_lshlrev_b32_e32 v19, 3, v19
	v_add_co_u32_e32 v17, vcc, v17, v19
	v_addc_co_u32_e32 v18, vcc, 0, v18, vcc
	global_load_dwordx2 v[17:18], v[17:18], off
	s_waitcnt vmcnt(0)
	ds_write_b64 v21, v[17:18] offset:2048
.LBB105_46:
	;; [unrolled: 29-line block ×6, first 2 shown]
	s_or_b64 exec, exec, s[4:5]
	v_or_b32_e32 v30, 0x380, v0
	v_mov_b32_e32 v18, s9
	v_cmp_le_u32_e32 vcc, s19, v30
	s_mov_b64 s[4:5], -1
	v_mov_b32_e32 v17, s8
	v_mov_b32_e32 v19, v30
	s_and_saveexec_b64 s[2:3], vcc
; %bb.63:
	v_subrev_u32_e32 v19, s19, v30
	v_cmp_gt_u32_e32 vcc, s33, v19
	v_mov_b32_e32 v18, s7
	v_mov_b32_e32 v17, s6
	s_orn2_b64 s[4:5], vcc, exec
; %bb.64:
	s_or_b64 exec, exec, s[2:3]
.LBB105_65:
	s_and_saveexec_b64 s[2:3], s[4:5]
	s_cbranch_execz .LBB105_67
; %bb.66:
	v_mov_b32_e32 v20, 0
	v_lshlrev_b64 v[19:20], 3, v[19:20]
	v_add_co_u32_e32 v17, vcc, v17, v19
	v_addc_co_u32_e32 v18, vcc, v18, v20, vcc
	global_load_dwordx2 v[17:18], v[17:18], off
	v_lshlrev_b32_e32 v19, 3, v30
	s_waitcnt vmcnt(0)
	ds_write_b64 v19, v[17:18]
.LBB105_67:
	s_or_b64 exec, exec, s[2:3]
	s_and_b64 vcc, exec, s[0:1]
	v_add_u32_e32 v17, s18, v21
	s_waitcnt lgkmcnt(0)
	s_barrier
	s_cbranch_vccnz .LBB105_69
; %bb.68:
	v_lshlrev_b32_e32 v30, 3, v22
	v_lshlrev_b32_e32 v32, 3, v23
	;; [unrolled: 1-line block ×7, first 2 shown]
	v_mov_b32_e32 v18, 0
	ds_read_b64 v[30:31], v30
	ds_read_b64 v[32:33], v32
	;; [unrolled: 1-line block ×7, first 2 shown]
	v_lshlrev_b64 v[19:20], 3, v[17:18]
	v_mov_b32_e32 v44, s15
	v_add_co_u32_e32 v19, vcc, s14, v19
	v_addc_co_u32_e32 v20, vcc, v44, v20, vcc
	s_mov_b64 s[0:1], -1
	s_waitcnt lgkmcnt(5)
	global_store_dwordx4 v[19:20], v[30:33], off
	s_waitcnt lgkmcnt(3)
	global_store_dwordx4 v[19:20], v[34:37], off offset:16
	s_waitcnt lgkmcnt(1)
	global_store_dwordx4 v[19:20], v[38:41], off offset:32
	s_waitcnt lgkmcnt(0)
	global_store_dwordx2 v[19:20], v[42:43], off offset:48
	s_cbranch_execz .LBB105_70
	s_branch .LBB105_87
.LBB105_69:
	s_mov_b64 s[0:1], 0
.LBB105_70:
	v_cmp_gt_u32_e32 vcc, s17, v21
	s_and_saveexec_b64 s[2:3], vcc
	s_cbranch_execz .LBB105_72
; %bb.71:
	v_lshlrev_b32_e32 v22, 3, v22
	v_mov_b32_e32 v18, 0
	ds_read_b64 v[30:31], v22
	v_lshlrev_b64 v[18:19], 3, v[17:18]
	v_mov_b32_e32 v20, s15
	v_add_co_u32_e32 v18, vcc, s14, v18
	v_addc_co_u32_e32 v19, vcc, v20, v19, vcc
	s_waitcnt lgkmcnt(0)
	global_store_dwordx2 v[18:19], v[30:31], off
.LBB105_72:
	s_or_b64 exec, exec, s[2:3]
	v_or_b32_e32 v18, 1, v21
	v_cmp_gt_u32_e32 vcc, s17, v18
	s_and_saveexec_b64 s[2:3], vcc
	s_cbranch_execz .LBB105_74
; %bb.73:
	v_lshlrev_b32_e32 v22, 3, v23
	v_mov_b32_e32 v18, 0
	ds_read_b64 v[22:23], v22
	v_lshlrev_b64 v[18:19], 3, v[17:18]
	v_mov_b32_e32 v20, s15
	v_add_co_u32_e32 v18, vcc, s14, v18
	v_addc_co_u32_e32 v19, vcc, v20, v19, vcc
	s_waitcnt lgkmcnt(0)
	global_store_dwordx2 v[18:19], v[22:23], off offset:8
.LBB105_74:
	s_or_b64 exec, exec, s[2:3]
	v_or_b32_e32 v18, 2, v21
	v_cmp_gt_u32_e32 vcc, s17, v18
	s_and_saveexec_b64 s[2:3], vcc
	s_cbranch_execz .LBB105_76
; %bb.75:
	v_lshlrev_b32_e32 v22, 3, v24
	v_mov_b32_e32 v18, 0
	ds_read_b64 v[22:23], v22
	v_lshlrev_b64 v[18:19], 3, v[17:18]
	v_mov_b32_e32 v20, s15
	v_add_co_u32_e32 v18, vcc, s14, v18
	v_addc_co_u32_e32 v19, vcc, v20, v19, vcc
	s_waitcnt lgkmcnt(0)
	global_store_dwordx2 v[18:19], v[22:23], off offset:16
.LBB105_76:
	;; [unrolled: 16-line block ×6, first 2 shown]
	s_or_b64 exec, exec, s[2:3]
	v_or_b32_e32 v18, 7, v21
	v_cmp_gt_u32_e32 vcc, s17, v18
	s_and_saveexec_b64 s[2:3], vcc
; %bb.85:
	v_mov_b32_e32 v18, 0
	s_or_b64 s[0:1], s[0:1], exec
; %bb.86:
	s_or_b64 exec, exec, s[2:3]
.LBB105_87:
	s_and_saveexec_b64 s[2:3], s[0:1]
	s_cbranch_execz .LBB105_89
; %bb.88:
	v_lshlrev_b32_e32 v19, 3, v28
	ds_read_b64 v[19:20], v19
	v_lshlrev_b64 v[17:18], 3, v[17:18]
	v_mov_b32_e32 v22, s15
	v_add_co_u32_e32 v17, vcc, s14, v17
	v_addc_co_u32_e32 v18, vcc, v22, v18, vcc
	s_waitcnt lgkmcnt(0)
	global_store_dwordx2 v[17:18], v[19:20], off offset:56
.LBB105_89:
	s_or_b64 exec, exec, s[2:3]
	v_lshrrev_b32_e32 v17, 2, v0
	v_lshlrev_b32_e32 v18, 3, v21
	v_lshl_add_u32 v18, v17, 3, v18
	s_waitcnt vmcnt(0)
	s_barrier
	s_barrier
	ds_write2_b64 v18, v[1:2], v[3:4] offset1:1
	ds_write2_b64 v18, v[5:6], v[7:8] offset0:2 offset1:3
	ds_write2_b64 v18, v[9:10], v[11:12] offset0:4 offset1:5
	;; [unrolled: 1-line block ×3, first 2 shown]
	v_and_b32_e32 v1, 24, v17
	v_or_b32_e32 v24, 0x80, v0
	v_add_u32_e32 v25, v1, v21
	v_lshrrev_b32_e32 v1, 2, v24
	v_and_b32_e32 v1, 56, v1
	v_or_b32_e32 v23, 0x100, v0
	v_add_u32_e32 v5, v1, v21
	v_lshrrev_b32_e32 v1, 2, v23
	;; [unrolled: 4-line block ×5, first 2 shown]
	v_and_b32_e32 v1, 0xb8, v1
	v_or_b32_e32 v18, 0x300, v0
	s_mov_b32 s19, 0
	v_add_u32_e32 v26, v1, v21
	v_lshrrev_b32_e32 v1, 2, v18
	s_lshl_b64 s[0:1], s[18:19], 3
	v_and_b32_e32 v1, 0xd8, v1
	v_or_b32_e32 v17, 0x380, v0
	s_add_u32 s0, s10, s0
	v_add_u32_e32 v27, v1, v21
	v_lshrrev_b32_e32 v1, 2, v17
	s_addc_u32 s1, s11, s1
	v_and_b32_e32 v1, 0xf8, v1
	v_add_u32_e32 v28, v1, v21
	v_mov_b32_e32 v2, s1
	v_add_co_u32_e32 v1, vcc, s0, v21
	v_addc_co_u32_e32 v2, vcc, 0, v2, vcc
	s_and_b64 vcc, exec, s[24:25]
	s_waitcnt lgkmcnt(0)
	s_cbranch_vccz .LBB105_91
; %bb.90:
	s_barrier
	ds_read_b64 v[9:10], v25
	ds_read_b64 v[11:12], v5 offset:1024
	ds_read_b64 v[13:14], v6 offset:2048
	;; [unrolled: 1-line block ×7, first 2 shown]
	s_waitcnt lgkmcnt(7)
	global_store_dwordx2 v[1:2], v[9:10], off
	s_waitcnt lgkmcnt(6)
	global_store_dwordx2 v[1:2], v[11:12], off offset:1024
	s_waitcnt lgkmcnt(5)
	global_store_dwordx2 v[1:2], v[13:14], off offset:2048
	s_waitcnt lgkmcnt(4)
	global_store_dwordx2 v[1:2], v[15:16], off offset:3072
	v_add_co_u32_e32 v9, vcc, 0x1000, v1
	v_addc_co_u32_e32 v10, vcc, 0, v2, vcc
	s_waitcnt lgkmcnt(3)
	global_store_dwordx2 v[9:10], v[29:30], off
	s_waitcnt lgkmcnt(2)
	global_store_dwordx2 v[9:10], v[31:32], off offset:1024
	s_waitcnt lgkmcnt(1)
	global_store_dwordx2 v[9:10], v[33:34], off offset:2048
	s_mov_b64 s[0:1], -1
	s_cbranch_execz .LBB105_92
	s_branch .LBB105_101
.LBB105_91:
	s_mov_b64 s[0:1], 0
                                        ; implicit-def: $vgpr3_vgpr4
.LBB105_92:
	s_waitcnt vmcnt(0) lgkmcnt(0)
	s_barrier
	ds_read_b64 v[15:16], v5 offset:1024
	ds_read_b64 v[13:14], v6 offset:2048
	;; [unrolled: 1-line block ×7, first 2 shown]
	s_sub_i32 s2, s16, s18
	v_cmp_gt_u32_e32 vcc, s2, v0
	s_and_saveexec_b64 s[0:1], vcc
	s_cbranch_execnz .LBB105_108
; %bb.93:
	s_or_b64 exec, exec, s[0:1]
	v_cmp_gt_u32_e32 vcc, s2, v24
	s_and_saveexec_b64 s[0:1], vcc
	s_cbranch_execnz .LBB105_109
.LBB105_94:
	s_or_b64 exec, exec, s[0:1]
	v_cmp_gt_u32_e32 vcc, s2, v23
	s_and_saveexec_b64 s[0:1], vcc
	s_cbranch_execnz .LBB105_110
.LBB105_95:
	s_or_b64 exec, exec, s[0:1]
	v_cmp_gt_u32_e32 vcc, s2, v22
	s_and_saveexec_b64 s[0:1], vcc
	s_cbranch_execnz .LBB105_111
.LBB105_96:
	s_or_b64 exec, exec, s[0:1]
	v_cmp_gt_u32_e32 vcc, s2, v20
	s_and_saveexec_b64 s[0:1], vcc
	s_cbranch_execnz .LBB105_112
.LBB105_97:
	s_or_b64 exec, exec, s[0:1]
	v_cmp_gt_u32_e32 vcc, s2, v19
	s_and_saveexec_b64 s[0:1], vcc
	s_cbranch_execnz .LBB105_113
.LBB105_98:
	s_or_b64 exec, exec, s[0:1]
	v_cmp_gt_u32_e32 vcc, s2, v18
	s_and_saveexec_b64 s[0:1], vcc
	s_cbranch_execz .LBB105_100
.LBB105_99:
	s_waitcnt lgkmcnt(2)
	v_add_co_u32_e32 v7, vcc, 0x1000, v1
	v_addc_co_u32_e32 v8, vcc, 0, v2, vcc
	s_waitcnt lgkmcnt(1)
	global_store_dwordx2 v[7:8], v[5:6], off offset:2048
.LBB105_100:
	s_or_b64 exec, exec, s[0:1]
	v_cmp_gt_u32_e64 s[0:1], s2, v17
.LBB105_101:
	s_and_saveexec_b64 s[2:3], s[0:1]
	s_cbranch_execz .LBB105_103
; %bb.102:
	v_add_co_u32_e32 v0, vcc, 0x1000, v1
	v_addc_co_u32_e32 v1, vcc, 0, v2, vcc
	s_waitcnt lgkmcnt(0)
	global_store_dwordx2 v[0:1], v[3:4], off offset:3072
.LBB105_103:
	s_endpgm
.LBB105_104:
	v_subrev_u32_e32 v19, s19, v0
	v_cmp_gt_u32_e32 vcc, s33, v19
                                        ; implicit-def: $vgpr17_vgpr18
	s_and_saveexec_b64 s[20:21], vcc
	s_xor_b64 s[20:21], exec, s[20:21]
; %bb.105:
	v_lshlrev_b32_e32 v17, 3, v19
	v_mov_b32_e32 v18, s7
	v_add_co_u32_e32 v17, vcc, s6, v17
	s_mov_b64 s[4:5], exec
	v_addc_co_u32_e32 v18, vcc, 0, v18, vcc
; %bb.106:
	s_or_b64 exec, exec, s[20:21]
	s_and_b64 s[4:5], s[4:5], exec
	s_andn2_saveexec_b64 s[2:3], s[2:3]
	s_cbranch_execz .LBB105_36
.LBB105_107:
	v_mov_b32_e32 v18, s9
	v_add_co_u32_e32 v17, vcc, s8, v21
	v_addc_co_u32_e32 v18, vcc, 0, v18, vcc
	s_or_b64 s[4:5], s[4:5], exec
	s_or_b64 exec, exec, s[2:3]
	s_and_saveexec_b64 s[2:3], s[4:5]
	s_cbranch_execnz .LBB105_37
	s_branch .LBB105_38
.LBB105_108:
	ds_read_b64 v[25:26], v25
	s_waitcnt lgkmcnt(0)
	global_store_dwordx2 v[1:2], v[25:26], off
	s_or_b64 exec, exec, s[0:1]
	v_cmp_gt_u32_e32 vcc, s2, v24
	s_and_saveexec_b64 s[0:1], vcc
	s_cbranch_execz .LBB105_94
.LBB105_109:
	s_waitcnt lgkmcnt(6)
	global_store_dwordx2 v[1:2], v[15:16], off offset:1024
	s_or_b64 exec, exec, s[0:1]
	v_cmp_gt_u32_e32 vcc, s2, v23
	s_and_saveexec_b64 s[0:1], vcc
	s_cbranch_execz .LBB105_95
.LBB105_110:
	s_waitcnt lgkmcnt(5)
	global_store_dwordx2 v[1:2], v[13:14], off offset:2048
	s_or_b64 exec, exec, s[0:1]
	v_cmp_gt_u32_e32 vcc, s2, v22
	s_and_saveexec_b64 s[0:1], vcc
	s_cbranch_execz .LBB105_96
.LBB105_111:
	s_waitcnt lgkmcnt(4)
	global_store_dwordx2 v[1:2], v[11:12], off offset:3072
	s_or_b64 exec, exec, s[0:1]
	v_cmp_gt_u32_e32 vcc, s2, v20
	s_and_saveexec_b64 s[0:1], vcc
	s_cbranch_execz .LBB105_97
.LBB105_112:
	s_waitcnt lgkmcnt(4)
	v_add_co_u32_e32 v11, vcc, 0x1000, v1
	v_addc_co_u32_e32 v12, vcc, 0, v2, vcc
	s_waitcnt lgkmcnt(3)
	global_store_dwordx2 v[11:12], v[9:10], off
	s_or_b64 exec, exec, s[0:1]
	v_cmp_gt_u32_e32 vcc, s2, v19
	s_and_saveexec_b64 s[0:1], vcc
	s_cbranch_execz .LBB105_98
.LBB105_113:
	s_waitcnt lgkmcnt(3)
	v_add_co_u32_e32 v9, vcc, 0x1000, v1
	v_addc_co_u32_e32 v10, vcc, 0, v2, vcc
	s_waitcnt lgkmcnt(2)
	global_store_dwordx2 v[9:10], v[7:8], off offset:1024
	s_or_b64 exec, exec, s[0:1]
	v_cmp_gt_u32_e32 vcc, s2, v18
	s_and_saveexec_b64 s[0:1], vcc
	s_cbranch_execnz .LBB105_99
	s_branch .LBB105_100
	.section	.rodata,"a",@progbits
	.p2align	6, 0x0
	.amdhsa_kernel _ZN7rocprim17ROCPRIM_304000_NS6detail35device_block_merge_mergepath_kernelINS1_37wrapped_merge_sort_block_merge_configINS0_14default_configElN2at4cuda3cub6detail10OpaqueTypeILi8EEEEEPlSC_PSA_SD_jNS1_19radix_merge_compareILb1ELb1ElNS0_19identity_decomposerEEEEEvT0_T1_T2_T3_T4_SL_jT5_PKSL_NS1_7vsmem_tE
		.amdhsa_group_segment_fixed_size 8448
		.amdhsa_private_segment_fixed_size 0
		.amdhsa_kernarg_size 328
		.amdhsa_user_sgpr_count 6
		.amdhsa_user_sgpr_private_segment_buffer 1
		.amdhsa_user_sgpr_dispatch_ptr 0
		.amdhsa_user_sgpr_queue_ptr 0
		.amdhsa_user_sgpr_kernarg_segment_ptr 1
		.amdhsa_user_sgpr_dispatch_id 0
		.amdhsa_user_sgpr_flat_scratch_init 0
		.amdhsa_user_sgpr_private_segment_size 0
		.amdhsa_uses_dynamic_stack 0
		.amdhsa_system_sgpr_private_segment_wavefront_offset 0
		.amdhsa_system_sgpr_workgroup_id_x 1
		.amdhsa_system_sgpr_workgroup_id_y 1
		.amdhsa_system_sgpr_workgroup_id_z 1
		.amdhsa_system_sgpr_workgroup_info 0
		.amdhsa_system_vgpr_workitem_id 0
		.amdhsa_next_free_vgpr 49
		.amdhsa_next_free_sgpr 98
		.amdhsa_reserve_vcc 1
		.amdhsa_reserve_flat_scratch 0
		.amdhsa_float_round_mode_32 0
		.amdhsa_float_round_mode_16_64 0
		.amdhsa_float_denorm_mode_32 3
		.amdhsa_float_denorm_mode_16_64 3
		.amdhsa_dx10_clamp 1
		.amdhsa_ieee_mode 1
		.amdhsa_fp16_overflow 0
		.amdhsa_exception_fp_ieee_invalid_op 0
		.amdhsa_exception_fp_denorm_src 0
		.amdhsa_exception_fp_ieee_div_zero 0
		.amdhsa_exception_fp_ieee_overflow 0
		.amdhsa_exception_fp_ieee_underflow 0
		.amdhsa_exception_fp_ieee_inexact 0
		.amdhsa_exception_int_div_zero 0
	.end_amdhsa_kernel
	.section	.text._ZN7rocprim17ROCPRIM_304000_NS6detail35device_block_merge_mergepath_kernelINS1_37wrapped_merge_sort_block_merge_configINS0_14default_configElN2at4cuda3cub6detail10OpaqueTypeILi8EEEEEPlSC_PSA_SD_jNS1_19radix_merge_compareILb1ELb1ElNS0_19identity_decomposerEEEEEvT0_T1_T2_T3_T4_SL_jT5_PKSL_NS1_7vsmem_tE,"axG",@progbits,_ZN7rocprim17ROCPRIM_304000_NS6detail35device_block_merge_mergepath_kernelINS1_37wrapped_merge_sort_block_merge_configINS0_14default_configElN2at4cuda3cub6detail10OpaqueTypeILi8EEEEEPlSC_PSA_SD_jNS1_19radix_merge_compareILb1ELb1ElNS0_19identity_decomposerEEEEEvT0_T1_T2_T3_T4_SL_jT5_PKSL_NS1_7vsmem_tE,comdat
.Lfunc_end105:
	.size	_ZN7rocprim17ROCPRIM_304000_NS6detail35device_block_merge_mergepath_kernelINS1_37wrapped_merge_sort_block_merge_configINS0_14default_configElN2at4cuda3cub6detail10OpaqueTypeILi8EEEEEPlSC_PSA_SD_jNS1_19radix_merge_compareILb1ELb1ElNS0_19identity_decomposerEEEEEvT0_T1_T2_T3_T4_SL_jT5_PKSL_NS1_7vsmem_tE, .Lfunc_end105-_ZN7rocprim17ROCPRIM_304000_NS6detail35device_block_merge_mergepath_kernelINS1_37wrapped_merge_sort_block_merge_configINS0_14default_configElN2at4cuda3cub6detail10OpaqueTypeILi8EEEEEPlSC_PSA_SD_jNS1_19radix_merge_compareILb1ELb1ElNS0_19identity_decomposerEEEEEvT0_T1_T2_T3_T4_SL_jT5_PKSL_NS1_7vsmem_tE
                                        ; -- End function
	.set _ZN7rocprim17ROCPRIM_304000_NS6detail35device_block_merge_mergepath_kernelINS1_37wrapped_merge_sort_block_merge_configINS0_14default_configElN2at4cuda3cub6detail10OpaqueTypeILi8EEEEEPlSC_PSA_SD_jNS1_19radix_merge_compareILb1ELb1ElNS0_19identity_decomposerEEEEEvT0_T1_T2_T3_T4_SL_jT5_PKSL_NS1_7vsmem_tE.num_vgpr, 45
	.set _ZN7rocprim17ROCPRIM_304000_NS6detail35device_block_merge_mergepath_kernelINS1_37wrapped_merge_sort_block_merge_configINS0_14default_configElN2at4cuda3cub6detail10OpaqueTypeILi8EEEEEPlSC_PSA_SD_jNS1_19radix_merge_compareILb1ELb1ElNS0_19identity_decomposerEEEEEvT0_T1_T2_T3_T4_SL_jT5_PKSL_NS1_7vsmem_tE.num_agpr, 0
	.set _ZN7rocprim17ROCPRIM_304000_NS6detail35device_block_merge_mergepath_kernelINS1_37wrapped_merge_sort_block_merge_configINS0_14default_configElN2at4cuda3cub6detail10OpaqueTypeILi8EEEEEPlSC_PSA_SD_jNS1_19radix_merge_compareILb1ELb1ElNS0_19identity_decomposerEEEEEvT0_T1_T2_T3_T4_SL_jT5_PKSL_NS1_7vsmem_tE.numbered_sgpr, 36
	.set _ZN7rocprim17ROCPRIM_304000_NS6detail35device_block_merge_mergepath_kernelINS1_37wrapped_merge_sort_block_merge_configINS0_14default_configElN2at4cuda3cub6detail10OpaqueTypeILi8EEEEEPlSC_PSA_SD_jNS1_19radix_merge_compareILb1ELb1ElNS0_19identity_decomposerEEEEEvT0_T1_T2_T3_T4_SL_jT5_PKSL_NS1_7vsmem_tE.num_named_barrier, 0
	.set _ZN7rocprim17ROCPRIM_304000_NS6detail35device_block_merge_mergepath_kernelINS1_37wrapped_merge_sort_block_merge_configINS0_14default_configElN2at4cuda3cub6detail10OpaqueTypeILi8EEEEEPlSC_PSA_SD_jNS1_19radix_merge_compareILb1ELb1ElNS0_19identity_decomposerEEEEEvT0_T1_T2_T3_T4_SL_jT5_PKSL_NS1_7vsmem_tE.private_seg_size, 0
	.set _ZN7rocprim17ROCPRIM_304000_NS6detail35device_block_merge_mergepath_kernelINS1_37wrapped_merge_sort_block_merge_configINS0_14default_configElN2at4cuda3cub6detail10OpaqueTypeILi8EEEEEPlSC_PSA_SD_jNS1_19radix_merge_compareILb1ELb1ElNS0_19identity_decomposerEEEEEvT0_T1_T2_T3_T4_SL_jT5_PKSL_NS1_7vsmem_tE.uses_vcc, 1
	.set _ZN7rocprim17ROCPRIM_304000_NS6detail35device_block_merge_mergepath_kernelINS1_37wrapped_merge_sort_block_merge_configINS0_14default_configElN2at4cuda3cub6detail10OpaqueTypeILi8EEEEEPlSC_PSA_SD_jNS1_19radix_merge_compareILb1ELb1ElNS0_19identity_decomposerEEEEEvT0_T1_T2_T3_T4_SL_jT5_PKSL_NS1_7vsmem_tE.uses_flat_scratch, 0
	.set _ZN7rocprim17ROCPRIM_304000_NS6detail35device_block_merge_mergepath_kernelINS1_37wrapped_merge_sort_block_merge_configINS0_14default_configElN2at4cuda3cub6detail10OpaqueTypeILi8EEEEEPlSC_PSA_SD_jNS1_19radix_merge_compareILb1ELb1ElNS0_19identity_decomposerEEEEEvT0_T1_T2_T3_T4_SL_jT5_PKSL_NS1_7vsmem_tE.has_dyn_sized_stack, 0
	.set _ZN7rocprim17ROCPRIM_304000_NS6detail35device_block_merge_mergepath_kernelINS1_37wrapped_merge_sort_block_merge_configINS0_14default_configElN2at4cuda3cub6detail10OpaqueTypeILi8EEEEEPlSC_PSA_SD_jNS1_19radix_merge_compareILb1ELb1ElNS0_19identity_decomposerEEEEEvT0_T1_T2_T3_T4_SL_jT5_PKSL_NS1_7vsmem_tE.has_recursion, 0
	.set _ZN7rocprim17ROCPRIM_304000_NS6detail35device_block_merge_mergepath_kernelINS1_37wrapped_merge_sort_block_merge_configINS0_14default_configElN2at4cuda3cub6detail10OpaqueTypeILi8EEEEEPlSC_PSA_SD_jNS1_19radix_merge_compareILb1ELb1ElNS0_19identity_decomposerEEEEEvT0_T1_T2_T3_T4_SL_jT5_PKSL_NS1_7vsmem_tE.has_indirect_call, 0
	.section	.AMDGPU.csdata,"",@progbits
; Kernel info:
; codeLenInByte = 6412
; TotalNumSgprs: 40
; NumVgprs: 45
; ScratchSize: 0
; MemoryBound: 1
; FloatMode: 240
; IeeeMode: 1
; LDSByteSize: 8448 bytes/workgroup (compile time only)
; SGPRBlocks: 12
; VGPRBlocks: 12
; NumSGPRsForWavesPerEU: 102
; NumVGPRsForWavesPerEU: 49
; Occupancy: 4
; WaveLimiterHint : 1
; COMPUTE_PGM_RSRC2:SCRATCH_EN: 0
; COMPUTE_PGM_RSRC2:USER_SGPR: 6
; COMPUTE_PGM_RSRC2:TRAP_HANDLER: 0
; COMPUTE_PGM_RSRC2:TGID_X_EN: 1
; COMPUTE_PGM_RSRC2:TGID_Y_EN: 1
; COMPUTE_PGM_RSRC2:TGID_Z_EN: 1
; COMPUTE_PGM_RSRC2:TIDIG_COMP_CNT: 0
	.section	.text._ZN7rocprim17ROCPRIM_304000_NS6detail33device_block_merge_oddeven_kernelINS1_37wrapped_merge_sort_block_merge_configINS0_14default_configElN2at4cuda3cub6detail10OpaqueTypeILi8EEEEEPlSC_PSA_SD_jNS1_19radix_merge_compareILb1ELb1ElNS0_19identity_decomposerEEEEEvT0_T1_T2_T3_T4_SL_T5_,"axG",@progbits,_ZN7rocprim17ROCPRIM_304000_NS6detail33device_block_merge_oddeven_kernelINS1_37wrapped_merge_sort_block_merge_configINS0_14default_configElN2at4cuda3cub6detail10OpaqueTypeILi8EEEEEPlSC_PSA_SD_jNS1_19radix_merge_compareILb1ELb1ElNS0_19identity_decomposerEEEEEvT0_T1_T2_T3_T4_SL_T5_,comdat
	.protected	_ZN7rocprim17ROCPRIM_304000_NS6detail33device_block_merge_oddeven_kernelINS1_37wrapped_merge_sort_block_merge_configINS0_14default_configElN2at4cuda3cub6detail10OpaqueTypeILi8EEEEEPlSC_PSA_SD_jNS1_19radix_merge_compareILb1ELb1ElNS0_19identity_decomposerEEEEEvT0_T1_T2_T3_T4_SL_T5_ ; -- Begin function _ZN7rocprim17ROCPRIM_304000_NS6detail33device_block_merge_oddeven_kernelINS1_37wrapped_merge_sort_block_merge_configINS0_14default_configElN2at4cuda3cub6detail10OpaqueTypeILi8EEEEEPlSC_PSA_SD_jNS1_19radix_merge_compareILb1ELb1ElNS0_19identity_decomposerEEEEEvT0_T1_T2_T3_T4_SL_T5_
	.globl	_ZN7rocprim17ROCPRIM_304000_NS6detail33device_block_merge_oddeven_kernelINS1_37wrapped_merge_sort_block_merge_configINS0_14default_configElN2at4cuda3cub6detail10OpaqueTypeILi8EEEEEPlSC_PSA_SD_jNS1_19radix_merge_compareILb1ELb1ElNS0_19identity_decomposerEEEEEvT0_T1_T2_T3_T4_SL_T5_
	.p2align	8
	.type	_ZN7rocprim17ROCPRIM_304000_NS6detail33device_block_merge_oddeven_kernelINS1_37wrapped_merge_sort_block_merge_configINS0_14default_configElN2at4cuda3cub6detail10OpaqueTypeILi8EEEEEPlSC_PSA_SD_jNS1_19radix_merge_compareILb1ELb1ElNS0_19identity_decomposerEEEEEvT0_T1_T2_T3_T4_SL_T5_,@function
_ZN7rocprim17ROCPRIM_304000_NS6detail33device_block_merge_oddeven_kernelINS1_37wrapped_merge_sort_block_merge_configINS0_14default_configElN2at4cuda3cub6detail10OpaqueTypeILi8EEEEEPlSC_PSA_SD_jNS1_19radix_merge_compareILb1ELb1ElNS0_19identity_decomposerEEEEEvT0_T1_T2_T3_T4_SL_T5_: ; @_ZN7rocprim17ROCPRIM_304000_NS6detail33device_block_merge_oddeven_kernelINS1_37wrapped_merge_sort_block_merge_configINS0_14default_configElN2at4cuda3cub6detail10OpaqueTypeILi8EEEEEPlSC_PSA_SD_jNS1_19radix_merge_compareILb1ELb1ElNS0_19identity_decomposerEEEEEvT0_T1_T2_T3_T4_SL_T5_
; %bb.0:
	s_load_dwordx2 s[18:19], s[4:5], 0x20
	s_waitcnt lgkmcnt(0)
	s_lshr_b32 s0, s18, 8
	s_cmp_eq_u32 s6, s0
	s_cselect_b64 s[16:17], -1, 0
	s_cmp_lg_u32 s6, s0
	s_cselect_b64 s[0:1], -1, 0
	s_lshl_b32 s20, s6, 8
	s_sub_i32 s2, s18, s20
	v_cmp_gt_u32_e64 s[2:3], s2, v0
	s_or_b64 s[0:1], s[0:1], s[2:3]
	s_and_saveexec_b64 s[8:9], s[0:1]
	s_cbranch_execz .LBB106_24
; %bb.1:
	s_load_dwordx8 s[8:15], s[4:5], 0x0
	s_mov_b32 s21, 0
	s_lshl_b64 s[0:1], s[20:21], 3
	v_lshlrev_b32_e32 v5, 3, v0
	s_waitcnt lgkmcnt(0)
	s_add_u32 s22, s8, s0
	s_addc_u32 s23, s9, s1
	s_add_u32 s0, s12, s0
	s_addc_u32 s1, s13, s1
	global_load_dwordx2 v[1:2], v5, s[0:1]
	global_load_dwordx2 v[3:4], v5, s[22:23]
	s_lshr_b32 s0, s19, 8
	s_sub_i32 s1, 0, s0
	s_and_b32 s1, s6, s1
	s_and_b32 s0, s1, s0
	s_lshl_b32 s21, s1, 8
	s_sub_i32 s12, 0, s19
	s_cmp_eq_u32 s0, 0
	s_cselect_b64 s[0:1], -1, 0
	s_and_b64 s[6:7], s[0:1], exec
	s_cselect_b32 s12, s19, s12
	s_add_i32 s12, s12, s21
	s_mov_b64 s[6:7], -1
	s_cmp_gt_u32 s18, s12
	v_add_u32_e32 v5, s20, v0
	s_cbranch_scc1 .LBB106_9
; %bb.2:
	s_and_b64 vcc, exec, s[16:17]
	s_cbranch_vccz .LBB106_6
; %bb.3:
	v_cmp_gt_u32_e32 vcc, s18, v5
	s_and_saveexec_b64 s[6:7], vcc
	s_cbranch_execz .LBB106_5
; %bb.4:
	v_mov_b32_e32 v6, 0
	v_lshlrev_b64 v[6:7], 3, v[5:6]
	v_mov_b32_e32 v0, s15
	v_add_co_u32_e32 v8, vcc, s14, v6
	v_addc_co_u32_e32 v9, vcc, v0, v7, vcc
	v_mov_b32_e32 v0, s11
	v_add_co_u32_e32 v6, vcc, s10, v6
	v_addc_co_u32_e32 v7, vcc, v0, v7, vcc
	s_waitcnt vmcnt(0)
	global_store_dwordx2 v[6:7], v[3:4], off
	global_store_dwordx2 v[8:9], v[1:2], off
.LBB106_5:
	s_or_b64 exec, exec, s[6:7]
	s_mov_b64 s[6:7], 0
.LBB106_6:
	s_andn2_b64 vcc, exec, s[6:7]
	s_cbranch_vccnz .LBB106_8
; %bb.7:
	v_mov_b32_e32 v6, 0
	v_lshlrev_b64 v[6:7], 3, v[5:6]
	v_mov_b32_e32 v0, s11
	v_add_co_u32_e32 v8, vcc, s10, v6
	v_addc_co_u32_e32 v9, vcc, v0, v7, vcc
	v_mov_b32_e32 v0, s15
	v_add_co_u32_e32 v6, vcc, s14, v6
	v_addc_co_u32_e32 v7, vcc, v0, v7, vcc
	s_waitcnt vmcnt(0)
	global_store_dwordx2 v[8:9], v[3:4], off
	global_store_dwordx2 v[6:7], v[1:2], off
.LBB106_8:
	s_mov_b64 s[6:7], 0
.LBB106_9:
	s_andn2_b64 vcc, exec, s[6:7]
	s_cbranch_vccnz .LBB106_24
; %bb.10:
	s_load_dwordx2 s[4:5], s[4:5], 0x28
	s_min_u32 s13, s12, s18
	s_add_i32 s6, s13, s19
	s_min_u32 s18, s6, s18
	s_min_u32 s6, s21, s13
	s_add_i32 s21, s21, s13
	v_subrev_u32_e32 v0, s21, v5
	v_add_u32_e32 v0, s6, v0
	s_waitcnt vmcnt(0) lgkmcnt(0)
	v_and_b32_e32 v6, s5, v4
	v_and_b32_e32 v5, s4, v3
	s_mov_b64 s[6:7], -1
	s_and_b64 vcc, exec, s[16:17]
	s_cbranch_vccz .LBB106_18
; %bb.11:
	s_and_saveexec_b64 s[6:7], s[2:3]
	s_cbranch_execz .LBB106_17
; %bb.12:
	s_cmp_ge_u32 s12, s18
	v_mov_b32_e32 v9, s13
	s_cbranch_scc1 .LBB106_16
; %bb.13:
	s_mov_b64 s[2:3], 0
	v_mov_b32_e32 v10, s18
	v_mov_b32_e32 v9, s13
	;; [unrolled: 1-line block ×4, first 2 shown]
.LBB106_14:                             ; =>This Inner Loop Header: Depth=1
	v_add_u32_e32 v7, v9, v10
	v_lshrrev_b32_e32 v7, 1, v7
	v_lshlrev_b64 v[12:13], 3, v[7:8]
	v_add_u32_e32 v14, 1, v7
	v_add_co_u32_e32 v12, vcc, s8, v12
	v_addc_co_u32_e32 v13, vcc, v11, v13, vcc
	global_load_dwordx2 v[12:13], v[12:13], off
	s_waitcnt vmcnt(0)
	v_and_b32_e32 v13, s5, v13
	v_and_b32_e32 v12, s4, v12
	v_cmp_gt_i64_e32 vcc, v[12:13], v[5:6]
	v_cndmask_b32_e64 v15, 0, 1, vcc
	v_cmp_le_i64_e32 vcc, v[5:6], v[12:13]
	v_cndmask_b32_e64 v12, 0, 1, vcc
	v_cndmask_b32_e64 v12, v12, v15, s[0:1]
	v_and_b32_e32 v12, 1, v12
	v_cmp_eq_u32_e32 vcc, 1, v12
	v_cndmask_b32_e32 v10, v7, v10, vcc
	v_cndmask_b32_e32 v9, v9, v14, vcc
	v_cmp_ge_u32_e32 vcc, v9, v10
	s_or_b64 s[2:3], vcc, s[2:3]
	s_andn2_b64 exec, exec, s[2:3]
	s_cbranch_execnz .LBB106_14
; %bb.15:
	s_or_b64 exec, exec, s[2:3]
.LBB106_16:
	v_add_u32_e32 v7, v9, v0
	v_mov_b32_e32 v8, 0
	v_lshlrev_b64 v[7:8], 3, v[7:8]
	v_mov_b32_e32 v10, s11
	v_add_co_u32_e32 v9, vcc, s10, v7
	v_addc_co_u32_e32 v10, vcc, v10, v8, vcc
	global_store_dwordx2 v[9:10], v[3:4], off
	v_mov_b32_e32 v9, s15
	v_add_co_u32_e32 v7, vcc, s14, v7
	v_addc_co_u32_e32 v8, vcc, v9, v8, vcc
	global_store_dwordx2 v[7:8], v[1:2], off
.LBB106_17:
	s_or_b64 exec, exec, s[6:7]
	s_mov_b64 s[6:7], 0
.LBB106_18:
	s_andn2_b64 vcc, exec, s[6:7]
	s_cbranch_vccnz .LBB106_24
; %bb.19:
	s_cmp_ge_u32 s12, s18
	v_mov_b32_e32 v9, s13
	s_cbranch_scc1 .LBB106_23
; %bb.20:
	s_mov_b64 s[2:3], 0
	v_mov_b32_e32 v10, s18
	v_mov_b32_e32 v9, s13
	;; [unrolled: 1-line block ×4, first 2 shown]
.LBB106_21:                             ; =>This Inner Loop Header: Depth=1
	v_add_u32_e32 v7, v9, v10
	v_lshrrev_b32_e32 v7, 1, v7
	v_lshlrev_b64 v[12:13], 3, v[7:8]
	v_add_u32_e32 v14, 1, v7
	v_add_co_u32_e32 v12, vcc, s8, v12
	v_addc_co_u32_e32 v13, vcc, v11, v13, vcc
	global_load_dwordx2 v[12:13], v[12:13], off
	s_waitcnt vmcnt(0)
	v_and_b32_e32 v13, s5, v13
	v_and_b32_e32 v12, s4, v12
	v_cmp_gt_i64_e32 vcc, v[12:13], v[5:6]
	v_cndmask_b32_e64 v15, 0, 1, vcc
	v_cmp_le_i64_e32 vcc, v[5:6], v[12:13]
	v_cndmask_b32_e64 v12, 0, 1, vcc
	v_cndmask_b32_e64 v12, v12, v15, s[0:1]
	v_and_b32_e32 v12, 1, v12
	v_cmp_eq_u32_e32 vcc, 1, v12
	v_cndmask_b32_e32 v10, v7, v10, vcc
	v_cndmask_b32_e32 v9, v9, v14, vcc
	v_cmp_ge_u32_e32 vcc, v9, v10
	s_or_b64 s[2:3], vcc, s[2:3]
	s_andn2_b64 exec, exec, s[2:3]
	s_cbranch_execnz .LBB106_21
; %bb.22:
	s_or_b64 exec, exec, s[2:3]
.LBB106_23:
	v_add_u32_e32 v5, v9, v0
	v_mov_b32_e32 v6, 0
	v_lshlrev_b64 v[5:6], 3, v[5:6]
	v_mov_b32_e32 v0, s11
	v_add_co_u32_e32 v7, vcc, s10, v5
	v_addc_co_u32_e32 v8, vcc, v0, v6, vcc
	global_store_dwordx2 v[7:8], v[3:4], off
	v_mov_b32_e32 v0, s15
	v_add_co_u32_e32 v3, vcc, s14, v5
	v_addc_co_u32_e32 v4, vcc, v0, v6, vcc
	global_store_dwordx2 v[3:4], v[1:2], off
.LBB106_24:
	s_endpgm
	.section	.rodata,"a",@progbits
	.p2align	6, 0x0
	.amdhsa_kernel _ZN7rocprim17ROCPRIM_304000_NS6detail33device_block_merge_oddeven_kernelINS1_37wrapped_merge_sort_block_merge_configINS0_14default_configElN2at4cuda3cub6detail10OpaqueTypeILi8EEEEEPlSC_PSA_SD_jNS1_19radix_merge_compareILb1ELb1ElNS0_19identity_decomposerEEEEEvT0_T1_T2_T3_T4_SL_T5_
		.amdhsa_group_segment_fixed_size 0
		.amdhsa_private_segment_fixed_size 0
		.amdhsa_kernarg_size 48
		.amdhsa_user_sgpr_count 6
		.amdhsa_user_sgpr_private_segment_buffer 1
		.amdhsa_user_sgpr_dispatch_ptr 0
		.amdhsa_user_sgpr_queue_ptr 0
		.amdhsa_user_sgpr_kernarg_segment_ptr 1
		.amdhsa_user_sgpr_dispatch_id 0
		.amdhsa_user_sgpr_flat_scratch_init 0
		.amdhsa_user_sgpr_private_segment_size 0
		.amdhsa_uses_dynamic_stack 0
		.amdhsa_system_sgpr_private_segment_wavefront_offset 0
		.amdhsa_system_sgpr_workgroup_id_x 1
		.amdhsa_system_sgpr_workgroup_id_y 0
		.amdhsa_system_sgpr_workgroup_id_z 0
		.amdhsa_system_sgpr_workgroup_info 0
		.amdhsa_system_vgpr_workitem_id 0
		.amdhsa_next_free_vgpr 16
		.amdhsa_next_free_sgpr 24
		.amdhsa_reserve_vcc 1
		.amdhsa_reserve_flat_scratch 0
		.amdhsa_float_round_mode_32 0
		.amdhsa_float_round_mode_16_64 0
		.amdhsa_float_denorm_mode_32 3
		.amdhsa_float_denorm_mode_16_64 3
		.amdhsa_dx10_clamp 1
		.amdhsa_ieee_mode 1
		.amdhsa_fp16_overflow 0
		.amdhsa_exception_fp_ieee_invalid_op 0
		.amdhsa_exception_fp_denorm_src 0
		.amdhsa_exception_fp_ieee_div_zero 0
		.amdhsa_exception_fp_ieee_overflow 0
		.amdhsa_exception_fp_ieee_underflow 0
		.amdhsa_exception_fp_ieee_inexact 0
		.amdhsa_exception_int_div_zero 0
	.end_amdhsa_kernel
	.section	.text._ZN7rocprim17ROCPRIM_304000_NS6detail33device_block_merge_oddeven_kernelINS1_37wrapped_merge_sort_block_merge_configINS0_14default_configElN2at4cuda3cub6detail10OpaqueTypeILi8EEEEEPlSC_PSA_SD_jNS1_19radix_merge_compareILb1ELb1ElNS0_19identity_decomposerEEEEEvT0_T1_T2_T3_T4_SL_T5_,"axG",@progbits,_ZN7rocprim17ROCPRIM_304000_NS6detail33device_block_merge_oddeven_kernelINS1_37wrapped_merge_sort_block_merge_configINS0_14default_configElN2at4cuda3cub6detail10OpaqueTypeILi8EEEEEPlSC_PSA_SD_jNS1_19radix_merge_compareILb1ELb1ElNS0_19identity_decomposerEEEEEvT0_T1_T2_T3_T4_SL_T5_,comdat
.Lfunc_end106:
	.size	_ZN7rocprim17ROCPRIM_304000_NS6detail33device_block_merge_oddeven_kernelINS1_37wrapped_merge_sort_block_merge_configINS0_14default_configElN2at4cuda3cub6detail10OpaqueTypeILi8EEEEEPlSC_PSA_SD_jNS1_19radix_merge_compareILb1ELb1ElNS0_19identity_decomposerEEEEEvT0_T1_T2_T3_T4_SL_T5_, .Lfunc_end106-_ZN7rocprim17ROCPRIM_304000_NS6detail33device_block_merge_oddeven_kernelINS1_37wrapped_merge_sort_block_merge_configINS0_14default_configElN2at4cuda3cub6detail10OpaqueTypeILi8EEEEEPlSC_PSA_SD_jNS1_19radix_merge_compareILb1ELb1ElNS0_19identity_decomposerEEEEEvT0_T1_T2_T3_T4_SL_T5_
                                        ; -- End function
	.set _ZN7rocprim17ROCPRIM_304000_NS6detail33device_block_merge_oddeven_kernelINS1_37wrapped_merge_sort_block_merge_configINS0_14default_configElN2at4cuda3cub6detail10OpaqueTypeILi8EEEEEPlSC_PSA_SD_jNS1_19radix_merge_compareILb1ELb1ElNS0_19identity_decomposerEEEEEvT0_T1_T2_T3_T4_SL_T5_.num_vgpr, 16
	.set _ZN7rocprim17ROCPRIM_304000_NS6detail33device_block_merge_oddeven_kernelINS1_37wrapped_merge_sort_block_merge_configINS0_14default_configElN2at4cuda3cub6detail10OpaqueTypeILi8EEEEEPlSC_PSA_SD_jNS1_19radix_merge_compareILb1ELb1ElNS0_19identity_decomposerEEEEEvT0_T1_T2_T3_T4_SL_T5_.num_agpr, 0
	.set _ZN7rocprim17ROCPRIM_304000_NS6detail33device_block_merge_oddeven_kernelINS1_37wrapped_merge_sort_block_merge_configINS0_14default_configElN2at4cuda3cub6detail10OpaqueTypeILi8EEEEEPlSC_PSA_SD_jNS1_19radix_merge_compareILb1ELb1ElNS0_19identity_decomposerEEEEEvT0_T1_T2_T3_T4_SL_T5_.numbered_sgpr, 24
	.set _ZN7rocprim17ROCPRIM_304000_NS6detail33device_block_merge_oddeven_kernelINS1_37wrapped_merge_sort_block_merge_configINS0_14default_configElN2at4cuda3cub6detail10OpaqueTypeILi8EEEEEPlSC_PSA_SD_jNS1_19radix_merge_compareILb1ELb1ElNS0_19identity_decomposerEEEEEvT0_T1_T2_T3_T4_SL_T5_.num_named_barrier, 0
	.set _ZN7rocprim17ROCPRIM_304000_NS6detail33device_block_merge_oddeven_kernelINS1_37wrapped_merge_sort_block_merge_configINS0_14default_configElN2at4cuda3cub6detail10OpaqueTypeILi8EEEEEPlSC_PSA_SD_jNS1_19radix_merge_compareILb1ELb1ElNS0_19identity_decomposerEEEEEvT0_T1_T2_T3_T4_SL_T5_.private_seg_size, 0
	.set _ZN7rocprim17ROCPRIM_304000_NS6detail33device_block_merge_oddeven_kernelINS1_37wrapped_merge_sort_block_merge_configINS0_14default_configElN2at4cuda3cub6detail10OpaqueTypeILi8EEEEEPlSC_PSA_SD_jNS1_19radix_merge_compareILb1ELb1ElNS0_19identity_decomposerEEEEEvT0_T1_T2_T3_T4_SL_T5_.uses_vcc, 1
	.set _ZN7rocprim17ROCPRIM_304000_NS6detail33device_block_merge_oddeven_kernelINS1_37wrapped_merge_sort_block_merge_configINS0_14default_configElN2at4cuda3cub6detail10OpaqueTypeILi8EEEEEPlSC_PSA_SD_jNS1_19radix_merge_compareILb1ELb1ElNS0_19identity_decomposerEEEEEvT0_T1_T2_T3_T4_SL_T5_.uses_flat_scratch, 0
	.set _ZN7rocprim17ROCPRIM_304000_NS6detail33device_block_merge_oddeven_kernelINS1_37wrapped_merge_sort_block_merge_configINS0_14default_configElN2at4cuda3cub6detail10OpaqueTypeILi8EEEEEPlSC_PSA_SD_jNS1_19radix_merge_compareILb1ELb1ElNS0_19identity_decomposerEEEEEvT0_T1_T2_T3_T4_SL_T5_.has_dyn_sized_stack, 0
	.set _ZN7rocprim17ROCPRIM_304000_NS6detail33device_block_merge_oddeven_kernelINS1_37wrapped_merge_sort_block_merge_configINS0_14default_configElN2at4cuda3cub6detail10OpaqueTypeILi8EEEEEPlSC_PSA_SD_jNS1_19radix_merge_compareILb1ELb1ElNS0_19identity_decomposerEEEEEvT0_T1_T2_T3_T4_SL_T5_.has_recursion, 0
	.set _ZN7rocprim17ROCPRIM_304000_NS6detail33device_block_merge_oddeven_kernelINS1_37wrapped_merge_sort_block_merge_configINS0_14default_configElN2at4cuda3cub6detail10OpaqueTypeILi8EEEEEPlSC_PSA_SD_jNS1_19radix_merge_compareILb1ELb1ElNS0_19identity_decomposerEEEEEvT0_T1_T2_T3_T4_SL_T5_.has_indirect_call, 0
	.section	.AMDGPU.csdata,"",@progbits
; Kernel info:
; codeLenInByte = 832
; TotalNumSgprs: 28
; NumVgprs: 16
; ScratchSize: 0
; MemoryBound: 0
; FloatMode: 240
; IeeeMode: 1
; LDSByteSize: 0 bytes/workgroup (compile time only)
; SGPRBlocks: 3
; VGPRBlocks: 3
; NumSGPRsForWavesPerEU: 28
; NumVGPRsForWavesPerEU: 16
; Occupancy: 10
; WaveLimiterHint : 0
; COMPUTE_PGM_RSRC2:SCRATCH_EN: 0
; COMPUTE_PGM_RSRC2:USER_SGPR: 6
; COMPUTE_PGM_RSRC2:TRAP_HANDLER: 0
; COMPUTE_PGM_RSRC2:TGID_X_EN: 1
; COMPUTE_PGM_RSRC2:TGID_Y_EN: 0
; COMPUTE_PGM_RSRC2:TGID_Z_EN: 0
; COMPUTE_PGM_RSRC2:TIDIG_COMP_CNT: 0
	.section	.text._ZN7rocprim17ROCPRIM_304000_NS6detail26onesweep_histograms_kernelINS1_34wrapped_radix_sort_onesweep_configINS0_14default_configElN2at4cuda3cub6detail10OpaqueTypeILi8EEEEELb1EPKlmNS0_19identity_decomposerEEEvT1_PT2_SG_SG_T3_jj,"axG",@progbits,_ZN7rocprim17ROCPRIM_304000_NS6detail26onesweep_histograms_kernelINS1_34wrapped_radix_sort_onesweep_configINS0_14default_configElN2at4cuda3cub6detail10OpaqueTypeILi8EEEEELb1EPKlmNS0_19identity_decomposerEEEvT1_PT2_SG_SG_T3_jj,comdat
	.protected	_ZN7rocprim17ROCPRIM_304000_NS6detail26onesweep_histograms_kernelINS1_34wrapped_radix_sort_onesweep_configINS0_14default_configElN2at4cuda3cub6detail10OpaqueTypeILi8EEEEELb1EPKlmNS0_19identity_decomposerEEEvT1_PT2_SG_SG_T3_jj ; -- Begin function _ZN7rocprim17ROCPRIM_304000_NS6detail26onesweep_histograms_kernelINS1_34wrapped_radix_sort_onesweep_configINS0_14default_configElN2at4cuda3cub6detail10OpaqueTypeILi8EEEEELb1EPKlmNS0_19identity_decomposerEEEvT1_PT2_SG_SG_T3_jj
	.globl	_ZN7rocprim17ROCPRIM_304000_NS6detail26onesweep_histograms_kernelINS1_34wrapped_radix_sort_onesweep_configINS0_14default_configElN2at4cuda3cub6detail10OpaqueTypeILi8EEEEELb1EPKlmNS0_19identity_decomposerEEEvT1_PT2_SG_SG_T3_jj
	.p2align	8
	.type	_ZN7rocprim17ROCPRIM_304000_NS6detail26onesweep_histograms_kernelINS1_34wrapped_radix_sort_onesweep_configINS0_14default_configElN2at4cuda3cub6detail10OpaqueTypeILi8EEEEELb1EPKlmNS0_19identity_decomposerEEEvT1_PT2_SG_SG_T3_jj,@function
_ZN7rocprim17ROCPRIM_304000_NS6detail26onesweep_histograms_kernelINS1_34wrapped_radix_sort_onesweep_configINS0_14default_configElN2at4cuda3cub6detail10OpaqueTypeILi8EEEEELb1EPKlmNS0_19identity_decomposerEEEvT1_PT2_SG_SG_T3_jj: ; @_ZN7rocprim17ROCPRIM_304000_NS6detail26onesweep_histograms_kernelINS1_34wrapped_radix_sort_onesweep_configINS0_14default_configElN2at4cuda3cub6detail10OpaqueTypeILi8EEEEELb1EPKlmNS0_19identity_decomposerEEEvT1_PT2_SG_SG_T3_jj
; %bb.0:
	s_load_dwordx8 s[12:19], s[4:5], 0x0
	s_load_dwordx2 s[20:21], s[4:5], 0x24
	v_mov_b32_e32 v1, s6
	v_mov_b32_e32 v2, 0
	s_mul_hi_u32 s0, s6, 0x6000
	s_waitcnt lgkmcnt(0)
	v_cmp_le_u64_e32 vcc, s[18:19], v[1:2]
	s_mulk_i32 s6, 0x6000
	s_add_u32 s12, s12, s6
	s_addc_u32 s13, s13, s0
	s_mov_b64 s[0:1], -1
	v_lshlrev_b32_e32 v15, 3, v0
	s_cbranch_vccz .LBB107_46
; %bb.1:
	s_mul_i32 s0, s18, 0xfffff400
	s_add_i32 s16, s0, s16
	v_mov_b32_e32 v1, s13
	v_add_co_u32_e32 v13, vcc, s12, v15
	v_addc_co_u32_e32 v14, vcc, 0, v1, vcc
	v_cmp_gt_u32_e64 s[10:11], s16, v0
                                        ; implicit-def: $vgpr11_vgpr12
	s_and_saveexec_b64 s[0:1], s[10:11]
	s_cbranch_execz .LBB107_3
; %bb.2:
	global_load_dwordx2 v[1:2], v[13:14], off
	s_waitcnt vmcnt(0)
	v_xor_b32_e32 v12, 0x7fffffff, v2
	v_not_b32_e32 v11, v1
.LBB107_3:
	s_or_b64 exec, exec, s[0:1]
	v_or_b32_e32 v1, 0x200, v0
	v_cmp_gt_u32_e64 s[8:9], s16, v1
                                        ; implicit-def: $vgpr9_vgpr10
	s_and_saveexec_b64 s[0:1], s[8:9]
	s_cbranch_execz .LBB107_5
; %bb.4:
	v_add_co_u32_e32 v1, vcc, 0x1000, v13
	v_addc_co_u32_e32 v2, vcc, 0, v14, vcc
	global_load_dwordx2 v[1:2], v[1:2], off
	s_waitcnt vmcnt(0)
	v_xor_b32_e32 v10, 0x7fffffff, v2
	v_not_b32_e32 v9, v1
.LBB107_5:
	s_or_b64 exec, exec, s[0:1]
	v_or_b32_e32 v1, 0x400, v0
	v_cmp_gt_u32_e64 s[6:7], s16, v1
                                        ; implicit-def: $vgpr7_vgpr8
	s_and_saveexec_b64 s[0:1], s[6:7]
	s_cbranch_execz .LBB107_7
; %bb.6:
	v_add_co_u32_e32 v1, vcc, 0x2000, v13
	v_addc_co_u32_e32 v2, vcc, 0, v14, vcc
	global_load_dwordx2 v[1:2], v[1:2], off
	s_waitcnt vmcnt(0)
	v_xor_b32_e32 v8, 0x7fffffff, v2
	v_not_b32_e32 v7, v1
.LBB107_7:
	s_or_b64 exec, exec, s[0:1]
	v_or_b32_e32 v1, 0x600, v0
	v_cmp_gt_u32_e64 s[4:5], s16, v1
                                        ; implicit-def: $vgpr5_vgpr6
	s_and_saveexec_b64 s[0:1], s[4:5]
	s_cbranch_execz .LBB107_9
; %bb.8:
	v_add_co_u32_e32 v1, vcc, 0x3000, v13
	v_addc_co_u32_e32 v2, vcc, 0, v14, vcc
	global_load_dwordx2 v[1:2], v[1:2], off
	s_waitcnt vmcnt(0)
	v_xor_b32_e32 v6, 0x7fffffff, v2
	v_not_b32_e32 v5, v1
.LBB107_9:
	s_or_b64 exec, exec, s[0:1]
	v_or_b32_e32 v1, 0x800, v0
	v_cmp_gt_u32_e64 s[2:3], s16, v1
                                        ; implicit-def: $vgpr3_vgpr4
	s_and_saveexec_b64 s[0:1], s[2:3]
	s_cbranch_execz .LBB107_11
; %bb.10:
	v_add_co_u32_e32 v1, vcc, 0x4000, v13
	v_addc_co_u32_e32 v2, vcc, 0, v14, vcc
	global_load_dwordx2 v[1:2], v[1:2], off
	s_waitcnt vmcnt(0)
	v_xor_b32_e32 v4, 0x7fffffff, v2
	v_not_b32_e32 v3, v1
.LBB107_11:
	s_or_b64 exec, exec, s[0:1]
	v_or_b32_e32 v1, 0xa00, v0
	v_cmp_gt_u32_e64 s[0:1], s16, v1
                                        ; implicit-def: $vgpr1_vgpr2
	s_and_saveexec_b64 s[16:17], s[0:1]
	s_cbranch_execz .LBB107_13
; %bb.12:
	v_add_co_u32_e32 v1, vcc, 0x5000, v13
	v_addc_co_u32_e32 v2, vcc, 0, v14, vcc
	global_load_dwordx2 v[1:2], v[1:2], off
	s_waitcnt vmcnt(0)
	v_xor_b32_e32 v2, 0x7fffffff, v2
	v_not_b32_e32 v1, v1
.LBB107_13:
	s_or_b64 exec, exec, s[16:17]
	v_or_b32_e32 v13, 0xfffffe00, v0
	v_lshlrev_b32_e32 v14, 2, v0
	s_mov_b64 s[16:17], 0
	v_mov_b32_e32 v16, 0
	s_movk_i32 s18, 0x1dff
.LBB107_14:                             ; =>This Inner Loop Header: Depth=1
	v_add_u32_e32 v13, 0x200, v13
	v_cmp_lt_u32_e32 vcc, s18, v13
	ds_write_b32 v14, v16
	s_or_b64 s[16:17], vcc, s[16:17]
	v_add_u32_e32 v14, 0x800, v14
	s_andn2_b64 exec, exec, s[16:17]
	s_cbranch_execnz .LBB107_14
; %bb.15:
	s_or_b64 exec, exec, s[16:17]
	s_cmp_gt_u32 s21, s20
	s_cselect_b64 s[16:17], -1, 0
	s_cmp_le_u32 s21, s20
	s_waitcnt lgkmcnt(0)
	s_barrier
	s_cbranch_scc1 .LBB107_40
; %bb.16:
	v_and_b32_e32 v13, 3, v0
	v_lshlrev_b32_e32 v13, 2, v13
	s_sub_i32 s22, s21, s20
	v_mov_b32_e32 v14, 1
	s_mov_b32 s23, s22
	v_mov_b32_e32 v16, v13
	s_mov_b32 s24, s20
	s_branch .LBB107_18
.LBB107_17:                             ;   in Loop: Header=BB107_18 Depth=1
	s_or_b64 exec, exec, s[18:19]
	s_add_i32 s24, s24, 8
	s_add_i32 s23, s23, -8
	s_cmp_lt_u32 s24, s21
	v_add_u32_e32 v16, 0x1000, v16
	s_cbranch_scc0 .LBB107_20
.LBB107_18:                             ; =>This Inner Loop Header: Depth=1
	s_and_saveexec_b64 s[18:19], s[10:11]
	s_cbranch_execz .LBB107_17
; %bb.19:                               ;   in Loop: Header=BB107_18 Depth=1
	v_lshrrev_b64 v[17:18], s24, v[11:12]
	s_min_u32 s25, s23, 8
	v_bfe_u32 v17, v17, 0, s25
	v_lshl_add_u32 v17, v17, 4, v16
	ds_add_u32 v17, v14
	s_branch .LBB107_17
.LBB107_20:
	v_mov_b32_e32 v11, 1
	s_mov_b32 s18, s22
	v_mov_b32_e32 v12, v13
	s_mov_b32 s19, s20
	s_branch .LBB107_22
.LBB107_21:                             ;   in Loop: Header=BB107_22 Depth=1
	s_or_b64 exec, exec, s[10:11]
	s_add_i32 s19, s19, 8
	s_add_i32 s18, s18, -8
	s_cmp_lt_u32 s19, s21
	v_add_u32_e32 v12, 0x1000, v12
	s_cbranch_scc0 .LBB107_24
.LBB107_22:                             ; =>This Inner Loop Header: Depth=1
	s_and_saveexec_b64 s[10:11], s[8:9]
	s_cbranch_execz .LBB107_21
; %bb.23:                               ;   in Loop: Header=BB107_22 Depth=1
	v_lshrrev_b64 v[16:17], s19, v[9:10]
	s_min_u32 s23, s18, 8
	v_bfe_u32 v14, v16, 0, s23
	v_lshl_add_u32 v14, v14, 4, v12
	ds_add_u32 v14, v11
	s_branch .LBB107_21
.LBB107_24:
	;; [unrolled: 23-line block ×5, first 2 shown]
	v_mov_b32_e32 v3, 1
	s_mov_b32 s4, s20
	s_branch .LBB107_38
.LBB107_37:                             ;   in Loop: Header=BB107_38 Depth=1
	s_or_b64 exec, exec, s[2:3]
	s_add_i32 s4, s4, 8
	s_add_i32 s22, s22, -8
	s_cmp_lt_u32 s4, s21
	v_add_u32_e32 v13, 0x1000, v13
	s_cbranch_scc0 .LBB107_40
.LBB107_38:                             ; =>This Inner Loop Header: Depth=1
	s_and_saveexec_b64 s[2:3], s[0:1]
	s_cbranch_execz .LBB107_37
; %bb.39:                               ;   in Loop: Header=BB107_38 Depth=1
	v_lshrrev_b64 v[4:5], s4, v[1:2]
	s_min_u32 s5, s22, 8
	v_bfe_u32 v4, v4, 0, s5
	v_lshl_add_u32 v4, v4, 4, v13
	ds_add_u32 v4, v3
	s_branch .LBB107_37
.LBB107_40:
	s_and_b64 vcc, exec, s[16:17]
	s_waitcnt lgkmcnt(0)
	s_barrier
	s_cbranch_vccz .LBB107_45
; %bb.41:
	s_movk_i32 s0, 0x100
	v_cmp_gt_u32_e32 vcc, s0, v0
	v_lshlrev_b32_e32 v3, 4, v0
	v_mov_b32_e32 v2, 0
	v_mov_b32_e32 v1, v0
	s_mov_b32 s4, s20
	s_branch .LBB107_43
.LBB107_42:                             ;   in Loop: Header=BB107_43 Depth=1
	s_or_b64 exec, exec, s[2:3]
	s_add_i32 s4, s4, 8
	v_add_u32_e32 v1, 0x100, v1
	s_cmp_lt_u32 s4, s21
	v_add_u32_e32 v3, 0x1000, v3
	s_cbranch_scc0 .LBB107_45
.LBB107_43:                             ; =>This Inner Loop Header: Depth=1
	s_and_saveexec_b64 s[2:3], vcc
	s_cbranch_execz .LBB107_42
; %bb.44:                               ;   in Loop: Header=BB107_43 Depth=1
	ds_read2_b32 v[4:5], v3 offset1:1
	ds_read2_b32 v[6:7], v3 offset0:2 offset1:3
	v_lshlrev_b64 v[8:9], 3, v[1:2]
	v_mov_b32_e32 v10, s15
	s_waitcnt lgkmcnt(1)
	v_add_u32_e32 v4, v5, v4
	s_waitcnt lgkmcnt(0)
	v_add3_u32 v4, v4, v6, v7
	v_add_co_u32_e64 v6, s[0:1], s14, v8
	v_addc_co_u32_e64 v7, s[0:1], v10, v9, s[0:1]
	v_mov_b32_e32 v5, v2
	global_atomic_add_x2 v[6:7], v[4:5], off
	s_branch .LBB107_42
.LBB107_45:
	s_mov_b64 s[0:1], 0
.LBB107_46:
	s_and_b64 vcc, exec, s[0:1]
	s_cbranch_vccz .LBB107_74
; %bb.47:
	v_mov_b32_e32 v1, s13
	v_add_co_u32_e32 v18, vcc, s12, v15
	v_addc_co_u32_e32 v19, vcc, 0, v1, vcc
	v_add_co_u32_e32 v9, vcc, 0x1000, v18
	v_addc_co_u32_e32 v10, vcc, 0, v19, vcc
	;; [unrolled: 2-line block ×5, first 2 shown]
	global_load_dwordx2 v[7:8], v[9:10], off
	global_load_dwordx2 v[3:4], v[11:12], off
	;; [unrolled: 1-line block ×4, first 2 shown]
	v_add_co_u32_e32 v13, vcc, 0x5000, v18
	v_addc_co_u32_e32 v14, vcc, 0, v19, vcc
	global_load_dwordx2 v[11:12], v15, s[12:13]
	global_load_dwordx2 v[9:10], v[13:14], off
	s_cmp_eq_u32 s20, 0
	s_cselect_b64 s[0:1], -1, 0
	s_cmp_eq_u32 s21, 64
	s_cselect_b64 s[2:3], -1, 0
	s_and_b64 s[2:3], s[0:1], s[2:3]
	v_mov_b32_e32 v13, 0
	s_mov_b64 s[0:1], -1
	s_and_b64 vcc, exec, s[2:3]
	v_lshlrev_b32_e32 v16, 2, v0
	s_cbranch_vccnz .LBB107_69
; %bb.48:
	v_or_b32_e32 v14, 0xfffffe00, v0
	v_lshlrev_b32_e32 v17, 2, v0
	s_mov_b64 s[0:1], 0
	s_movk_i32 s2, 0x1dff
.LBB107_49:                             ; =>This Inner Loop Header: Depth=1
	v_add_u32_e32 v14, 0x200, v14
	v_cmp_lt_u32_e32 vcc, s2, v14
	ds_write_b32 v17, v13
	s_or_b64 s[0:1], vcc, s[0:1]
	v_add_u32_e32 v17, 0x800, v17
	s_andn2_b64 exec, exec, s[0:1]
	s_cbranch_execnz .LBB107_49
; %bb.50:
	s_or_b64 exec, exec, s[0:1]
	s_cmp_gt_u32 s21, s20
	s_cselect_b64 s[0:1], -1, 0
	s_cmp_le_u32 s21, s20
	s_waitcnt vmcnt(0) lgkmcnt(0)
	s_barrier
	s_cbranch_scc1 .LBB107_63
; %bb.51:
	v_and_b32_e32 v17, 3, v0
	v_lshlrev_b32_e32 v17, 2, v17
	s_sub_i32 s2, s21, s20
	v_xor_b32_e32 v14, 0x7fffffff, v12
	v_not_b32_e32 v13, v11
	v_mov_b32_e32 v18, 1
	s_mov_b32 s3, s2
	v_mov_b32_e32 v19, v17
	s_mov_b32 s4, s20
.LBB107_52:                             ; =>This Inner Loop Header: Depth=1
	v_lshrrev_b64 v[20:21], s4, v[13:14]
	s_min_u32 s5, s3, 8
	v_bfe_u32 v20, v20, 0, s5
	v_lshl_add_u32 v20, v20, 4, v19
	ds_add_u32 v20, v18
	s_add_i32 s4, s4, 8
	s_add_i32 s3, s3, -8
	s_cmp_lt_u32 s4, s21
	v_add_u32_e32 v19, 0x1000, v19
	s_cbranch_scc1 .LBB107_52
; %bb.53:
	v_xor_b32_e32 v14, 0x7fffffff, v8
	v_not_b32_e32 v13, v7
	v_mov_b32_e32 v18, 1
	s_mov_b32 s3, s2
	v_mov_b32_e32 v19, v17
	s_mov_b32 s4, s20
.LBB107_54:                             ; =>This Inner Loop Header: Depth=1
	v_lshrrev_b64 v[20:21], s4, v[13:14]
	s_min_u32 s5, s3, 8
	v_bfe_u32 v20, v20, 0, s5
	v_lshl_add_u32 v20, v20, 4, v19
	ds_add_u32 v20, v18
	s_add_i32 s4, s4, 8
	s_add_i32 s3, s3, -8
	s_cmp_lt_u32 s4, s21
	v_add_u32_e32 v19, 0x1000, v19
	s_cbranch_scc1 .LBB107_54
; %bb.55:
	;; [unrolled: 18-line block ×5, first 2 shown]
	v_xor_b32_e32 v14, 0x7fffffff, v10
	v_not_b32_e32 v13, v9
	v_mov_b32_e32 v18, 1
	s_mov_b32 s3, s20
.LBB107_62:                             ; =>This Inner Loop Header: Depth=1
	v_lshrrev_b64 v[19:20], s3, v[13:14]
	s_min_u32 s4, s2, 8
	v_bfe_u32 v19, v19, 0, s4
	v_lshl_add_u32 v19, v19, 4, v17
	ds_add_u32 v19, v18
	s_add_i32 s3, s3, 8
	s_add_i32 s2, s2, -8
	s_cmp_lt_u32 s3, s21
	v_add_u32_e32 v17, 0x1000, v17
	s_cbranch_scc1 .LBB107_62
.LBB107_63:
	s_and_b64 vcc, exec, s[0:1]
	s_waitcnt lgkmcnt(0)
	s_barrier
	s_cbranch_vccz .LBB107_68
; %bb.64:
	s_movk_i32 s0, 0x100
	v_cmp_gt_u32_e32 vcc, s0, v0
	v_lshlrev_b32_e32 v17, 4, v0
	v_mov_b32_e32 v14, 0
	v_mov_b32_e32 v13, v0
	s_branch .LBB107_66
.LBB107_65:                             ;   in Loop: Header=BB107_66 Depth=1
	s_or_b64 exec, exec, s[2:3]
	s_add_i32 s20, s20, 8
	v_add_u32_e32 v13, 0x100, v13
	s_cmp_ge_u32 s20, s21
	v_add_u32_e32 v17, 0x1000, v17
	s_cbranch_scc1 .LBB107_68
.LBB107_66:                             ; =>This Inner Loop Header: Depth=1
	s_and_saveexec_b64 s[2:3], vcc
	s_cbranch_execz .LBB107_65
; %bb.67:                               ;   in Loop: Header=BB107_66 Depth=1
	ds_read2_b32 v[18:19], v17 offset1:1
	ds_read2_b32 v[20:21], v17 offset0:2 offset1:3
	v_lshlrev_b64 v[22:23], 3, v[13:14]
	v_mov_b32_e32 v24, s15
	s_waitcnt lgkmcnt(1)
	v_add_u32_e32 v18, v19, v18
	s_waitcnt lgkmcnt(0)
	v_add3_u32 v18, v18, v20, v21
	v_add_co_u32_e64 v20, s[0:1], s14, v22
	v_addc_co_u32_e64 v21, s[0:1], v24, v23, s[0:1]
	v_mov_b32_e32 v19, v14
	global_atomic_add_x2 v[20:21], v[18:19], off
	s_branch .LBB107_65
.LBB107_68:
	s_mov_b64 s[0:1], 0
.LBB107_69:
	s_and_b64 vcc, exec, s[0:1]
	s_cbranch_vccz .LBB107_74
; %bb.70:
	v_or_b32_e32 v13, 0xfffffe00, v0
	s_mov_b64 s[0:1], 0
	v_mov_b32_e32 v14, 0
	s_movk_i32 s2, 0x1dff
.LBB107_71:                             ; =>This Inner Loop Header: Depth=1
	v_add_u32_e32 v13, 0x200, v13
	v_cmp_lt_u32_e32 vcc, s2, v13
	ds_write_b32 v16, v14
	s_or_b64 s[0:1], vcc, s[0:1]
	v_add_u32_e32 v16, 0x800, v16
	s_andn2_b64 exec, exec, s[0:1]
	s_cbranch_execnz .LBB107_71
; %bb.72:
	s_or_b64 exec, exec, s[0:1]
	s_waitcnt vmcnt(1)
	v_xor_b32_e32 v11, -1, v11
	v_and_b32_e32 v13, 3, v0
	v_lshlrev_b32_e32 v14, 4, v11
	v_lshlrev_b32_e32 v13, 2, v13
	s_movk_i32 s0, 0xff0
	v_and_or_b32 v14, v14, s0, v13
	v_mov_b32_e32 v16, 1
	s_waitcnt vmcnt(0) lgkmcnt(0)
	s_barrier
	ds_add_u32 v14, v16
	v_bfe_u32 v14, v11, 8, 8
	v_lshl_or_b32 v14, v14, 4, v13
	ds_add_u32 v14, v16 offset:4096
	v_bfe_u32 v14, v11, 16, 8
	v_xor_b32_e32 v12, 0x7fffffff, v12
	v_lshl_or_b32 v14, v14, 4, v13
	ds_add_u32 v14, v16 offset:8192
	v_lshrrev_b32_e32 v14, 24, v11
	v_alignbit_b32 v11, v12, v11, 30
	v_lshl_or_b32 v14, v14, 4, v13
	v_and_b32_e32 v11, 0x3fc, v11
	ds_add_u32 v14, v16 offset:12288
	v_lshl_or_b32 v11, v11, 2, v13
	ds_add_u32 v11, v16 offset:16384
	v_bfe_u32 v11, v12, 8, 8
	v_lshl_or_b32 v11, v11, 4, v13
	ds_add_u32 v11, v16 offset:20480
	v_bfe_u32 v11, v12, 16, 8
	v_lshl_or_b32 v11, v11, 4, v13
	ds_add_u32 v11, v16 offset:24576
	v_lshrrev_b32_e32 v11, 24, v12
	v_xor_b32_e32 v7, -1, v7
	v_lshl_or_b32 v11, v11, 4, v13
	ds_add_u32 v11, v16 offset:28672
	v_lshlrev_b32_e32 v11, 4, v7
	v_and_or_b32 v11, v11, s0, v13
	ds_add_u32 v11, v16
	v_bfe_u32 v11, v7, 8, 8
	v_lshl_or_b32 v11, v11, 4, v13
	ds_add_u32 v11, v16 offset:4096
	v_bfe_u32 v11, v7, 16, 8
	v_xor_b32_e32 v8, 0x7fffffff, v8
	v_lshl_or_b32 v11, v11, 4, v13
	ds_add_u32 v11, v16 offset:8192
	v_lshrrev_b32_e32 v11, 24, v7
	v_alignbit_b32 v7, v8, v7, 30
	v_lshl_or_b32 v11, v11, 4, v13
	v_and_b32_e32 v7, 0x3fc, v7
	ds_add_u32 v11, v16 offset:12288
	v_lshl_or_b32 v7, v7, 2, v13
	ds_add_u32 v7, v16 offset:16384
	v_bfe_u32 v7, v8, 8, 8
	v_lshl_or_b32 v7, v7, 4, v13
	ds_add_u32 v7, v16 offset:20480
	v_bfe_u32 v7, v8, 16, 8
	v_lshl_or_b32 v7, v7, 4, v13
	ds_add_u32 v7, v16 offset:24576
	v_lshrrev_b32_e32 v7, 24, v8
	v_xor_b32_e32 v3, -1, v3
	v_lshl_or_b32 v7, v7, 4, v13
	ds_add_u32 v7, v16 offset:28672
	v_lshlrev_b32_e32 v7, 4, v3
	v_and_or_b32 v7, v7, s0, v13
	ds_add_u32 v7, v16
	v_bfe_u32 v7, v3, 8, 8
	v_lshl_or_b32 v7, v7, 4, v13
	ds_add_u32 v7, v16 offset:4096
	v_bfe_u32 v7, v3, 16, 8
	v_xor_b32_e32 v4, 0x7fffffff, v4
	v_lshl_or_b32 v7, v7, 4, v13
	ds_add_u32 v7, v16 offset:8192
	v_lshrrev_b32_e32 v7, 24, v3
	v_alignbit_b32 v3, v4, v3, 30
	v_lshl_or_b32 v7, v7, 4, v13
	v_and_b32_e32 v3, 0x3fc, v3
	ds_add_u32 v7, v16 offset:12288
	v_lshl_or_b32 v3, v3, 2, v13
	ds_add_u32 v3, v16 offset:16384
	v_bfe_u32 v3, v4, 8, 8
	v_lshl_or_b32 v3, v3, 4, v13
	ds_add_u32 v3, v16 offset:20480
	v_bfe_u32 v3, v4, 16, 8
	v_lshl_or_b32 v3, v3, 4, v13
	ds_add_u32 v3, v16 offset:24576
	v_lshrrev_b32_e32 v3, 24, v4
	v_xor_b32_e32 v1, -1, v1
	v_lshl_or_b32 v3, v3, 4, v13
	ds_add_u32 v3, v16 offset:28672
	v_lshlrev_b32_e32 v3, 4, v1
	v_and_or_b32 v3, v3, s0, v13
	ds_add_u32 v3, v16
	v_bfe_u32 v3, v1, 8, 8
	v_lshl_or_b32 v3, v3, 4, v13
	ds_add_u32 v3, v16 offset:4096
	v_bfe_u32 v3, v1, 16, 8
	v_xor_b32_e32 v2, 0x7fffffff, v2
	v_lshl_or_b32 v3, v3, 4, v13
	ds_add_u32 v3, v16 offset:8192
	v_lshrrev_b32_e32 v3, 24, v1
	v_alignbit_b32 v1, v2, v1, 30
	v_lshl_or_b32 v3, v3, 4, v13
	v_and_b32_e32 v1, 0x3fc, v1
	ds_add_u32 v3, v16 offset:12288
	v_lshl_or_b32 v1, v1, 2, v13
	ds_add_u32 v1, v16 offset:16384
	v_bfe_u32 v1, v2, 8, 8
	v_lshl_or_b32 v1, v1, 4, v13
	ds_add_u32 v1, v16 offset:20480
	v_bfe_u32 v1, v2, 16, 8
	v_lshl_or_b32 v1, v1, 4, v13
	ds_add_u32 v1, v16 offset:24576
	v_lshrrev_b32_e32 v1, 24, v2
	v_xor_b32_e32 v5, -1, v5
	v_lshl_or_b32 v1, v1, 4, v13
	ds_add_u32 v1, v16 offset:28672
	v_lshlrev_b32_e32 v1, 4, v5
	v_and_or_b32 v1, v1, s0, v13
	ds_add_u32 v1, v16
	v_bfe_u32 v1, v5, 8, 8
	v_lshl_or_b32 v1, v1, 4, v13
	ds_add_u32 v1, v16 offset:4096
	v_bfe_u32 v1, v5, 16, 8
	v_lshl_or_b32 v1, v1, 4, v13
	ds_add_u32 v1, v16 offset:8192
	v_lshrrev_b32_e32 v1, 24, v5
	v_xor_b32_e32 v6, 0x7fffffff, v6
	v_lshl_or_b32 v1, v1, 4, v13
	ds_add_u32 v1, v16 offset:12288
	v_alignbit_b32 v1, v6, v5, 30
	v_and_b32_e32 v1, 0x3fc, v1
	v_lshl_or_b32 v1, v1, 2, v13
	ds_add_u32 v1, v16 offset:16384
	v_bfe_u32 v1, v6, 8, 8
	v_lshl_or_b32 v1, v1, 4, v13
	ds_add_u32 v1, v16 offset:20480
	v_bfe_u32 v1, v6, 16, 8
	v_lshl_or_b32 v1, v1, 4, v13
	ds_add_u32 v1, v16 offset:24576
	v_lshrrev_b32_e32 v1, 24, v6
	v_xor_b32_e32 v9, -1, v9
	v_lshl_or_b32 v1, v1, 4, v13
	ds_add_u32 v1, v16 offset:28672
	v_lshlrev_b32_e32 v1, 4, v9
	v_and_or_b32 v1, v1, s0, v13
	ds_add_u32 v1, v16
	v_bfe_u32 v1, v9, 8, 8
	v_lshl_or_b32 v1, v1, 4, v13
	ds_add_u32 v1, v16 offset:4096
	v_bfe_u32 v1, v9, 16, 8
	v_lshl_or_b32 v1, v1, 4, v13
	ds_add_u32 v1, v16 offset:8192
	v_lshrrev_b32_e32 v1, 24, v9
	v_xor_b32_e32 v10, 0x7fffffff, v10
	v_lshl_or_b32 v1, v1, 4, v13
	ds_add_u32 v1, v16 offset:12288
	v_alignbit_b32 v1, v10, v9, 30
	v_and_b32_e32 v1, 0x3fc, v1
	v_lshl_or_b32 v1, v1, 2, v13
	ds_add_u32 v1, v16 offset:16384
	v_bfe_u32 v1, v10, 8, 8
	v_lshl_or_b32 v1, v1, 4, v13
	ds_add_u32 v1, v16 offset:20480
	v_bfe_u32 v1, v10, 16, 8
	v_lshl_or_b32 v1, v1, 4, v13
	ds_add_u32 v1, v16 offset:24576
	v_lshrrev_b32_e32 v1, 24, v10
	v_lshl_or_b32 v1, v1, 4, v13
	ds_add_u32 v1, v16 offset:28672
	s_movk_i32 s0, 0x100
	v_cmp_gt_u32_e32 vcc, s0, v0
	s_waitcnt lgkmcnt(0)
	s_barrier
	s_and_saveexec_b64 s[0:1], vcc
	s_cbranch_execz .LBB107_74
; %bb.73:
	v_lshlrev_b32_e32 v9, 4, v0
	ds_read2_b32 v[0:1], v9 offset1:1
	ds_read2_b32 v[2:3], v9 offset0:2 offset1:3
	v_mov_b32_e32 v4, 0
	v_add_u32_e32 v5, 0x1000, v9
	v_add_u32_e32 v6, 0x1008, v9
	s_waitcnt lgkmcnt(1)
	v_add_u32_e32 v0, v1, v0
	s_waitcnt lgkmcnt(0)
	v_add3_u32 v3, v0, v2, v3
	global_atomic_add_x2 v15, v[3:4], s[14:15]
	ds_read2_b32 v[0:1], v5 offset1:1
	ds_read2_b32 v[2:3], v6 offset1:1
	v_or_b32_e32 v6, 0x2000, v9
	v_or_b32_e32 v7, 0x2008, v9
	v_mov_b32_e32 v5, s15
	s_waitcnt lgkmcnt(1)
	v_add_u32_e32 v0, v1, v0
	s_waitcnt lgkmcnt(0)
	v_add3_u32 v3, v0, v2, v3
	global_atomic_add_x2 v15, v[3:4], s[14:15] offset:2048
	ds_read2_b32 v[0:1], v6 offset1:1
	ds_read2_b32 v[2:3], v7 offset1:1
	v_add_co_u32_e32 v10, vcc, s14, v15
	v_addc_co_u32_e32 v11, vcc, 0, v5, vcc
	s_movk_i32 s1, 0x2000
	s_waitcnt lgkmcnt(1)
	v_add_u32_e32 v0, v1, v0
	s_waitcnt lgkmcnt(0)
	v_add3_u32 v3, v0, v2, v3
	v_add_co_u32_e32 v0, vcc, s1, v10
	v_addc_co_u32_e32 v1, vcc, 0, v11, vcc
	global_atomic_add_x2 v[0:1], v[3:4], off offset:-4096
	v_add_u32_e32 v2, 0x3000, v9
	v_add_u32_e32 v5, 0x3008, v9
	ds_read2_b32 v[2:3], v2 offset1:1
	ds_read2_b32 v[5:6], v5 offset1:1
	s_movk_i32 s0, 0x1000
	v_add_co_u32_e32 v7, vcc, s0, v10
	s_waitcnt lgkmcnt(1)
	v_add_u32_e32 v2, v3, v2
	v_addc_co_u32_e32 v8, vcc, 0, v11, vcc
	s_waitcnt lgkmcnt(0)
	v_add3_u32 v3, v2, v5, v6
	global_atomic_add_x2 v[7:8], v[3:4], off offset:2048
	v_or_b32_e32 v2, 0x4000, v9
	v_or_b32_e32 v5, 0x4008, v9
	ds_read2_b32 v[2:3], v2 offset1:1
	ds_read2_b32 v[5:6], v5 offset1:1
	s_movk_i32 s0, 0x3000
	s_waitcnt lgkmcnt(1)
	v_add_u32_e32 v2, v3, v2
	s_waitcnt lgkmcnt(0)
	v_add3_u32 v3, v2, v5, v6
	global_atomic_add_x2 v[0:1], v[3:4], off
	v_add_u32_e32 v2, 0x5000, v9
	v_add_u32_e32 v5, 0x5008, v9
	ds_read2_b32 v[2:3], v2 offset1:1
	ds_read2_b32 v[5:6], v5 offset1:1
	s_waitcnt lgkmcnt(1)
	v_add_u32_e32 v2, v3, v2
	s_waitcnt lgkmcnt(0)
	v_add3_u32 v3, v2, v5, v6
	global_atomic_add_x2 v[0:1], v[3:4], off offset:2048
	v_or_b32_e32 v0, 0x6000, v9
	v_or_b32_e32 v2, 0x6008, v9
	ds_read2_b32 v[0:1], v0 offset1:1
	ds_read2_b32 v[2:3], v2 offset1:1
	v_add_u32_e32 v5, 0x7008, v9
	s_waitcnt lgkmcnt(1)
	v_add_u32_e32 v0, v1, v0
	s_waitcnt lgkmcnt(0)
	v_add3_u32 v3, v0, v2, v3
	v_add_co_u32_e32 v0, vcc, s0, v10
	v_addc_co_u32_e32 v1, vcc, 0, v11, vcc
	global_atomic_add_x2 v[0:1], v[3:4], off
	v_add_u32_e32 v2, 0x7000, v9
	ds_read2_b32 v[2:3], v2 offset1:1
	ds_read2_b32 v[5:6], v5 offset1:1
	s_waitcnt lgkmcnt(1)
	v_add_u32_e32 v2, v3, v2
	s_waitcnt lgkmcnt(0)
	v_add3_u32 v3, v2, v5, v6
	global_atomic_add_x2 v[0:1], v[3:4], off offset:2048
.LBB107_74:
	s_endpgm
	.section	.rodata,"a",@progbits
	.p2align	6, 0x0
	.amdhsa_kernel _ZN7rocprim17ROCPRIM_304000_NS6detail26onesweep_histograms_kernelINS1_34wrapped_radix_sort_onesweep_configINS0_14default_configElN2at4cuda3cub6detail10OpaqueTypeILi8EEEEELb1EPKlmNS0_19identity_decomposerEEEvT1_PT2_SG_SG_T3_jj
		.amdhsa_group_segment_fixed_size 32768
		.amdhsa_private_segment_fixed_size 0
		.amdhsa_kernarg_size 44
		.amdhsa_user_sgpr_count 6
		.amdhsa_user_sgpr_private_segment_buffer 1
		.amdhsa_user_sgpr_dispatch_ptr 0
		.amdhsa_user_sgpr_queue_ptr 0
		.amdhsa_user_sgpr_kernarg_segment_ptr 1
		.amdhsa_user_sgpr_dispatch_id 0
		.amdhsa_user_sgpr_flat_scratch_init 0
		.amdhsa_user_sgpr_private_segment_size 0
		.amdhsa_uses_dynamic_stack 0
		.amdhsa_system_sgpr_private_segment_wavefront_offset 0
		.amdhsa_system_sgpr_workgroup_id_x 1
		.amdhsa_system_sgpr_workgroup_id_y 0
		.amdhsa_system_sgpr_workgroup_id_z 0
		.amdhsa_system_sgpr_workgroup_info 0
		.amdhsa_system_vgpr_workitem_id 0
		.amdhsa_next_free_vgpr 49
		.amdhsa_next_free_sgpr 98
		.amdhsa_reserve_vcc 1
		.amdhsa_reserve_flat_scratch 0
		.amdhsa_float_round_mode_32 0
		.amdhsa_float_round_mode_16_64 0
		.amdhsa_float_denorm_mode_32 3
		.amdhsa_float_denorm_mode_16_64 3
		.amdhsa_dx10_clamp 1
		.amdhsa_ieee_mode 1
		.amdhsa_fp16_overflow 0
		.amdhsa_exception_fp_ieee_invalid_op 0
		.amdhsa_exception_fp_denorm_src 0
		.amdhsa_exception_fp_ieee_div_zero 0
		.amdhsa_exception_fp_ieee_overflow 0
		.amdhsa_exception_fp_ieee_underflow 0
		.amdhsa_exception_fp_ieee_inexact 0
		.amdhsa_exception_int_div_zero 0
	.end_amdhsa_kernel
	.section	.text._ZN7rocprim17ROCPRIM_304000_NS6detail26onesweep_histograms_kernelINS1_34wrapped_radix_sort_onesweep_configINS0_14default_configElN2at4cuda3cub6detail10OpaqueTypeILi8EEEEELb1EPKlmNS0_19identity_decomposerEEEvT1_PT2_SG_SG_T3_jj,"axG",@progbits,_ZN7rocprim17ROCPRIM_304000_NS6detail26onesweep_histograms_kernelINS1_34wrapped_radix_sort_onesweep_configINS0_14default_configElN2at4cuda3cub6detail10OpaqueTypeILi8EEEEELb1EPKlmNS0_19identity_decomposerEEEvT1_PT2_SG_SG_T3_jj,comdat
.Lfunc_end107:
	.size	_ZN7rocprim17ROCPRIM_304000_NS6detail26onesweep_histograms_kernelINS1_34wrapped_radix_sort_onesweep_configINS0_14default_configElN2at4cuda3cub6detail10OpaqueTypeILi8EEEEELb1EPKlmNS0_19identity_decomposerEEEvT1_PT2_SG_SG_T3_jj, .Lfunc_end107-_ZN7rocprim17ROCPRIM_304000_NS6detail26onesweep_histograms_kernelINS1_34wrapped_radix_sort_onesweep_configINS0_14default_configElN2at4cuda3cub6detail10OpaqueTypeILi8EEEEELb1EPKlmNS0_19identity_decomposerEEEvT1_PT2_SG_SG_T3_jj
                                        ; -- End function
	.set _ZN7rocprim17ROCPRIM_304000_NS6detail26onesweep_histograms_kernelINS1_34wrapped_radix_sort_onesweep_configINS0_14default_configElN2at4cuda3cub6detail10OpaqueTypeILi8EEEEELb1EPKlmNS0_19identity_decomposerEEEvT1_PT2_SG_SG_T3_jj.num_vgpr, 25
	.set _ZN7rocprim17ROCPRIM_304000_NS6detail26onesweep_histograms_kernelINS1_34wrapped_radix_sort_onesweep_configINS0_14default_configElN2at4cuda3cub6detail10OpaqueTypeILi8EEEEELb1EPKlmNS0_19identity_decomposerEEEvT1_PT2_SG_SG_T3_jj.num_agpr, 0
	.set _ZN7rocprim17ROCPRIM_304000_NS6detail26onesweep_histograms_kernelINS1_34wrapped_radix_sort_onesweep_configINS0_14default_configElN2at4cuda3cub6detail10OpaqueTypeILi8EEEEELb1EPKlmNS0_19identity_decomposerEEEvT1_PT2_SG_SG_T3_jj.numbered_sgpr, 26
	.set _ZN7rocprim17ROCPRIM_304000_NS6detail26onesweep_histograms_kernelINS1_34wrapped_radix_sort_onesweep_configINS0_14default_configElN2at4cuda3cub6detail10OpaqueTypeILi8EEEEELb1EPKlmNS0_19identity_decomposerEEEvT1_PT2_SG_SG_T3_jj.num_named_barrier, 0
	.set _ZN7rocprim17ROCPRIM_304000_NS6detail26onesweep_histograms_kernelINS1_34wrapped_radix_sort_onesweep_configINS0_14default_configElN2at4cuda3cub6detail10OpaqueTypeILi8EEEEELb1EPKlmNS0_19identity_decomposerEEEvT1_PT2_SG_SG_T3_jj.private_seg_size, 0
	.set _ZN7rocprim17ROCPRIM_304000_NS6detail26onesweep_histograms_kernelINS1_34wrapped_radix_sort_onesweep_configINS0_14default_configElN2at4cuda3cub6detail10OpaqueTypeILi8EEEEELb1EPKlmNS0_19identity_decomposerEEEvT1_PT2_SG_SG_T3_jj.uses_vcc, 1
	.set _ZN7rocprim17ROCPRIM_304000_NS6detail26onesweep_histograms_kernelINS1_34wrapped_radix_sort_onesweep_configINS0_14default_configElN2at4cuda3cub6detail10OpaqueTypeILi8EEEEELb1EPKlmNS0_19identity_decomposerEEEvT1_PT2_SG_SG_T3_jj.uses_flat_scratch, 0
	.set _ZN7rocprim17ROCPRIM_304000_NS6detail26onesweep_histograms_kernelINS1_34wrapped_radix_sort_onesweep_configINS0_14default_configElN2at4cuda3cub6detail10OpaqueTypeILi8EEEEELb1EPKlmNS0_19identity_decomposerEEEvT1_PT2_SG_SG_T3_jj.has_dyn_sized_stack, 0
	.set _ZN7rocprim17ROCPRIM_304000_NS6detail26onesweep_histograms_kernelINS1_34wrapped_radix_sort_onesweep_configINS0_14default_configElN2at4cuda3cub6detail10OpaqueTypeILi8EEEEELb1EPKlmNS0_19identity_decomposerEEEvT1_PT2_SG_SG_T3_jj.has_recursion, 0
	.set _ZN7rocprim17ROCPRIM_304000_NS6detail26onesweep_histograms_kernelINS1_34wrapped_radix_sort_onesweep_configINS0_14default_configElN2at4cuda3cub6detail10OpaqueTypeILi8EEEEELb1EPKlmNS0_19identity_decomposerEEEvT1_PT2_SG_SG_T3_jj.has_indirect_call, 0
	.section	.AMDGPU.csdata,"",@progbits
; Kernel info:
; codeLenInByte = 4092
; TotalNumSgprs: 30
; NumVgprs: 25
; ScratchSize: 0
; MemoryBound: 1
; FloatMode: 240
; IeeeMode: 1
; LDSByteSize: 32768 bytes/workgroup (compile time only)
; SGPRBlocks: 12
; VGPRBlocks: 12
; NumSGPRsForWavesPerEU: 102
; NumVGPRsForWavesPerEU: 49
; Occupancy: 4
; WaveLimiterHint : 1
; COMPUTE_PGM_RSRC2:SCRATCH_EN: 0
; COMPUTE_PGM_RSRC2:USER_SGPR: 6
; COMPUTE_PGM_RSRC2:TRAP_HANDLER: 0
; COMPUTE_PGM_RSRC2:TGID_X_EN: 1
; COMPUTE_PGM_RSRC2:TGID_Y_EN: 0
; COMPUTE_PGM_RSRC2:TGID_Z_EN: 0
; COMPUTE_PGM_RSRC2:TIDIG_COMP_CNT: 0
	.section	.text._ZN7rocprim17ROCPRIM_304000_NS6detail31onesweep_scan_histograms_kernelINS1_34wrapped_radix_sort_onesweep_configINS0_14default_configElN2at4cuda3cub6detail10OpaqueTypeILi8EEEEEmEEvPT0_,"axG",@progbits,_ZN7rocprim17ROCPRIM_304000_NS6detail31onesweep_scan_histograms_kernelINS1_34wrapped_radix_sort_onesweep_configINS0_14default_configElN2at4cuda3cub6detail10OpaqueTypeILi8EEEEEmEEvPT0_,comdat
	.protected	_ZN7rocprim17ROCPRIM_304000_NS6detail31onesweep_scan_histograms_kernelINS1_34wrapped_radix_sort_onesweep_configINS0_14default_configElN2at4cuda3cub6detail10OpaqueTypeILi8EEEEEmEEvPT0_ ; -- Begin function _ZN7rocprim17ROCPRIM_304000_NS6detail31onesweep_scan_histograms_kernelINS1_34wrapped_radix_sort_onesweep_configINS0_14default_configElN2at4cuda3cub6detail10OpaqueTypeILi8EEEEEmEEvPT0_
	.globl	_ZN7rocprim17ROCPRIM_304000_NS6detail31onesweep_scan_histograms_kernelINS1_34wrapped_radix_sort_onesweep_configINS0_14default_configElN2at4cuda3cub6detail10OpaqueTypeILi8EEEEEmEEvPT0_
	.p2align	8
	.type	_ZN7rocprim17ROCPRIM_304000_NS6detail31onesweep_scan_histograms_kernelINS1_34wrapped_radix_sort_onesweep_configINS0_14default_configElN2at4cuda3cub6detail10OpaqueTypeILi8EEEEEmEEvPT0_,@function
_ZN7rocprim17ROCPRIM_304000_NS6detail31onesweep_scan_histograms_kernelINS1_34wrapped_radix_sort_onesweep_configINS0_14default_configElN2at4cuda3cub6detail10OpaqueTypeILi8EEEEEmEEvPT0_: ; @_ZN7rocprim17ROCPRIM_304000_NS6detail31onesweep_scan_histograms_kernelINS1_34wrapped_radix_sort_onesweep_configINS0_14default_configElN2at4cuda3cub6detail10OpaqueTypeILi8EEEEEmEEvPT0_
; %bb.0:
	s_load_dwordx2 s[0:1], s[4:5], 0x0
	s_lshl_b32 s2, s6, 8
	s_mov_b32 s3, 0
	s_lshl_b64 s[2:3], s[2:3], 3
	v_lshlrev_b32_e32 v5, 3, v0
	s_waitcnt lgkmcnt(0)
	s_add_u32 s2, s0, s2
	s_movk_i32 s0, 0x100
	s_addc_u32 s3, s1, s3
	v_cmp_gt_u32_e32 vcc, s0, v0
                                        ; implicit-def: $vgpr1_vgpr2
	s_and_saveexec_b64 s[0:1], vcc
	s_cbranch_execz .LBB108_2
; %bb.1:
	global_load_dwordx2 v[1:2], v5, s[2:3]
.LBB108_2:
	s_or_b64 exec, exec, s[0:1]
	v_mbcnt_lo_u32_b32 v3, -1, 0
	v_mbcnt_hi_u32_b32 v6, -1, v3
	v_and_b32_e32 v4, 15, v6
	s_waitcnt vmcnt(0)
	v_mov_b32_dpp v8, v1 row_shr:1 row_mask:0xf bank_mask:0xf
	v_mov_b32_dpp v7, v2 row_shr:1 row_mask:0xf bank_mask:0xf
	v_cmp_ne_u32_e64 s[0:1], 0, v4
	v_mov_b32_e32 v3, v1
	s_and_saveexec_b64 s[4:5], s[0:1]
; %bb.3:
	v_add_co_u32_e64 v3, s[0:1], v1, v8
	v_addc_co_u32_e64 v2, s[0:1], 0, v2, s[0:1]
	v_add_co_u32_e64 v1, s[0:1], 0, v3
	v_addc_co_u32_e64 v2, s[0:1], v7, v2, s[0:1]
; %bb.4:
	s_or_b64 exec, exec, s[4:5]
	v_mov_b32_dpp v8, v3 row_shr:2 row_mask:0xf bank_mask:0xf
	v_mov_b32_dpp v7, v2 row_shr:2 row_mask:0xf bank_mask:0xf
	v_cmp_lt_u32_e64 s[0:1], 1, v4
	s_and_saveexec_b64 s[4:5], s[0:1]
; %bb.5:
	v_add_co_u32_e64 v3, s[0:1], v1, v8
	v_addc_co_u32_e64 v2, s[0:1], 0, v2, s[0:1]
	v_add_co_u32_e64 v1, s[0:1], 0, v3
	v_addc_co_u32_e64 v2, s[0:1], v7, v2, s[0:1]
; %bb.6:
	s_or_b64 exec, exec, s[4:5]
	v_mov_b32_dpp v8, v3 row_shr:4 row_mask:0xf bank_mask:0xf
	v_mov_b32_dpp v7, v2 row_shr:4 row_mask:0xf bank_mask:0xf
	v_cmp_lt_u32_e64 s[0:1], 3, v4
	s_and_saveexec_b64 s[4:5], s[0:1]
; %bb.7:
	v_add_co_u32_e64 v3, s[0:1], v1, v8
	v_addc_co_u32_e64 v2, s[0:1], 0, v2, s[0:1]
	v_add_co_u32_e64 v1, s[0:1], 0, v3
	v_addc_co_u32_e64 v2, s[0:1], v7, v2, s[0:1]
; %bb.8:
	s_or_b64 exec, exec, s[4:5]
	v_mov_b32_dpp v8, v3 row_shr:8 row_mask:0xf bank_mask:0xf
	v_mov_b32_dpp v7, v2 row_shr:8 row_mask:0xf bank_mask:0xf
	v_cmp_lt_u32_e64 s[0:1], 7, v4
	s_and_saveexec_b64 s[4:5], s[0:1]
; %bb.9:
	v_add_co_u32_e64 v3, s[0:1], v1, v8
	v_addc_co_u32_e64 v2, s[0:1], 0, v2, s[0:1]
	v_add_co_u32_e64 v1, s[0:1], 0, v3
	v_addc_co_u32_e64 v2, s[0:1], v7, v2, s[0:1]
; %bb.10:
	s_or_b64 exec, exec, s[4:5]
	v_and_b32_e32 v8, 16, v6
	v_mov_b32_dpp v7, v3 row_bcast:15 row_mask:0xf bank_mask:0xf
	v_mov_b32_dpp v4, v2 row_bcast:15 row_mask:0xf bank_mask:0xf
	v_cmp_ne_u32_e64 s[0:1], 0, v8
	s_and_saveexec_b64 s[4:5], s[0:1]
; %bb.11:
	v_add_co_u32_e64 v3, s[0:1], v1, v7
	v_addc_co_u32_e64 v2, s[0:1], 0, v2, s[0:1]
	v_add_co_u32_e64 v1, s[0:1], 0, v3
	v_addc_co_u32_e64 v2, s[0:1], v4, v2, s[0:1]
; %bb.12:
	s_or_b64 exec, exec, s[4:5]
	v_mov_b32_dpp v3, v3 row_bcast:31 row_mask:0xf bank_mask:0xf
	v_add_co_u32_e64 v3, s[0:1], v1, v3
	v_addc_co_u32_e64 v7, s[0:1], 0, v2, s[0:1]
	v_mov_b32_dpp v4, v2 row_bcast:31 row_mask:0xf bank_mask:0xf
	v_add_co_u32_e64 v3, s[0:1], 0, v3
	v_addc_co_u32_e64 v4, s[0:1], v7, v4, s[0:1]
	v_cmp_lt_u32_e64 s[0:1], 31, v6
	v_cndmask_b32_e64 v1, v1, v3, s[0:1]
	v_or_b32_e32 v3, 63, v0
	v_cndmask_b32_e64 v2, v2, v4, s[0:1]
	v_lshrrev_b32_e32 v7, 6, v0
	v_cmp_eq_u32_e64 s[0:1], v0, v3
	s_and_saveexec_b64 s[4:5], s[0:1]
; %bb.13:
	v_lshlrev_b32_e32 v3, 3, v7
	ds_write_b64 v3, v[1:2]
; %bb.14:
	s_or_b64 exec, exec, s[4:5]
	v_cmp_gt_u32_e64 s[0:1], 8, v0
	s_waitcnt lgkmcnt(0)
	s_barrier
	s_and_saveexec_b64 s[4:5], s[0:1]
	s_cbranch_execz .LBB108_20
; %bb.15:
	ds_read_b64 v[3:4], v5
	v_and_b32_e32 v8, 7, v6
	v_cmp_ne_u32_e64 s[0:1], 0, v8
	s_waitcnt lgkmcnt(0)
	v_mov_b32_dpp v11, v3 row_shr:1 row_mask:0xf bank_mask:0xf
	v_mov_b32_dpp v10, v4 row_shr:1 row_mask:0xf bank_mask:0xf
	v_mov_b32_e32 v9, v3
	s_and_saveexec_b64 s[6:7], s[0:1]
; %bb.16:
	v_add_co_u32_e64 v9, s[0:1], v3, v11
	v_addc_co_u32_e64 v4, s[0:1], 0, v4, s[0:1]
	v_add_co_u32_e64 v3, s[0:1], 0, v9
	v_addc_co_u32_e64 v4, s[0:1], v10, v4, s[0:1]
; %bb.17:
	s_or_b64 exec, exec, s[6:7]
	v_mov_b32_dpp v11, v9 row_shr:2 row_mask:0xf bank_mask:0xf
	v_mov_b32_dpp v10, v4 row_shr:2 row_mask:0xf bank_mask:0xf
	v_cmp_lt_u32_e64 s[0:1], 1, v8
	s_and_saveexec_b64 s[6:7], s[0:1]
; %bb.18:
	v_add_co_u32_e64 v9, s[0:1], v3, v11
	v_addc_co_u32_e64 v4, s[0:1], 0, v4, s[0:1]
	v_add_co_u32_e64 v3, s[0:1], 0, v9
	v_addc_co_u32_e64 v4, s[0:1], v10, v4, s[0:1]
; %bb.19:
	s_or_b64 exec, exec, s[6:7]
	v_mov_b32_dpp v9, v9 row_shr:4 row_mask:0xf bank_mask:0xf
	v_cmp_lt_u32_e64 s[0:1], 3, v8
	v_mov_b32_dpp v10, v4 row_shr:4 row_mask:0xf bank_mask:0xf
	v_cndmask_b32_e64 v9, 0, v9, s[0:1]
	v_cndmask_b32_e64 v8, 0, v10, s[0:1]
	v_add_co_u32_e64 v3, s[0:1], v9, v3
	v_addc_co_u32_e64 v4, s[0:1], v8, v4, s[0:1]
	ds_write_b64 v5, v[3:4]
.LBB108_20:
	s_or_b64 exec, exec, s[4:5]
	v_mov_b32_e32 v3, 0
	v_mov_b32_e32 v4, 0
	v_cmp_lt_u32_e64 s[0:1], 63, v0
	s_waitcnt lgkmcnt(0)
	s_barrier
	s_and_saveexec_b64 s[4:5], s[0:1]
; %bb.21:
	v_lshl_add_u32 v0, v7, 3, -8
	ds_read_b64 v[3:4], v0
; %bb.22:
	s_or_b64 exec, exec, s[4:5]
	s_waitcnt lgkmcnt(0)
	v_add_co_u32_e64 v0, s[0:1], v3, v1
	v_addc_co_u32_e64 v1, s[0:1], v4, v2, s[0:1]
	v_add_u32_e32 v2, -1, v6
	v_and_b32_e32 v7, 64, v6
	v_cmp_lt_i32_e64 s[0:1], v2, v7
	v_cndmask_b32_e64 v2, v2, v6, s[0:1]
	v_lshlrev_b32_e32 v2, 2, v2
	ds_bpermute_b32 v0, v2, v0
	ds_bpermute_b32 v1, v2, v1
	s_and_saveexec_b64 s[0:1], vcc
	s_cbranch_execz .LBB108_24
; %bb.23:
	v_cmp_eq_u32_e32 vcc, 0, v6
	s_waitcnt lgkmcnt(0)
	v_cndmask_b32_e32 v1, v1, v4, vcc
	v_cndmask_b32_e32 v0, v0, v3, vcc
	global_store_dwordx2 v5, v[0:1], s[2:3]
.LBB108_24:
	s_endpgm
	.section	.rodata,"a",@progbits
	.p2align	6, 0x0
	.amdhsa_kernel _ZN7rocprim17ROCPRIM_304000_NS6detail31onesweep_scan_histograms_kernelINS1_34wrapped_radix_sort_onesweep_configINS0_14default_configElN2at4cuda3cub6detail10OpaqueTypeILi8EEEEEmEEvPT0_
		.amdhsa_group_segment_fixed_size 64
		.amdhsa_private_segment_fixed_size 0
		.amdhsa_kernarg_size 8
		.amdhsa_user_sgpr_count 6
		.amdhsa_user_sgpr_private_segment_buffer 1
		.amdhsa_user_sgpr_dispatch_ptr 0
		.amdhsa_user_sgpr_queue_ptr 0
		.amdhsa_user_sgpr_kernarg_segment_ptr 1
		.amdhsa_user_sgpr_dispatch_id 0
		.amdhsa_user_sgpr_flat_scratch_init 0
		.amdhsa_user_sgpr_private_segment_size 0
		.amdhsa_uses_dynamic_stack 0
		.amdhsa_system_sgpr_private_segment_wavefront_offset 0
		.amdhsa_system_sgpr_workgroup_id_x 1
		.amdhsa_system_sgpr_workgroup_id_y 0
		.amdhsa_system_sgpr_workgroup_id_z 0
		.amdhsa_system_sgpr_workgroup_info 0
		.amdhsa_system_vgpr_workitem_id 0
		.amdhsa_next_free_vgpr 12
		.amdhsa_next_free_sgpr 8
		.amdhsa_reserve_vcc 1
		.amdhsa_reserve_flat_scratch 0
		.amdhsa_float_round_mode_32 0
		.amdhsa_float_round_mode_16_64 0
		.amdhsa_float_denorm_mode_32 3
		.amdhsa_float_denorm_mode_16_64 3
		.amdhsa_dx10_clamp 1
		.amdhsa_ieee_mode 1
		.amdhsa_fp16_overflow 0
		.amdhsa_exception_fp_ieee_invalid_op 0
		.amdhsa_exception_fp_denorm_src 0
		.amdhsa_exception_fp_ieee_div_zero 0
		.amdhsa_exception_fp_ieee_overflow 0
		.amdhsa_exception_fp_ieee_underflow 0
		.amdhsa_exception_fp_ieee_inexact 0
		.amdhsa_exception_int_div_zero 0
	.end_amdhsa_kernel
	.section	.text._ZN7rocprim17ROCPRIM_304000_NS6detail31onesweep_scan_histograms_kernelINS1_34wrapped_radix_sort_onesweep_configINS0_14default_configElN2at4cuda3cub6detail10OpaqueTypeILi8EEEEEmEEvPT0_,"axG",@progbits,_ZN7rocprim17ROCPRIM_304000_NS6detail31onesweep_scan_histograms_kernelINS1_34wrapped_radix_sort_onesweep_configINS0_14default_configElN2at4cuda3cub6detail10OpaqueTypeILi8EEEEEmEEvPT0_,comdat
.Lfunc_end108:
	.size	_ZN7rocprim17ROCPRIM_304000_NS6detail31onesweep_scan_histograms_kernelINS1_34wrapped_radix_sort_onesweep_configINS0_14default_configElN2at4cuda3cub6detail10OpaqueTypeILi8EEEEEmEEvPT0_, .Lfunc_end108-_ZN7rocprim17ROCPRIM_304000_NS6detail31onesweep_scan_histograms_kernelINS1_34wrapped_radix_sort_onesweep_configINS0_14default_configElN2at4cuda3cub6detail10OpaqueTypeILi8EEEEEmEEvPT0_
                                        ; -- End function
	.set _ZN7rocprim17ROCPRIM_304000_NS6detail31onesweep_scan_histograms_kernelINS1_34wrapped_radix_sort_onesweep_configINS0_14default_configElN2at4cuda3cub6detail10OpaqueTypeILi8EEEEEmEEvPT0_.num_vgpr, 12
	.set _ZN7rocprim17ROCPRIM_304000_NS6detail31onesweep_scan_histograms_kernelINS1_34wrapped_radix_sort_onesweep_configINS0_14default_configElN2at4cuda3cub6detail10OpaqueTypeILi8EEEEEmEEvPT0_.num_agpr, 0
	.set _ZN7rocprim17ROCPRIM_304000_NS6detail31onesweep_scan_histograms_kernelINS1_34wrapped_radix_sort_onesweep_configINS0_14default_configElN2at4cuda3cub6detail10OpaqueTypeILi8EEEEEmEEvPT0_.numbered_sgpr, 8
	.set _ZN7rocprim17ROCPRIM_304000_NS6detail31onesweep_scan_histograms_kernelINS1_34wrapped_radix_sort_onesweep_configINS0_14default_configElN2at4cuda3cub6detail10OpaqueTypeILi8EEEEEmEEvPT0_.num_named_barrier, 0
	.set _ZN7rocprim17ROCPRIM_304000_NS6detail31onesweep_scan_histograms_kernelINS1_34wrapped_radix_sort_onesweep_configINS0_14default_configElN2at4cuda3cub6detail10OpaqueTypeILi8EEEEEmEEvPT0_.private_seg_size, 0
	.set _ZN7rocprim17ROCPRIM_304000_NS6detail31onesweep_scan_histograms_kernelINS1_34wrapped_radix_sort_onesweep_configINS0_14default_configElN2at4cuda3cub6detail10OpaqueTypeILi8EEEEEmEEvPT0_.uses_vcc, 1
	.set _ZN7rocprim17ROCPRIM_304000_NS6detail31onesweep_scan_histograms_kernelINS1_34wrapped_radix_sort_onesweep_configINS0_14default_configElN2at4cuda3cub6detail10OpaqueTypeILi8EEEEEmEEvPT0_.uses_flat_scratch, 0
	.set _ZN7rocprim17ROCPRIM_304000_NS6detail31onesweep_scan_histograms_kernelINS1_34wrapped_radix_sort_onesweep_configINS0_14default_configElN2at4cuda3cub6detail10OpaqueTypeILi8EEEEEmEEvPT0_.has_dyn_sized_stack, 0
	.set _ZN7rocprim17ROCPRIM_304000_NS6detail31onesweep_scan_histograms_kernelINS1_34wrapped_radix_sort_onesweep_configINS0_14default_configElN2at4cuda3cub6detail10OpaqueTypeILi8EEEEEmEEvPT0_.has_recursion, 0
	.set _ZN7rocprim17ROCPRIM_304000_NS6detail31onesweep_scan_histograms_kernelINS1_34wrapped_radix_sort_onesweep_configINS0_14default_configElN2at4cuda3cub6detail10OpaqueTypeILi8EEEEEmEEvPT0_.has_indirect_call, 0
	.section	.AMDGPU.csdata,"",@progbits
; Kernel info:
; codeLenInByte = 912
; TotalNumSgprs: 12
; NumVgprs: 12
; ScratchSize: 0
; MemoryBound: 0
; FloatMode: 240
; IeeeMode: 1
; LDSByteSize: 64 bytes/workgroup (compile time only)
; SGPRBlocks: 1
; VGPRBlocks: 2
; NumSGPRsForWavesPerEU: 12
; NumVGPRsForWavesPerEU: 12
; Occupancy: 10
; WaveLimiterHint : 0
; COMPUTE_PGM_RSRC2:SCRATCH_EN: 0
; COMPUTE_PGM_RSRC2:USER_SGPR: 6
; COMPUTE_PGM_RSRC2:TRAP_HANDLER: 0
; COMPUTE_PGM_RSRC2:TGID_X_EN: 1
; COMPUTE_PGM_RSRC2:TGID_Y_EN: 0
; COMPUTE_PGM_RSRC2:TGID_Z_EN: 0
; COMPUTE_PGM_RSRC2:TIDIG_COMP_CNT: 0
	.section	.text._ZN7rocprim17ROCPRIM_304000_NS6detail16transform_kernelINS1_24wrapped_transform_configINS0_14default_configElEElPKlPlNS0_8identityIlEEEEvT1_mT2_T3_,"axG",@progbits,_ZN7rocprim17ROCPRIM_304000_NS6detail16transform_kernelINS1_24wrapped_transform_configINS0_14default_configElEElPKlPlNS0_8identityIlEEEEvT1_mT2_T3_,comdat
	.protected	_ZN7rocprim17ROCPRIM_304000_NS6detail16transform_kernelINS1_24wrapped_transform_configINS0_14default_configElEElPKlPlNS0_8identityIlEEEEvT1_mT2_T3_ ; -- Begin function _ZN7rocprim17ROCPRIM_304000_NS6detail16transform_kernelINS1_24wrapped_transform_configINS0_14default_configElEElPKlPlNS0_8identityIlEEEEvT1_mT2_T3_
	.globl	_ZN7rocprim17ROCPRIM_304000_NS6detail16transform_kernelINS1_24wrapped_transform_configINS0_14default_configElEElPKlPlNS0_8identityIlEEEEvT1_mT2_T3_
	.p2align	8
	.type	_ZN7rocprim17ROCPRIM_304000_NS6detail16transform_kernelINS1_24wrapped_transform_configINS0_14default_configElEElPKlPlNS0_8identityIlEEEEvT1_mT2_T3_,@function
_ZN7rocprim17ROCPRIM_304000_NS6detail16transform_kernelINS1_24wrapped_transform_configINS0_14default_configElEElPKlPlNS0_8identityIlEEEEvT1_mT2_T3_: ; @_ZN7rocprim17ROCPRIM_304000_NS6detail16transform_kernelINS1_24wrapped_transform_configINS0_14default_configElEElPKlPlNS0_8identityIlEEEEvT1_mT2_T3_
; %bb.0:
	s_load_dword s7, s[4:5], 0x20
	s_load_dwordx4 s[0:3], s[4:5], 0x0
	s_lshl_b32 s8, s6, 9
	s_waitcnt lgkmcnt(0)
	s_add_i32 s7, s7, -1
	s_cmp_lg_u32 s6, s7
	s_cselect_b64 s[6:7], -1, 0
	s_sub_i32 s2, s2, s8
	v_cmp_gt_u32_e32 vcc, s2, v0
	s_or_b64 s[2:3], vcc, s[6:7]
	s_and_saveexec_b64 s[6:7], s[2:3]
	s_cbranch_execz .LBB109_2
; %bb.1:
	s_load_dwordx2 s[2:3], s[4:5], 0x10
	s_mov_b32 s9, 0
	s_lshl_b64 s[4:5], s[8:9], 3
	v_lshlrev_b32_e32 v2, 3, v0
	s_waitcnt lgkmcnt(0)
	s_add_u32 s2, s2, s4
	s_addc_u32 s3, s3, s5
	s_add_u32 s0, s0, s4
	s_addc_u32 s1, s1, s5
	global_load_dwordx2 v[0:1], v2, s[0:1]
	s_waitcnt vmcnt(0)
	global_store_dwordx2 v2, v[0:1], s[2:3]
.LBB109_2:
	s_endpgm
	.section	.rodata,"a",@progbits
	.p2align	6, 0x0
	.amdhsa_kernel _ZN7rocprim17ROCPRIM_304000_NS6detail16transform_kernelINS1_24wrapped_transform_configINS0_14default_configElEElPKlPlNS0_8identityIlEEEEvT1_mT2_T3_
		.amdhsa_group_segment_fixed_size 0
		.amdhsa_private_segment_fixed_size 0
		.amdhsa_kernarg_size 288
		.amdhsa_user_sgpr_count 6
		.amdhsa_user_sgpr_private_segment_buffer 1
		.amdhsa_user_sgpr_dispatch_ptr 0
		.amdhsa_user_sgpr_queue_ptr 0
		.amdhsa_user_sgpr_kernarg_segment_ptr 1
		.amdhsa_user_sgpr_dispatch_id 0
		.amdhsa_user_sgpr_flat_scratch_init 0
		.amdhsa_user_sgpr_private_segment_size 0
		.amdhsa_uses_dynamic_stack 0
		.amdhsa_system_sgpr_private_segment_wavefront_offset 0
		.amdhsa_system_sgpr_workgroup_id_x 1
		.amdhsa_system_sgpr_workgroup_id_y 0
		.amdhsa_system_sgpr_workgroup_id_z 0
		.amdhsa_system_sgpr_workgroup_info 0
		.amdhsa_system_vgpr_workitem_id 0
		.amdhsa_next_free_vgpr 3
		.amdhsa_next_free_sgpr 10
		.amdhsa_reserve_vcc 1
		.amdhsa_reserve_flat_scratch 0
		.amdhsa_float_round_mode_32 0
		.amdhsa_float_round_mode_16_64 0
		.amdhsa_float_denorm_mode_32 3
		.amdhsa_float_denorm_mode_16_64 3
		.amdhsa_dx10_clamp 1
		.amdhsa_ieee_mode 1
		.amdhsa_fp16_overflow 0
		.amdhsa_exception_fp_ieee_invalid_op 0
		.amdhsa_exception_fp_denorm_src 0
		.amdhsa_exception_fp_ieee_div_zero 0
		.amdhsa_exception_fp_ieee_overflow 0
		.amdhsa_exception_fp_ieee_underflow 0
		.amdhsa_exception_fp_ieee_inexact 0
		.amdhsa_exception_int_div_zero 0
	.end_amdhsa_kernel
	.section	.text._ZN7rocprim17ROCPRIM_304000_NS6detail16transform_kernelINS1_24wrapped_transform_configINS0_14default_configElEElPKlPlNS0_8identityIlEEEEvT1_mT2_T3_,"axG",@progbits,_ZN7rocprim17ROCPRIM_304000_NS6detail16transform_kernelINS1_24wrapped_transform_configINS0_14default_configElEElPKlPlNS0_8identityIlEEEEvT1_mT2_T3_,comdat
.Lfunc_end109:
	.size	_ZN7rocprim17ROCPRIM_304000_NS6detail16transform_kernelINS1_24wrapped_transform_configINS0_14default_configElEElPKlPlNS0_8identityIlEEEEvT1_mT2_T3_, .Lfunc_end109-_ZN7rocprim17ROCPRIM_304000_NS6detail16transform_kernelINS1_24wrapped_transform_configINS0_14default_configElEElPKlPlNS0_8identityIlEEEEvT1_mT2_T3_
                                        ; -- End function
	.set _ZN7rocprim17ROCPRIM_304000_NS6detail16transform_kernelINS1_24wrapped_transform_configINS0_14default_configElEElPKlPlNS0_8identityIlEEEEvT1_mT2_T3_.num_vgpr, 3
	.set _ZN7rocprim17ROCPRIM_304000_NS6detail16transform_kernelINS1_24wrapped_transform_configINS0_14default_configElEElPKlPlNS0_8identityIlEEEEvT1_mT2_T3_.num_agpr, 0
	.set _ZN7rocprim17ROCPRIM_304000_NS6detail16transform_kernelINS1_24wrapped_transform_configINS0_14default_configElEElPKlPlNS0_8identityIlEEEEvT1_mT2_T3_.numbered_sgpr, 10
	.set _ZN7rocprim17ROCPRIM_304000_NS6detail16transform_kernelINS1_24wrapped_transform_configINS0_14default_configElEElPKlPlNS0_8identityIlEEEEvT1_mT2_T3_.num_named_barrier, 0
	.set _ZN7rocprim17ROCPRIM_304000_NS6detail16transform_kernelINS1_24wrapped_transform_configINS0_14default_configElEElPKlPlNS0_8identityIlEEEEvT1_mT2_T3_.private_seg_size, 0
	.set _ZN7rocprim17ROCPRIM_304000_NS6detail16transform_kernelINS1_24wrapped_transform_configINS0_14default_configElEElPKlPlNS0_8identityIlEEEEvT1_mT2_T3_.uses_vcc, 1
	.set _ZN7rocprim17ROCPRIM_304000_NS6detail16transform_kernelINS1_24wrapped_transform_configINS0_14default_configElEElPKlPlNS0_8identityIlEEEEvT1_mT2_T3_.uses_flat_scratch, 0
	.set _ZN7rocprim17ROCPRIM_304000_NS6detail16transform_kernelINS1_24wrapped_transform_configINS0_14default_configElEElPKlPlNS0_8identityIlEEEEvT1_mT2_T3_.has_dyn_sized_stack, 0
	.set _ZN7rocprim17ROCPRIM_304000_NS6detail16transform_kernelINS1_24wrapped_transform_configINS0_14default_configElEElPKlPlNS0_8identityIlEEEEvT1_mT2_T3_.has_recursion, 0
	.set _ZN7rocprim17ROCPRIM_304000_NS6detail16transform_kernelINS1_24wrapped_transform_configINS0_14default_configElEElPKlPlNS0_8identityIlEEEEvT1_mT2_T3_.has_indirect_call, 0
	.section	.AMDGPU.csdata,"",@progbits
; Kernel info:
; codeLenInByte = 120
; TotalNumSgprs: 14
; NumVgprs: 3
; ScratchSize: 0
; MemoryBound: 0
; FloatMode: 240
; IeeeMode: 1
; LDSByteSize: 0 bytes/workgroup (compile time only)
; SGPRBlocks: 1
; VGPRBlocks: 0
; NumSGPRsForWavesPerEU: 14
; NumVGPRsForWavesPerEU: 3
; Occupancy: 10
; WaveLimiterHint : 0
; COMPUTE_PGM_RSRC2:SCRATCH_EN: 0
; COMPUTE_PGM_RSRC2:USER_SGPR: 6
; COMPUTE_PGM_RSRC2:TRAP_HANDLER: 0
; COMPUTE_PGM_RSRC2:TGID_X_EN: 1
; COMPUTE_PGM_RSRC2:TGID_Y_EN: 0
; COMPUTE_PGM_RSRC2:TGID_Z_EN: 0
; COMPUTE_PGM_RSRC2:TIDIG_COMP_CNT: 0
	.section	.text._ZN7rocprim17ROCPRIM_304000_NS6detail25onesweep_iteration_kernelINS1_34wrapped_radix_sort_onesweep_configINS0_14default_configElN2at4cuda3cub6detail10OpaqueTypeILi8EEEEELb1EPKlPlPKSA_PSA_mNS0_19identity_decomposerEEEvT1_T2_T3_T4_jPT5_SO_PNS1_23onesweep_lookback_stateET6_jjj,"axG",@progbits,_ZN7rocprim17ROCPRIM_304000_NS6detail25onesweep_iteration_kernelINS1_34wrapped_radix_sort_onesweep_configINS0_14default_configElN2at4cuda3cub6detail10OpaqueTypeILi8EEEEELb1EPKlPlPKSA_PSA_mNS0_19identity_decomposerEEEvT1_T2_T3_T4_jPT5_SO_PNS1_23onesweep_lookback_stateET6_jjj,comdat
	.protected	_ZN7rocprim17ROCPRIM_304000_NS6detail25onesweep_iteration_kernelINS1_34wrapped_radix_sort_onesweep_configINS0_14default_configElN2at4cuda3cub6detail10OpaqueTypeILi8EEEEELb1EPKlPlPKSA_PSA_mNS0_19identity_decomposerEEEvT1_T2_T3_T4_jPT5_SO_PNS1_23onesweep_lookback_stateET6_jjj ; -- Begin function _ZN7rocprim17ROCPRIM_304000_NS6detail25onesweep_iteration_kernelINS1_34wrapped_radix_sort_onesweep_configINS0_14default_configElN2at4cuda3cub6detail10OpaqueTypeILi8EEEEELb1EPKlPlPKSA_PSA_mNS0_19identity_decomposerEEEvT1_T2_T3_T4_jPT5_SO_PNS1_23onesweep_lookback_stateET6_jjj
	.globl	_ZN7rocprim17ROCPRIM_304000_NS6detail25onesweep_iteration_kernelINS1_34wrapped_radix_sort_onesweep_configINS0_14default_configElN2at4cuda3cub6detail10OpaqueTypeILi8EEEEELb1EPKlPlPKSA_PSA_mNS0_19identity_decomposerEEEvT1_T2_T3_T4_jPT5_SO_PNS1_23onesweep_lookback_stateET6_jjj
	.p2align	8
	.type	_ZN7rocprim17ROCPRIM_304000_NS6detail25onesweep_iteration_kernelINS1_34wrapped_radix_sort_onesweep_configINS0_14default_configElN2at4cuda3cub6detail10OpaqueTypeILi8EEEEELb1EPKlPlPKSA_PSA_mNS0_19identity_decomposerEEEvT1_T2_T3_T4_jPT5_SO_PNS1_23onesweep_lookback_stateET6_jjj,@function
_ZN7rocprim17ROCPRIM_304000_NS6detail25onesweep_iteration_kernelINS1_34wrapped_radix_sort_onesweep_configINS0_14default_configElN2at4cuda3cub6detail10OpaqueTypeILi8EEEEELb1EPKlPlPKSA_PSA_mNS0_19identity_decomposerEEEvT1_T2_T3_T4_jPT5_SO_PNS1_23onesweep_lookback_stateET6_jjj: ; @_ZN7rocprim17ROCPRIM_304000_NS6detail25onesweep_iteration_kernelINS1_34wrapped_radix_sort_onesweep_configINS0_14default_configElN2at4cuda3cub6detail10OpaqueTypeILi8EEEEELb1EPKlPlPKSA_PSA_mNS0_19identity_decomposerEEEvT1_T2_T3_T4_jPT5_SO_PNS1_23onesweep_lookback_stateET6_jjj
; %bb.0:
	s_load_dwordx4 s[48:51], s[4:5], 0x44
	s_load_dwordx8 s[36:43], s[4:5], 0x0
	s_load_dwordx4 s[44:47], s[4:5], 0x28
	s_load_dwordx2 s[30:31], s[4:5], 0x38
	s_mov_b64 s[0:1], -1
	s_waitcnt lgkmcnt(0)
	s_cmp_ge_u32 s6, s50
	s_mul_i32 s34, s6, 0xc00
	v_mbcnt_lo_u32_b32 v19, -1, 0
	s_cbranch_scc0 .LBB110_96
; %bb.1:
	s_load_dword s0, s[4:5], 0x20
	s_mul_i32 s1, s50, 0xfffff400
	s_mov_b32 s35, 0
	s_lshl_b64 s[50:51], s[34:35], 3
	v_mbcnt_hi_u32_b32 v22, -1, v19
	s_waitcnt lgkmcnt(0)
	s_add_i32 s35, s1, s0
	s_add_u32 s0, s36, s50
	s_addc_u32 s1, s37, s51
	v_and_b32_e32 v23, 0x1c0, v0
	v_lshlrev_b32_e32 v20, 3, v22
	v_mul_u32_u24_e32 v3, 6, v23
	v_mov_b32_e32 v4, s1
	v_add_co_u32_e32 v5, vcc, s0, v20
	v_addc_co_u32_e32 v4, vcc, 0, v4, vcc
	v_lshlrev_b32_e32 v21, 3, v3
	v_add_co_u32_e32 v15, vcc, v5, v21
	v_addc_co_u32_e32 v16, vcc, 0, v4, vcc
	v_or_b32_e32 v17, v22, v3
	v_mov_b32_e32 v3, -1
	v_mov_b32_e32 v5, -1
	;; [unrolled: 1-line block ×4, first 2 shown]
	v_cmp_gt_u32_e32 vcc, s35, v17
	s_and_saveexec_b64 s[0:1], vcc
	s_cbranch_execz .LBB110_3
; %bb.2:
	global_load_dwordx2 v[5:6], v[15:16], off
	s_waitcnt vmcnt(0)
	v_xor_b32_e32 v6, 0x7fffffff, v6
	v_not_b32_e32 v5, v5
.LBB110_3:
	s_or_b64 exec, exec, s[0:1]
	v_add_u32_e32 v7, 64, v17
	v_cmp_gt_u32_e64 s[0:1], s35, v7
	s_and_saveexec_b64 s[2:3], s[0:1]
	s_cbranch_execz .LBB110_5
; %bb.4:
	global_load_dwordx2 v[3:4], v[15:16], off offset:512
	s_waitcnt vmcnt(0)
	v_xor_b32_e32 v4, 0x7fffffff, v4
	v_not_b32_e32 v3, v3
.LBB110_5:
	s_or_b64 exec, exec, s[2:3]
	v_add_u32_e32 v11, 0x80, v17
	v_mov_b32_e32 v7, -1
	v_mov_b32_e32 v9, -1
	;; [unrolled: 1-line block ×4, first 2 shown]
	v_cmp_gt_u32_e64 s[2:3], s35, v11
	s_and_saveexec_b64 s[8:9], s[2:3]
	s_cbranch_execz .LBB110_7
; %bb.6:
	global_load_dwordx2 v[9:10], v[15:16], off offset:1024
	s_waitcnt vmcnt(0)
	v_xor_b32_e32 v10, 0x7fffffff, v10
	v_not_b32_e32 v9, v9
.LBB110_7:
	s_or_b64 exec, exec, s[8:9]
	v_add_u32_e32 v11, 0xc0, v17
	v_cmp_gt_u32_e64 s[26:27], s35, v11
	s_and_saveexec_b64 s[8:9], s[26:27]
	s_cbranch_execz .LBB110_9
; %bb.8:
	global_load_dwordx2 v[7:8], v[15:16], off offset:1536
	s_waitcnt vmcnt(0)
	v_xor_b32_e32 v8, 0x7fffffff, v8
	v_not_b32_e32 v7, v7
.LBB110_9:
	s_or_b64 exec, exec, s[8:9]
	v_add_u32_e32 v18, 0x100, v17
	v_mov_b32_e32 v11, -1
	v_mov_b32_e32 v13, -1
	v_mov_b32_e32 v12, -1
	v_mov_b32_e32 v14, -1
	v_cmp_gt_u32_e64 s[8:9], s35, v18
	s_and_saveexec_b64 s[10:11], s[8:9]
	s_cbranch_execz .LBB110_11
; %bb.10:
	global_load_dwordx2 v[13:14], v[15:16], off offset:2048
	s_waitcnt vmcnt(0)
	v_xor_b32_e32 v14, 0x7fffffff, v14
	v_not_b32_e32 v13, v13
.LBB110_11:
	s_or_b64 exec, exec, s[10:11]
	v_add_u32_e32 v17, 0x140, v17
	v_cmp_gt_u32_e64 s[10:11], s35, v17
	s_and_saveexec_b64 s[12:13], s[10:11]
	s_cbranch_execz .LBB110_13
; %bb.12:
	global_load_dwordx2 v[11:12], v[15:16], off offset:2560
	s_waitcnt vmcnt(0)
	v_xor_b32_e32 v12, 0x7fffffff, v12
	v_not_b32_e32 v11, v11
.LBB110_13:
	s_or_b64 exec, exec, s[12:13]
	s_load_dword s12, s[4:5], 0x5c
	s_load_dword s7, s[4:5], 0x50
	s_add_u32 s13, s4, 0x50
	s_addc_u32 s14, s5, 0
	v_mov_b32_e32 v15, 0
	s_waitcnt lgkmcnt(0)
	s_lshr_b32 s15, s12, 16
	s_cmp_lt_u32 s6, s7
	s_cselect_b32 s12, 12, 18
	s_add_u32 s12, s13, s12
	s_addc_u32 s13, s14, 0
	global_load_ushort v18, v15, s[12:13]
	v_lshrrev_b64 v[16:17], s48, v[5:6]
	s_lshl_b32 s12, -1, s49
	s_not_b32 s33, s12
	v_and_b32_e32 v25, s33, v16
	v_and_b32_e32 v26, 1, v25
	v_add_co_u32_e64 v28, s[12:13], -1, v26
	v_lshlrev_b32_e32 v16, 30, v25
	v_addc_co_u32_e64 v29, s[12:13], 0, -1, s[12:13]
	v_mad_u32_u24 v17, v2, s15, v1
	v_cmp_ne_u32_e64 s[12:13], 0, v26
	v_cmp_gt_i64_e64 s[14:15], 0, v[15:16]
	v_not_b32_e32 v26, v16
	v_lshlrev_b32_e32 v16, 29, v25
	v_xor_b32_e32 v29, s13, v29
	v_xor_b32_e32 v28, s12, v28
	v_ashrrev_i32_e32 v26, 31, v26
	v_cmp_gt_i64_e64 s[12:13], 0, v[15:16]
	v_not_b32_e32 v30, v16
	v_lshlrev_b32_e32 v16, 28, v25
	v_and_b32_e32 v29, exec_hi, v29
	v_and_b32_e32 v28, exec_lo, v28
	v_xor_b32_e32 v31, s15, v26
	v_xor_b32_e32 v26, s14, v26
	v_ashrrev_i32_e32 v30, 31, v30
	v_cmp_gt_i64_e64 s[14:15], 0, v[15:16]
	v_not_b32_e32 v32, v16
	v_lshlrev_b32_e32 v16, 27, v25
	v_and_b32_e32 v29, v29, v31
	v_and_b32_e32 v26, v28, v26
	v_xor_b32_e32 v28, s13, v30
	v_xor_b32_e32 v30, s12, v30
	v_ashrrev_i32_e32 v31, 31, v32
	v_cmp_gt_i64_e64 s[12:13], 0, v[15:16]
	v_not_b32_e32 v32, v16
	v_lshlrev_b32_e32 v16, 26, v25
	v_and_b32_e32 v28, v29, v28
	v_and_b32_e32 v26, v26, v30
	;; [unrolled: 8-line block ×3, first 2 shown]
	v_xor_b32_e32 v29, s13, v31
	v_xor_b32_e32 v30, s12, v31
	v_ashrrev_i32_e32 v31, 31, v32
	v_cmp_gt_i64_e64 s[12:13], 0, v[15:16]
	v_not_b32_e32 v32, v16
	v_mul_lo_u32 v27, v25, 36
	v_lshlrev_b32_e32 v16, 24, v25
	v_and_b32_e32 v25, v28, v29
	v_and_b32_e32 v26, v26, v30
	v_xor_b32_e32 v28, s15, v31
	v_xor_b32_e32 v29, s14, v31
	v_ashrrev_i32_e32 v30, 31, v32
	v_and_b32_e32 v25, v25, v28
	v_and_b32_e32 v26, v26, v29
	v_xor_b32_e32 v28, s13, v30
	v_xor_b32_e32 v29, s12, v30
	v_cmp_gt_i64_e64 s[14:15], 0, v[15:16]
	v_not_b32_e32 v16, v16
	v_and_b32_e32 v28, v25, v28
	v_and_b32_e32 v29, v26, v29
	v_ashrrev_i32_e32 v16, 31, v16
	v_xor_b32_e32 v30, s15, v16
	v_xor_b32_e32 v16, s14, v16
	v_and_b32_e32 v16, v29, v16
	v_mul_u32_u24_e32 v24, 20, v0
	ds_write2_b32 v24, v15, v15 offset0:8 offset1:9
	ds_write2_b32 v24, v15, v15 offset0:10 offset1:11
	ds_write_b32 v24, v15 offset:48
	s_waitcnt vmcnt(0) lgkmcnt(0)
	s_barrier
	; wave barrier
	v_mad_u64_u32 v[25:26], s[12:13], v17, v18, v[0:1]
	v_and_b32_e32 v17, v28, v30
	v_cmp_ne_u64_e64 s[12:13], 0, v[16:17]
	v_lshrrev_b32_e32 v18, 6, v25
	v_mbcnt_lo_u32_b32 v25, v16, 0
	v_mbcnt_hi_u32_b32 v25, v17, v25
	v_cmp_eq_u32_e64 s[14:15], 0, v25
	v_lshl_add_u32 v27, v18, 2, v27
	s_and_b64 s[14:15], s[12:13], s[14:15]
	s_and_saveexec_b64 s[12:13], s[14:15]
; %bb.14:
	v_bcnt_u32_b32 v16, v16, 0
	v_bcnt_u32_b32 v16, v17, v16
	ds_write_b32 v27, v16 offset:32
; %bb.15:
	s_or_b64 exec, exec, s[12:13]
	v_lshrrev_b64 v[16:17], s48, v[3:4]
	v_and_b32_e32 v17, s33, v16
	v_mul_lo_u32 v16, v17, 36
	v_and_b32_e32 v29, 1, v17
	; wave barrier
	v_lshl_add_u32 v28, v18, 2, v16
	v_add_co_u32_e64 v16, s[12:13], -1, v29
	v_addc_co_u32_e64 v30, s[12:13], 0, -1, s[12:13]
	v_cmp_ne_u32_e64 s[12:13], 0, v29
	v_xor_b32_e32 v16, s12, v16
	v_xor_b32_e32 v29, s13, v30
	v_and_b32_e32 v30, exec_lo, v16
	v_lshlrev_b32_e32 v16, 30, v17
	v_cmp_gt_i64_e64 s[12:13], 0, v[15:16]
	v_not_b32_e32 v16, v16
	v_ashrrev_i32_e32 v16, 31, v16
	v_xor_b32_e32 v31, s13, v16
	v_xor_b32_e32 v16, s12, v16
	v_and_b32_e32 v30, v30, v16
	v_lshlrev_b32_e32 v16, 29, v17
	v_cmp_gt_i64_e64 s[12:13], 0, v[15:16]
	v_not_b32_e32 v16, v16
	v_and_b32_e32 v29, exec_hi, v29
	v_ashrrev_i32_e32 v16, 31, v16
	v_and_b32_e32 v29, v29, v31
	v_xor_b32_e32 v31, s13, v16
	v_xor_b32_e32 v16, s12, v16
	v_and_b32_e32 v30, v30, v16
	v_lshlrev_b32_e32 v16, 28, v17
	v_cmp_gt_i64_e64 s[12:13], 0, v[15:16]
	v_not_b32_e32 v16, v16
	v_ashrrev_i32_e32 v16, 31, v16
	v_and_b32_e32 v29, v29, v31
	v_xor_b32_e32 v31, s13, v16
	v_xor_b32_e32 v16, s12, v16
	v_and_b32_e32 v30, v30, v16
	v_lshlrev_b32_e32 v16, 27, v17
	v_cmp_gt_i64_e64 s[12:13], 0, v[15:16]
	v_not_b32_e32 v16, v16
	;; [unrolled: 8-line block ×5, first 2 shown]
	v_ashrrev_i32_e32 v15, 31, v15
	v_xor_b32_e32 v16, s13, v15
	v_xor_b32_e32 v15, s12, v15
	ds_read_b32 v26, v28 offset:32
	v_and_b32_e32 v29, v29, v31
	v_and_b32_e32 v15, v30, v15
	;; [unrolled: 1-line block ×3, first 2 shown]
	v_mbcnt_lo_u32_b32 v17, v15, 0
	v_mbcnt_hi_u32_b32 v29, v16, v17
	v_cmp_ne_u64_e64 s[12:13], 0, v[15:16]
	v_cmp_eq_u32_e64 s[14:15], 0, v29
	s_and_b64 s[14:15], s[12:13], s[14:15]
	; wave barrier
	s_and_saveexec_b64 s[12:13], s[14:15]
	s_cbranch_execz .LBB110_17
; %bb.16:
	v_bcnt_u32_b32 v15, v15, 0
	v_bcnt_u32_b32 v15, v16, v15
	s_waitcnt lgkmcnt(0)
	v_add_u32_e32 v15, v26, v15
	ds_write_b32 v28, v15 offset:32
.LBB110_17:
	s_or_b64 exec, exec, s[12:13]
	v_lshrrev_b64 v[15:16], s48, v[9:10]
	v_and_b32_e32 v17, s33, v15
	v_mul_lo_u32 v16, v17, 36
	v_and_b32_e32 v32, 1, v17
	v_mov_b32_e32 v15, 0
	; wave barrier
	v_lshl_add_u32 v31, v18, 2, v16
	v_add_co_u32_e64 v16, s[12:13], -1, v32
	v_addc_co_u32_e64 v33, s[12:13], 0, -1, s[12:13]
	v_cmp_ne_u32_e64 s[12:13], 0, v32
	v_xor_b32_e32 v16, s12, v16
	v_xor_b32_e32 v32, s13, v33
	v_and_b32_e32 v33, exec_lo, v16
	v_lshlrev_b32_e32 v16, 30, v17
	v_cmp_gt_i64_e64 s[12:13], 0, v[15:16]
	v_not_b32_e32 v16, v16
	v_ashrrev_i32_e32 v16, 31, v16
	v_xor_b32_e32 v34, s13, v16
	v_xor_b32_e32 v16, s12, v16
	v_and_b32_e32 v33, v33, v16
	v_lshlrev_b32_e32 v16, 29, v17
	v_cmp_gt_i64_e64 s[12:13], 0, v[15:16]
	v_not_b32_e32 v16, v16
	v_and_b32_e32 v32, exec_hi, v32
	v_ashrrev_i32_e32 v16, 31, v16
	v_and_b32_e32 v32, v32, v34
	v_xor_b32_e32 v34, s13, v16
	v_xor_b32_e32 v16, s12, v16
	v_and_b32_e32 v33, v33, v16
	v_lshlrev_b32_e32 v16, 28, v17
	v_cmp_gt_i64_e64 s[12:13], 0, v[15:16]
	v_not_b32_e32 v16, v16
	v_ashrrev_i32_e32 v16, 31, v16
	v_and_b32_e32 v32, v32, v34
	v_xor_b32_e32 v34, s13, v16
	v_xor_b32_e32 v16, s12, v16
	v_and_b32_e32 v33, v33, v16
	v_lshlrev_b32_e32 v16, 27, v17
	v_cmp_gt_i64_e64 s[12:13], 0, v[15:16]
	v_not_b32_e32 v16, v16
	v_ashrrev_i32_e32 v16, 31, v16
	v_and_b32_e32 v32, v32, v34
	v_xor_b32_e32 v34, s13, v16
	v_xor_b32_e32 v16, s12, v16
	v_and_b32_e32 v33, v33, v16
	v_lshlrev_b32_e32 v16, 26, v17
	v_cmp_gt_i64_e64 s[12:13], 0, v[15:16]
	v_not_b32_e32 v16, v16
	v_ashrrev_i32_e32 v16, 31, v16
	v_and_b32_e32 v32, v32, v34
	v_xor_b32_e32 v34, s13, v16
	v_xor_b32_e32 v16, s12, v16
	v_and_b32_e32 v33, v33, v16
	v_lshlrev_b32_e32 v16, 25, v17
	v_cmp_gt_i64_e64 s[12:13], 0, v[15:16]
	v_not_b32_e32 v16, v16
	v_ashrrev_i32_e32 v16, 31, v16
	v_and_b32_e32 v32, v32, v34
	v_xor_b32_e32 v34, s13, v16
	v_xor_b32_e32 v16, s12, v16
	v_and_b32_e32 v33, v33, v16
	v_lshlrev_b32_e32 v16, 24, v17
	v_cmp_gt_i64_e64 s[12:13], 0, v[15:16]
	v_not_b32_e32 v16, v16
	v_ashrrev_i32_e32 v16, 31, v16
	v_xor_b32_e32 v17, s13, v16
	v_xor_b32_e32 v16, s12, v16
	ds_read_b32 v30, v31 offset:32
	v_and_b32_e32 v32, v32, v34
	v_and_b32_e32 v16, v33, v16
	;; [unrolled: 1-line block ×3, first 2 shown]
	v_mbcnt_lo_u32_b32 v32, v16, 0
	v_mbcnt_hi_u32_b32 v32, v17, v32
	v_cmp_ne_u64_e64 s[12:13], 0, v[16:17]
	v_cmp_eq_u32_e64 s[14:15], 0, v32
	s_and_b64 s[14:15], s[12:13], s[14:15]
	; wave barrier
	s_and_saveexec_b64 s[12:13], s[14:15]
	s_cbranch_execz .LBB110_19
; %bb.18:
	v_bcnt_u32_b32 v16, v16, 0
	v_bcnt_u32_b32 v16, v17, v16
	s_waitcnt lgkmcnt(0)
	v_add_u32_e32 v16, v30, v16
	ds_write_b32 v31, v16 offset:32
.LBB110_19:
	s_or_b64 exec, exec, s[12:13]
	v_lshrrev_b64 v[16:17], s48, v[7:8]
	v_and_b32_e32 v17, s33, v16
	v_mul_lo_u32 v16, v17, 36
	v_and_b32_e32 v35, 1, v17
	; wave barrier
	v_lshl_add_u32 v34, v18, 2, v16
	v_add_co_u32_e64 v16, s[12:13], -1, v35
	v_addc_co_u32_e64 v36, s[12:13], 0, -1, s[12:13]
	v_cmp_ne_u32_e64 s[12:13], 0, v35
	v_xor_b32_e32 v16, s12, v16
	v_xor_b32_e32 v35, s13, v36
	v_and_b32_e32 v36, exec_lo, v16
	v_lshlrev_b32_e32 v16, 30, v17
	v_cmp_gt_i64_e64 s[12:13], 0, v[15:16]
	v_not_b32_e32 v16, v16
	v_ashrrev_i32_e32 v16, 31, v16
	v_xor_b32_e32 v37, s13, v16
	v_xor_b32_e32 v16, s12, v16
	v_and_b32_e32 v36, v36, v16
	v_lshlrev_b32_e32 v16, 29, v17
	v_cmp_gt_i64_e64 s[12:13], 0, v[15:16]
	v_not_b32_e32 v16, v16
	v_and_b32_e32 v35, exec_hi, v35
	v_ashrrev_i32_e32 v16, 31, v16
	v_and_b32_e32 v35, v35, v37
	v_xor_b32_e32 v37, s13, v16
	v_xor_b32_e32 v16, s12, v16
	v_and_b32_e32 v36, v36, v16
	v_lshlrev_b32_e32 v16, 28, v17
	v_cmp_gt_i64_e64 s[12:13], 0, v[15:16]
	v_not_b32_e32 v16, v16
	v_ashrrev_i32_e32 v16, 31, v16
	v_and_b32_e32 v35, v35, v37
	v_xor_b32_e32 v37, s13, v16
	v_xor_b32_e32 v16, s12, v16
	v_and_b32_e32 v36, v36, v16
	v_lshlrev_b32_e32 v16, 27, v17
	v_cmp_gt_i64_e64 s[12:13], 0, v[15:16]
	v_not_b32_e32 v16, v16
	;; [unrolled: 8-line block ×5, first 2 shown]
	v_ashrrev_i32_e32 v15, 31, v15
	v_xor_b32_e32 v16, s13, v15
	v_xor_b32_e32 v15, s12, v15
	ds_read_b32 v33, v34 offset:32
	v_and_b32_e32 v35, v35, v37
	v_and_b32_e32 v15, v36, v15
	;; [unrolled: 1-line block ×3, first 2 shown]
	v_mbcnt_lo_u32_b32 v17, v15, 0
	v_mbcnt_hi_u32_b32 v35, v16, v17
	v_cmp_ne_u64_e64 s[12:13], 0, v[15:16]
	v_cmp_eq_u32_e64 s[14:15], 0, v35
	s_and_b64 s[14:15], s[12:13], s[14:15]
	; wave barrier
	s_and_saveexec_b64 s[12:13], s[14:15]
	s_cbranch_execz .LBB110_21
; %bb.20:
	v_bcnt_u32_b32 v15, v15, 0
	v_bcnt_u32_b32 v15, v16, v15
	s_waitcnt lgkmcnt(0)
	v_add_u32_e32 v15, v33, v15
	ds_write_b32 v34, v15 offset:32
.LBB110_21:
	s_or_b64 exec, exec, s[12:13]
	v_lshrrev_b64 v[15:16], s48, v[13:14]
	v_and_b32_e32 v17, s33, v15
	v_mul_lo_u32 v16, v17, 36
	v_and_b32_e32 v38, 1, v17
	v_mov_b32_e32 v15, 0
	; wave barrier
	v_lshl_add_u32 v37, v18, 2, v16
	v_add_co_u32_e64 v16, s[12:13], -1, v38
	v_addc_co_u32_e64 v39, s[12:13], 0, -1, s[12:13]
	v_cmp_ne_u32_e64 s[12:13], 0, v38
	v_xor_b32_e32 v16, s12, v16
	v_xor_b32_e32 v38, s13, v39
	v_and_b32_e32 v39, exec_lo, v16
	v_lshlrev_b32_e32 v16, 30, v17
	v_cmp_gt_i64_e64 s[12:13], 0, v[15:16]
	v_not_b32_e32 v16, v16
	v_ashrrev_i32_e32 v16, 31, v16
	v_xor_b32_e32 v40, s13, v16
	v_xor_b32_e32 v16, s12, v16
	v_and_b32_e32 v39, v39, v16
	v_lshlrev_b32_e32 v16, 29, v17
	v_cmp_gt_i64_e64 s[12:13], 0, v[15:16]
	v_not_b32_e32 v16, v16
	v_and_b32_e32 v38, exec_hi, v38
	v_ashrrev_i32_e32 v16, 31, v16
	v_and_b32_e32 v38, v38, v40
	v_xor_b32_e32 v40, s13, v16
	v_xor_b32_e32 v16, s12, v16
	v_and_b32_e32 v39, v39, v16
	v_lshlrev_b32_e32 v16, 28, v17
	v_cmp_gt_i64_e64 s[12:13], 0, v[15:16]
	v_not_b32_e32 v16, v16
	v_ashrrev_i32_e32 v16, 31, v16
	v_and_b32_e32 v38, v38, v40
	v_xor_b32_e32 v40, s13, v16
	v_xor_b32_e32 v16, s12, v16
	v_and_b32_e32 v39, v39, v16
	v_lshlrev_b32_e32 v16, 27, v17
	v_cmp_gt_i64_e64 s[12:13], 0, v[15:16]
	v_not_b32_e32 v16, v16
	;; [unrolled: 8-line block ×5, first 2 shown]
	v_ashrrev_i32_e32 v16, 31, v16
	v_xor_b32_e32 v17, s13, v16
	v_xor_b32_e32 v16, s12, v16
	ds_read_b32 v36, v37 offset:32
	v_and_b32_e32 v38, v38, v40
	v_and_b32_e32 v16, v39, v16
	;; [unrolled: 1-line block ×3, first 2 shown]
	v_mbcnt_lo_u32_b32 v38, v16, 0
	v_mbcnt_hi_u32_b32 v38, v17, v38
	v_cmp_ne_u64_e64 s[12:13], 0, v[16:17]
	v_cmp_eq_u32_e64 s[14:15], 0, v38
	s_and_b64 s[14:15], s[12:13], s[14:15]
	; wave barrier
	s_and_saveexec_b64 s[12:13], s[14:15]
	s_cbranch_execz .LBB110_23
; %bb.22:
	v_bcnt_u32_b32 v16, v16, 0
	v_bcnt_u32_b32 v16, v17, v16
	s_waitcnt lgkmcnt(0)
	v_add_u32_e32 v16, v36, v16
	ds_write_b32 v37, v16 offset:32
.LBB110_23:
	s_or_b64 exec, exec, s[12:13]
	v_lshrrev_b64 v[16:17], s48, v[11:12]
	v_and_b32_e32 v17, s33, v16
	v_mul_lo_u32 v16, v17, 36
	v_and_b32_e32 v41, 1, v17
	; wave barrier
	v_lshl_add_u32 v40, v18, 2, v16
	v_add_co_u32_e64 v16, s[12:13], -1, v41
	v_addc_co_u32_e64 v18, s[12:13], 0, -1, s[12:13]
	v_cmp_ne_u32_e64 s[12:13], 0, v41
	v_xor_b32_e32 v16, s12, v16
	v_and_b32_e32 v41, exec_lo, v16
	v_lshlrev_b32_e32 v16, 30, v17
	v_xor_b32_e32 v18, s13, v18
	v_cmp_gt_i64_e64 s[12:13], 0, v[15:16]
	v_not_b32_e32 v16, v16
	v_ashrrev_i32_e32 v16, 31, v16
	v_xor_b32_e32 v42, s13, v16
	v_xor_b32_e32 v16, s12, v16
	v_and_b32_e32 v41, v41, v16
	v_lshlrev_b32_e32 v16, 29, v17
	v_cmp_gt_i64_e64 s[12:13], 0, v[15:16]
	v_not_b32_e32 v16, v16
	v_and_b32_e32 v18, exec_hi, v18
	v_ashrrev_i32_e32 v16, 31, v16
	v_and_b32_e32 v18, v18, v42
	v_xor_b32_e32 v42, s13, v16
	v_xor_b32_e32 v16, s12, v16
	v_and_b32_e32 v41, v41, v16
	v_lshlrev_b32_e32 v16, 28, v17
	v_cmp_gt_i64_e64 s[12:13], 0, v[15:16]
	v_not_b32_e32 v16, v16
	v_ashrrev_i32_e32 v16, 31, v16
	v_and_b32_e32 v18, v18, v42
	v_xor_b32_e32 v42, s13, v16
	v_xor_b32_e32 v16, s12, v16
	v_and_b32_e32 v41, v41, v16
	v_lshlrev_b32_e32 v16, 27, v17
	v_cmp_gt_i64_e64 s[12:13], 0, v[15:16]
	v_not_b32_e32 v16, v16
	;; [unrolled: 8-line block ×5, first 2 shown]
	v_ashrrev_i32_e32 v15, 31, v15
	v_xor_b32_e32 v16, s13, v15
	v_xor_b32_e32 v15, s12, v15
	ds_read_b32 v39, v40 offset:32
	v_and_b32_e32 v18, v18, v42
	v_and_b32_e32 v15, v41, v15
	;; [unrolled: 1-line block ×3, first 2 shown]
	v_mbcnt_lo_u32_b32 v17, v15, 0
	v_mbcnt_hi_u32_b32 v41, v16, v17
	v_cmp_ne_u64_e64 s[12:13], 0, v[15:16]
	v_cmp_eq_u32_e64 s[14:15], 0, v41
	s_and_b64 s[14:15], s[12:13], s[14:15]
	; wave barrier
	s_and_saveexec_b64 s[12:13], s[14:15]
	s_cbranch_execz .LBB110_25
; %bb.24:
	v_bcnt_u32_b32 v15, v15, 0
	v_bcnt_u32_b32 v15, v16, v15
	s_waitcnt lgkmcnt(0)
	v_add_u32_e32 v15, v39, v15
	ds_write_b32 v40, v15 offset:32
.LBB110_25:
	s_or_b64 exec, exec, s[12:13]
	; wave barrier
	s_waitcnt lgkmcnt(0)
	s_barrier
	ds_read2_b32 v[17:18], v24 offset0:8 offset1:9
	ds_read2_b32 v[15:16], v24 offset0:10 offset1:11
	ds_read_b32 v42, v24 offset:48
	v_min_u32_e32 v23, 0x1c0, v23
	v_or_b32_e32 v23, 63, v23
	s_waitcnt lgkmcnt(1)
	v_add3_u32 v43, v18, v17, v15
	s_waitcnt lgkmcnt(0)
	v_add3_u32 v42, v43, v16, v42
	v_and_b32_e32 v43, 15, v22
	v_cmp_ne_u32_e64 s[12:13], 0, v43
	v_mov_b32_dpp v44, v42 row_shr:1 row_mask:0xf bank_mask:0xf
	v_cndmask_b32_e64 v44, 0, v44, s[12:13]
	v_add_u32_e32 v42, v44, v42
	v_cmp_lt_u32_e64 s[12:13], 1, v43
	s_nop 0
	v_mov_b32_dpp v44, v42 row_shr:2 row_mask:0xf bank_mask:0xf
	v_cndmask_b32_e64 v44, 0, v44, s[12:13]
	v_add_u32_e32 v42, v42, v44
	v_cmp_lt_u32_e64 s[12:13], 3, v43
	s_nop 0
	;; [unrolled: 5-line block ×3, first 2 shown]
	v_mov_b32_dpp v44, v42 row_shr:8 row_mask:0xf bank_mask:0xf
	v_cndmask_b32_e64 v43, 0, v44, s[12:13]
	v_add_u32_e32 v42, v42, v43
	v_bfe_i32 v44, v22, 4, 1
	v_cmp_lt_u32_e64 s[12:13], 31, v22
	v_mov_b32_dpp v43, v42 row_bcast:15 row_mask:0xf bank_mask:0xf
	v_and_b32_e32 v43, v44, v43
	v_add_u32_e32 v42, v42, v43
	s_nop 1
	v_mov_b32_dpp v43, v42 row_bcast:31 row_mask:0xf bank_mask:0xf
	v_cndmask_b32_e64 v43, 0, v43, s[12:13]
	v_add_u32_e32 v42, v42, v43
	v_lshrrev_b32_e32 v43, 6, v0
	v_cmp_eq_u32_e64 s[12:13], v0, v23
	s_and_saveexec_b64 s[14:15], s[12:13]
; %bb.26:
	v_lshlrev_b32_e32 v23, 2, v43
	ds_write_b32 v23, v42
; %bb.27:
	s_or_b64 exec, exec, s[14:15]
	v_cmp_gt_u32_e64 s[12:13], 8, v0
	s_waitcnt lgkmcnt(0)
	s_barrier
	s_and_saveexec_b64 s[14:15], s[12:13]
	s_cbranch_execz .LBB110_29
; %bb.28:
	v_lshlrev_b32_e32 v23, 2, v0
	ds_read_b32 v44, v23
	v_and_b32_e32 v45, 7, v22
	v_cmp_ne_u32_e64 s[12:13], 0, v45
	s_waitcnt lgkmcnt(0)
	v_mov_b32_dpp v46, v44 row_shr:1 row_mask:0xf bank_mask:0xf
	v_cndmask_b32_e64 v46, 0, v46, s[12:13]
	v_add_u32_e32 v44, v46, v44
	v_cmp_lt_u32_e64 s[12:13], 1, v45
	s_nop 0
	v_mov_b32_dpp v46, v44 row_shr:2 row_mask:0xf bank_mask:0xf
	v_cndmask_b32_e64 v46, 0, v46, s[12:13]
	v_add_u32_e32 v44, v44, v46
	v_cmp_lt_u32_e64 s[12:13], 3, v45
	s_nop 0
	v_mov_b32_dpp v46, v44 row_shr:4 row_mask:0xf bank_mask:0xf
	v_cndmask_b32_e64 v45, 0, v46, s[12:13]
	v_add_u32_e32 v44, v44, v45
	ds_write_b32 v23, v44
.LBB110_29:
	s_or_b64 exec, exec, s[14:15]
	v_cmp_lt_u32_e64 s[12:13], 63, v0
	v_mov_b32_e32 v23, 0
	s_waitcnt lgkmcnt(0)
	s_barrier
	s_and_saveexec_b64 s[14:15], s[12:13]
; %bb.30:
	v_lshl_add_u32 v23, v43, 2, -4
	ds_read_b32 v23, v23
; %bb.31:
	s_or_b64 exec, exec, s[14:15]
	v_add_u32_e32 v43, -1, v22
	v_and_b32_e32 v44, 64, v22
	v_cmp_lt_i32_e64 s[12:13], v43, v44
	v_cndmask_b32_e64 v43, v43, v22, s[12:13]
	s_waitcnt lgkmcnt(0)
	v_add_u32_e32 v42, v23, v42
	v_lshlrev_b32_e32 v43, 2, v43
	ds_bpermute_b32 v42, v43, v42
	v_cmp_eq_u32_e64 s[12:13], 0, v22
	s_movk_i32 s16, 0x100
	v_cmp_gt_u32_e64 s[14:15], s16, v0
	s_waitcnt lgkmcnt(0)
	v_cndmask_b32_e64 v22, v42, v23, s[12:13]
	v_cmp_ne_u32_e64 s[12:13], 0, v0
	v_cndmask_b32_e64 v22, 0, v22, s[12:13]
	v_add_u32_e32 v17, v22, v17
	v_add_u32_e32 v18, v17, v18
	;; [unrolled: 1-line block ×4, first 2 shown]
	ds_write2_b32 v24, v22, v17 offset0:8 offset1:9
	ds_write2_b32 v24, v18, v15 offset0:10 offset1:11
	ds_write_b32 v24, v16 offset:48
	s_waitcnt lgkmcnt(0)
	s_barrier
	ds_read_b32 v24, v27 offset:32
	ds_read_b32 v28, v28 offset:32
	;; [unrolled: 1-line block ×6, first 2 shown]
	s_movk_i32 s12, 0xff
	v_mov_b32_e32 v15, 0
	v_cmp_lt_u32_e64 s[12:13], s12, v0
	v_mov_b32_e32 v16, 0
                                        ; implicit-def: $vgpr22
	s_and_saveexec_b64 s[18:19], s[14:15]
	s_cbranch_execz .LBB110_35
; %bb.32:
	v_mul_u32_u24_e32 v15, 36, v0
	ds_read_b32 v15, v15 offset:32
	v_add_u32_e32 v22, 1, v0
	v_cmp_ne_u32_e64 s[16:17], s16, v22
	v_mov_b32_e32 v16, 0xc00
	s_and_saveexec_b64 s[20:21], s[16:17]
; %bb.33:
	v_mul_u32_u24_e32 v16, 36, v22
	ds_read_b32 v16, v16 offset:32
; %bb.34:
	s_or_b64 exec, exec, s[20:21]
	s_waitcnt lgkmcnt(0)
	v_sub_u32_e32 v22, v16, v15
	v_mov_b32_e32 v16, 0
.LBB110_35:
	s_or_b64 exec, exec, s[18:19]
	v_lshlrev_b32_e32 v25, 3, v25
	s_waitcnt lgkmcnt(5)
	v_lshl_add_u32 v24, v24, 3, v25
	s_waitcnt lgkmcnt(0)
	s_barrier
	ds_write_b64 v24, v[5:6] offset:2048
	v_lshlrev_b32_e32 v5, 3, v28
	v_lshlrev_b32_e32 v6, 3, v29
	;; [unrolled: 1-line block ×3, first 2 shown]
	v_add3_u32 v25, v5, v6, v25
	ds_write_b64 v25, v[3:4] offset:2048
	v_lshlrev_b32_e32 v3, 3, v27
	v_lshlrev_b32_e32 v4, 3, v32
	v_lshlrev_b32_e32 v5, 3, v30
	v_add3_u32 v26, v3, v4, v5
	v_lshlrev_b32_e32 v3, 3, v23
	v_lshlrev_b32_e32 v4, 3, v35
	v_lshlrev_b32_e32 v5, 3, v33
	v_add3_u32 v27, v3, v4, v5
	;; [unrolled: 4-line block ×4, first 2 shown]
	v_mov_b32_e32 v4, 0
	v_lshlrev_b32_e32 v23, 3, v0
	ds_write_b64 v26, v[9:10] offset:2048
	ds_write_b64 v27, v[7:8] offset:2048
	;; [unrolled: 1-line block ×4, first 2 shown]
	s_waitcnt lgkmcnt(0)
	s_barrier
	s_and_saveexec_b64 s[16:17], s[14:15]
	s_cbranch_execz .LBB110_45
; %bb.36:
	v_lshl_add_u32 v3, s6, 8, v0
	v_lshlrev_b64 v[5:6], 2, v[3:4]
	v_mov_b32_e32 v9, s31
	v_add_co_u32_e64 v5, s[14:15], s30, v5
	v_addc_co_u32_e64 v6, s[14:15], v9, v6, s[14:15]
	v_or_b32_e32 v3, 2.0, v22
	s_mov_b64 s[18:19], 0
	s_brev_b32 s24, -4
	s_mov_b32 s25, s6
	v_mov_b32_e32 v10, 0
	global_store_dword v[5:6], v3, off
                                        ; implicit-def: $sgpr14_sgpr15
	s_branch .LBB110_39
.LBB110_37:                             ;   in Loop: Header=BB110_39 Depth=1
	s_or_b64 exec, exec, s[22:23]
.LBB110_38:                             ;   in Loop: Header=BB110_39 Depth=1
	s_or_b64 exec, exec, s[20:21]
	v_and_b32_e32 v7, 0x3fffffff, v3
	v_add_u32_e32 v10, v7, v10
	v_cmp_gt_i32_e64 s[14:15], -2.0, v3
	s_and_b64 s[20:21], exec, s[14:15]
	s_or_b64 s[18:19], s[20:21], s[18:19]
	s_andn2_b64 exec, exec, s[18:19]
	s_cbranch_execz .LBB110_44
.LBB110_39:                             ; =>This Loop Header: Depth=1
                                        ;     Child Loop BB110_42 Depth 2
	s_or_b64 s[14:15], s[14:15], exec
	s_cmp_eq_u32 s25, 0
	s_cbranch_scc1 .LBB110_43
; %bb.40:                               ;   in Loop: Header=BB110_39 Depth=1
	s_add_i32 s25, s25, -1
	v_lshl_or_b32 v3, s25, 8, v0
	v_lshlrev_b64 v[7:8], 2, v[3:4]
	v_add_co_u32_e64 v7, s[14:15], s30, v7
	v_addc_co_u32_e64 v8, s[14:15], v9, v8, s[14:15]
	global_load_dword v3, v[7:8], off glc
	s_waitcnt vmcnt(0)
	v_cmp_gt_u32_e64 s[14:15], 2.0, v3
	s_and_saveexec_b64 s[20:21], s[14:15]
	s_cbranch_execz .LBB110_38
; %bb.41:                               ;   in Loop: Header=BB110_39 Depth=1
	s_mov_b64 s[22:23], 0
.LBB110_42:                             ;   Parent Loop BB110_39 Depth=1
                                        ; =>  This Inner Loop Header: Depth=2
	global_load_dword v3, v[7:8], off glc
	s_waitcnt vmcnt(0)
	v_cmp_lt_u32_e64 s[14:15], s24, v3
	s_or_b64 s[22:23], s[14:15], s[22:23]
	s_andn2_b64 exec, exec, s[22:23]
	s_cbranch_execnz .LBB110_42
	s_branch .LBB110_37
.LBB110_43:                             ;   in Loop: Header=BB110_39 Depth=1
                                        ; implicit-def: $sgpr25
	s_and_b64 s[20:21], exec, s[14:15]
	s_or_b64 s[18:19], s[20:21], s[18:19]
	s_andn2_b64 exec, exec, s[18:19]
	s_cbranch_execnz .LBB110_39
.LBB110_44:
	s_or_b64 exec, exec, s[18:19]
	v_add_u32_e32 v3, v10, v22
	v_or_b32_e32 v3, 0x80000000, v3
	global_store_dword v[5:6], v3, off
	global_load_dwordx2 v[3:4], v23, s[44:45]
	v_sub_co_u32_e64 v5, s[14:15], v10, v15
	v_subb_co_u32_e64 v6, s[14:15], 0, v16, s[14:15]
	s_waitcnt vmcnt(0)
	v_add_co_u32_e64 v3, s[14:15], v5, v3
	v_addc_co_u32_e64 v4, s[14:15], v6, v4, s[14:15]
	ds_write_b64 v23, v[3:4]
.LBB110_45:
	s_or_b64 exec, exec, s[16:17]
	v_cmp_gt_u32_e64 s[14:15], s35, v0
	s_waitcnt lgkmcnt(0)
	s_barrier
	s_and_saveexec_b64 s[18:19], s[14:15]
	s_cbranch_execz .LBB110_47
; %bb.46:
	ds_read_b64 v[3:4], v23 offset:2048
	v_mov_b32_e32 v7, s39
	s_waitcnt lgkmcnt(0)
	v_lshrrev_b64 v[5:6], s48, v[3:4]
	v_xor_b32_e32 v4, 0x7fffffff, v4
	v_and_b32_e32 v5, s33, v5
	v_lshlrev_b32_e32 v5, 3, v5
	ds_read_b64 v[5:6], v5
	v_not_b32_e32 v3, v3
	s_waitcnt lgkmcnt(0)
	v_lshlrev_b64 v[5:6], 3, v[5:6]
	v_add_co_u32_e64 v5, s[16:17], s38, v5
	v_addc_co_u32_e64 v6, s[16:17], v7, v6, s[16:17]
	v_add_co_u32_e64 v5, s[16:17], v5, v23
	v_addc_co_u32_e64 v6, s[16:17], 0, v6, s[16:17]
	global_store_dwordx2 v[5:6], v[3:4], off
.LBB110_47:
	s_or_b64 exec, exec, s[18:19]
	v_or_b32_e32 v3, 0x200, v0
	v_cmp_gt_u32_e64 s[16:17], s35, v3
	v_lshlrev_b32_e32 v30, 3, v3
	s_and_saveexec_b64 s[20:21], s[16:17]
	s_cbranch_execz .LBB110_49
; %bb.48:
	ds_read_b64 v[3:4], v23 offset:6144
	v_mov_b32_e32 v7, s39
	s_waitcnt lgkmcnt(0)
	v_lshrrev_b64 v[5:6], s48, v[3:4]
	v_xor_b32_e32 v4, 0x7fffffff, v4
	v_and_b32_e32 v5, s33, v5
	v_lshlrev_b32_e32 v5, 3, v5
	ds_read_b64 v[5:6], v5
	v_not_b32_e32 v3, v3
	s_waitcnt lgkmcnt(0)
	v_lshlrev_b64 v[5:6], 3, v[5:6]
	v_add_co_u32_e64 v5, s[18:19], s38, v5
	v_addc_co_u32_e64 v6, s[18:19], v7, v6, s[18:19]
	v_add_co_u32_e64 v5, s[18:19], v5, v30
	v_addc_co_u32_e64 v6, s[18:19], 0, v6, s[18:19]
	global_store_dwordx2 v[5:6], v[3:4], off
.LBB110_49:
	s_or_b64 exec, exec, s[20:21]
	v_or_b32_e32 v3, 0x400, v0
	v_cmp_gt_u32_e64 s[18:19], s35, v3
	v_lshlrev_b32_e32 v31, 3, v3
	;; [unrolled: 24-line block ×5, first 2 shown]
	s_and_saveexec_b64 s[52:53], s[24:25]
	s_cbranch_execz .LBB110_57
; %bb.56:
	ds_read_b64 v[3:4], v23 offset:22528
	v_mov_b32_e32 v7, s39
	s_waitcnt lgkmcnt(0)
	v_lshrrev_b64 v[5:6], s48, v[3:4]
	v_xor_b32_e32 v4, 0x7fffffff, v4
	v_and_b32_e32 v5, s33, v5
	v_lshlrev_b32_e32 v5, 3, v5
	ds_read_b64 v[5:6], v5
	v_not_b32_e32 v3, v3
	s_waitcnt lgkmcnt(0)
	v_lshlrev_b64 v[5:6], 3, v[5:6]
	v_add_co_u32_e64 v5, s[28:29], s38, v5
	v_addc_co_u32_e64 v6, s[28:29], v7, v6, s[28:29]
	v_add_co_u32_e64 v5, s[28:29], v5, v34
	v_addc_co_u32_e64 v6, s[28:29], 0, v6, s[28:29]
	global_store_dwordx2 v[5:6], v[3:4], off
.LBB110_57:
	s_or_b64 exec, exec, s[52:53]
	s_add_u32 s28, s40, s50
	s_addc_u32 s29, s41, s51
	v_mov_b32_e32 v3, s29
	v_add_co_u32_e64 v4, s[28:29], s28, v20
	v_addc_co_u32_e64 v3, s[28:29], 0, v3, s[28:29]
	v_add_co_u32_e64 v17, s[28:29], v4, v21
	v_addc_co_u32_e64 v18, s[28:29], 0, v3, s[28:29]
                                        ; implicit-def: $vgpr3_vgpr4
	s_and_saveexec_b64 s[28:29], vcc
	s_xor_b64 s[28:29], exec, s[28:29]
	s_cbranch_execz .LBB110_63
; %bb.58:
	global_load_dwordx2 v[3:4], v[17:18], off
	s_or_b64 exec, exec, s[28:29]
                                        ; implicit-def: $vgpr5_vgpr6
	s_and_saveexec_b64 s[28:29], s[0:1]
	s_cbranch_execnz .LBB110_64
.LBB110_59:
	s_or_b64 exec, exec, s[28:29]
                                        ; implicit-def: $vgpr7_vgpr8
	s_and_saveexec_b64 s[0:1], s[2:3]
	s_cbranch_execz .LBB110_65
.LBB110_60:
	global_load_dwordx2 v[7:8], v[17:18], off offset:1024
	s_or_b64 exec, exec, s[0:1]
                                        ; implicit-def: $vgpr9_vgpr10
	s_and_saveexec_b64 s[0:1], s[26:27]
	s_cbranch_execnz .LBB110_66
.LBB110_61:
	s_or_b64 exec, exec, s[0:1]
                                        ; implicit-def: $vgpr11_vgpr12
	s_and_saveexec_b64 s[0:1], s[8:9]
	s_cbranch_execz .LBB110_67
.LBB110_62:
	global_load_dwordx2 v[11:12], v[17:18], off offset:2048
	s_or_b64 exec, exec, s[0:1]
                                        ; implicit-def: $vgpr13_vgpr14
	s_and_saveexec_b64 s[0:1], s[10:11]
	s_cbranch_execnz .LBB110_68
	s_branch .LBB110_69
.LBB110_63:
	s_or_b64 exec, exec, s[28:29]
                                        ; implicit-def: $vgpr5_vgpr6
	s_and_saveexec_b64 s[28:29], s[0:1]
	s_cbranch_execz .LBB110_59
.LBB110_64:
	global_load_dwordx2 v[5:6], v[17:18], off offset:512
	s_or_b64 exec, exec, s[28:29]
                                        ; implicit-def: $vgpr7_vgpr8
	s_and_saveexec_b64 s[0:1], s[2:3]
	s_cbranch_execnz .LBB110_60
.LBB110_65:
	s_or_b64 exec, exec, s[0:1]
                                        ; implicit-def: $vgpr9_vgpr10
	s_and_saveexec_b64 s[0:1], s[26:27]
	s_cbranch_execz .LBB110_61
.LBB110_66:
	global_load_dwordx2 v[9:10], v[17:18], off offset:1536
	s_or_b64 exec, exec, s[0:1]
                                        ; implicit-def: $vgpr11_vgpr12
	s_and_saveexec_b64 s[0:1], s[8:9]
	s_cbranch_execnz .LBB110_62
.LBB110_67:
	s_or_b64 exec, exec, s[0:1]
                                        ; implicit-def: $vgpr13_vgpr14
	s_and_saveexec_b64 s[0:1], s[10:11]
	s_cbranch_execz .LBB110_69
.LBB110_68:
	global_load_dwordx2 v[13:14], v[17:18], off offset:2560
.LBB110_69:
	s_or_b64 exec, exec, s[0:1]
	v_mov_b32_e32 v21, 0
	v_mov_b32_e32 v36, 0
	s_and_saveexec_b64 s[0:1], s[14:15]
	s_cbranch_execz .LBB110_71
; %bb.70:
	ds_read_b64 v[17:18], v23 offset:2048
	s_waitcnt lgkmcnt(0)
	v_lshrrev_b64 v[17:18], s48, v[17:18]
	v_and_b32_e32 v36, s33, v17
.LBB110_71:
	s_or_b64 exec, exec, s[0:1]
	s_and_saveexec_b64 s[0:1], s[16:17]
	s_cbranch_execz .LBB110_73
; %bb.72:
	ds_read_b64 v[17:18], v23 offset:6144
	s_waitcnt lgkmcnt(0)
	v_lshrrev_b64 v[17:18], s48, v[17:18]
	v_and_b32_e32 v21, s33, v17
.LBB110_73:
	s_or_b64 exec, exec, s[0:1]
	v_mov_b32_e32 v18, 0
	v_mov_b32_e32 v35, 0
	s_and_saveexec_b64 s[0:1], s[18:19]
	s_cbranch_execz .LBB110_75
; %bb.74:
	ds_read_b64 v[37:38], v23 offset:10240
	s_waitcnt lgkmcnt(0)
	v_lshrrev_b64 v[37:38], s48, v[37:38]
	v_and_b32_e32 v35, s33, v37
.LBB110_75:
	s_or_b64 exec, exec, s[0:1]
	s_and_saveexec_b64 s[0:1], s[20:21]
	s_cbranch_execz .LBB110_77
; %bb.76:
	ds_read_b64 v[17:18], v23 offset:14336
	s_waitcnt lgkmcnt(0)
	v_lshrrev_b64 v[17:18], s48, v[17:18]
	v_and_b32_e32 v18, s33, v17
.LBB110_77:
	;; [unrolled: 20-line block ×3, first 2 shown]
	s_or_b64 exec, exec, s[0:1]
	s_waitcnt vmcnt(0)
	s_barrier
	ds_write_b64 v24, v[3:4] offset:2048
	ds_write_b64 v25, v[5:6] offset:2048
	;; [unrolled: 1-line block ×6, first 2 shown]
	s_waitcnt lgkmcnt(0)
	s_barrier
	s_and_saveexec_b64 s[0:1], s[14:15]
	s_cbranch_execz .LBB110_87
; %bb.82:
	v_lshlrev_b32_e32 v3, 3, v36
	ds_read_b64 v[3:4], v3
	ds_read_b64 v[5:6], v23 offset:2048
	v_mov_b32_e32 v7, s43
	s_waitcnt lgkmcnt(1)
	v_lshlrev_b64 v[3:4], 3, v[3:4]
	v_add_co_u32_e32 v3, vcc, s42, v3
	v_addc_co_u32_e32 v4, vcc, v7, v4, vcc
	v_add_co_u32_e32 v3, vcc, v3, v23
	v_addc_co_u32_e32 v4, vcc, 0, v4, vcc
	s_waitcnt lgkmcnt(0)
	global_store_dwordx2 v[3:4], v[5:6], off
	s_or_b64 exec, exec, s[0:1]
	s_and_saveexec_b64 s[0:1], s[16:17]
	s_cbranch_execnz .LBB110_88
.LBB110_83:
	s_or_b64 exec, exec, s[0:1]
	s_and_saveexec_b64 s[0:1], s[18:19]
	s_cbranch_execz .LBB110_89
.LBB110_84:
	v_lshlrev_b32_e32 v3, 3, v35
	ds_read_b64 v[3:4], v3
	ds_read_b64 v[5:6], v23 offset:10240
	v_mov_b32_e32 v7, s43
	s_waitcnt lgkmcnt(1)
	v_lshlrev_b64 v[3:4], 3, v[3:4]
	v_add_co_u32_e32 v3, vcc, s42, v3
	v_addc_co_u32_e32 v4, vcc, v7, v4, vcc
	v_add_co_u32_e32 v3, vcc, v3, v31
	v_addc_co_u32_e32 v4, vcc, 0, v4, vcc
	s_waitcnt lgkmcnt(0)
	global_store_dwordx2 v[3:4], v[5:6], off
	s_or_b64 exec, exec, s[0:1]
	s_and_saveexec_b64 s[0:1], s[20:21]
	s_cbranch_execnz .LBB110_90
.LBB110_85:
	s_or_b64 exec, exec, s[0:1]
	s_and_saveexec_b64 s[0:1], s[22:23]
	s_cbranch_execz .LBB110_91
.LBB110_86:
	v_lshlrev_b32_e32 v3, 3, v20
	ds_read_b64 v[3:4], v3
	ds_read_b64 v[5:6], v23 offset:18432
	v_mov_b32_e32 v7, s43
	s_waitcnt lgkmcnt(1)
	v_lshlrev_b64 v[3:4], 3, v[3:4]
	v_add_co_u32_e32 v3, vcc, s42, v3
	v_addc_co_u32_e32 v4, vcc, v7, v4, vcc
	v_add_co_u32_e32 v3, vcc, v3, v33
	v_addc_co_u32_e32 v4, vcc, 0, v4, vcc
	s_waitcnt lgkmcnt(0)
	global_store_dwordx2 v[3:4], v[5:6], off
	s_or_b64 exec, exec, s[0:1]
	s_and_saveexec_b64 s[0:1], s[24:25]
	s_cbranch_execnz .LBB110_92
	s_branch .LBB110_93
.LBB110_87:
	s_or_b64 exec, exec, s[0:1]
	s_and_saveexec_b64 s[0:1], s[16:17]
	s_cbranch_execz .LBB110_83
.LBB110_88:
	v_lshlrev_b32_e32 v3, 3, v21
	ds_read_b64 v[3:4], v3
	ds_read_b64 v[5:6], v23 offset:6144
	v_mov_b32_e32 v7, s43
	s_waitcnt lgkmcnt(1)
	v_lshlrev_b64 v[3:4], 3, v[3:4]
	v_add_co_u32_e32 v3, vcc, s42, v3
	v_addc_co_u32_e32 v4, vcc, v7, v4, vcc
	v_add_co_u32_e32 v3, vcc, v3, v30
	v_addc_co_u32_e32 v4, vcc, 0, v4, vcc
	s_waitcnt lgkmcnt(0)
	global_store_dwordx2 v[3:4], v[5:6], off
	s_or_b64 exec, exec, s[0:1]
	s_and_saveexec_b64 s[0:1], s[18:19]
	s_cbranch_execnz .LBB110_84
.LBB110_89:
	s_or_b64 exec, exec, s[0:1]
	s_and_saveexec_b64 s[0:1], s[20:21]
	s_cbranch_execz .LBB110_85
.LBB110_90:
	v_lshlrev_b32_e32 v3, 3, v18
	ds_read_b64 v[3:4], v3
	ds_read_b64 v[5:6], v23 offset:14336
	v_mov_b32_e32 v7, s43
	s_waitcnt lgkmcnt(1)
	v_lshlrev_b64 v[3:4], 3, v[3:4]
	v_add_co_u32_e32 v3, vcc, s42, v3
	v_addc_co_u32_e32 v4, vcc, v7, v4, vcc
	v_add_co_u32_e32 v3, vcc, v3, v32
	v_addc_co_u32_e32 v4, vcc, 0, v4, vcc
	s_waitcnt lgkmcnt(0)
	global_store_dwordx2 v[3:4], v[5:6], off
	s_or_b64 exec, exec, s[0:1]
	s_and_saveexec_b64 s[0:1], s[22:23]
	s_cbranch_execnz .LBB110_86
.LBB110_91:
	s_or_b64 exec, exec, s[0:1]
	s_and_saveexec_b64 s[0:1], s[24:25]
	s_cbranch_execz .LBB110_93
.LBB110_92:
	v_lshlrev_b32_e32 v3, 3, v17
	ds_read_b64 v[3:4], v3
	ds_read_b64 v[5:6], v23 offset:22528
	v_mov_b32_e32 v7, s43
	s_waitcnt lgkmcnt(1)
	v_lshlrev_b64 v[3:4], 3, v[3:4]
	v_add_co_u32_e32 v3, vcc, s42, v3
	v_addc_co_u32_e32 v4, vcc, v7, v4, vcc
	v_add_co_u32_e32 v3, vcc, v3, v34
	v_addc_co_u32_e32 v4, vcc, 0, v4, vcc
	s_waitcnt lgkmcnt(0)
	global_store_dwordx2 v[3:4], v[5:6], off
.LBB110_93:
	s_or_b64 exec, exec, s[0:1]
	s_add_i32 s7, s7, -1
	s_cmp_eq_u32 s6, s7
	s_cselect_b64 s[0:1], -1, 0
	s_xor_b64 s[2:3], s[12:13], -1
	s_and_b64 s[2:3], s[2:3], s[0:1]
	s_and_saveexec_b64 s[0:1], s[2:3]
	s_cbranch_execz .LBB110_95
; %bb.94:
	ds_read_b64 v[3:4], v23
	v_add_co_u32_e32 v5, vcc, v15, v22
	v_addc_co_u32_e32 v6, vcc, 0, v16, vcc
	s_waitcnt lgkmcnt(0)
	v_add_co_u32_e32 v3, vcc, v5, v3
	v_addc_co_u32_e32 v4, vcc, v6, v4, vcc
	global_store_dwordx2 v23, v[3:4], s[46:47]
.LBB110_95:
	s_or_b64 exec, exec, s[0:1]
	s_mov_b64 s[0:1], 0
.LBB110_96:
	s_and_b64 vcc, exec, s[0:1]
	s_cbranch_vccz .LBB110_131
; %bb.97:
	s_mov_b32 s35, 0
	s_lshl_b64 s[8:9], s[34:35], 3
	v_mbcnt_hi_u32_b32 v19, -1, v19
	s_add_u32 s0, s36, s8
	v_lshlrev_b32_e32 v17, 3, v19
	v_add_co_u32_e32 v6, vcc, s0, v17
	s_load_dword s7, s[4:5], 0x50
	s_load_dword s0, s[4:5], 0x5c
	s_addc_u32 s1, s37, s9
	v_and_b32_e32 v21, 0x1c0, v0
	v_mul_u32_u24_e32 v3, 6, v21
	v_mov_b32_e32 v4, s1
	v_addc_co_u32_e32 v4, vcc, 0, v4, vcc
	v_lshlrev_b32_e32 v18, 3, v3
	s_add_u32 s1, s4, 0x50
	v_add_co_u32_e32 v15, vcc, v6, v18
	s_addc_u32 s2, s5, 0
	s_waitcnt lgkmcnt(0)
	s_lshr_b32 s3, s0, 16
	v_addc_co_u32_e32 v16, vcc, 0, v4, vcc
	s_cmp_lt_u32 s6, s7
	global_load_dwordx2 v[22:23], v[15:16], off
	s_cselect_b32 s0, 12, 18
	s_add_u32 s0, s1, s0
	v_mov_b32_e32 v5, 0
	s_addc_u32 s1, s2, 0
	global_load_ushort v6, v5, s[0:1]
	v_mul_u32_u24_e32 v20, 20, v0
	ds_write2_b32 v20, v5, v5 offset0:8 offset1:9
	ds_write2_b32 v20, v5, v5 offset0:10 offset1:11
	ds_write_b32 v20, v5 offset:48
	global_load_dwordx2 v[3:4], v[15:16], off offset:512
	global_load_dwordx2 v[13:14], v[15:16], off offset:1024
	;; [unrolled: 1-line block ×5, first 2 shown]
	v_mad_u32_u24 v24, v2, s3, v1
	s_lshl_b32 s0, -1, s49
	s_not_b32 s14, s0
	s_waitcnt vmcnt(0) lgkmcnt(0)
	s_barrier
	; wave barrier
	v_xor_b32_e32 v2, 0x7fffffff, v23
	v_not_b32_e32 v1, v22
	v_lshrrev_b64 v[15:16], s48, v[1:2]
	v_and_b32_e32 v15, s14, v15
	v_mad_u64_u32 v[22:23], s[0:1], v24, v6, v[0:1]
	v_and_b32_e32 v23, 1, v15
	v_add_co_u32_e32 v24, vcc, -1, v23
	v_mul_lo_u32 v16, v15, 36
	v_lshlrev_b32_e32 v6, 30, v15
	v_addc_co_u32_e64 v25, s[0:1], 0, -1, vcc
	v_cmp_ne_u32_e32 vcc, 0, v23
	v_cmp_gt_i64_e64 s[0:1], 0, v[5:6]
	v_not_b32_e32 v23, v6
	v_lshlrev_b32_e32 v6, 29, v15
	v_xor_b32_e32 v25, vcc_hi, v25
	v_xor_b32_e32 v24, vcc_lo, v24
	v_ashrrev_i32_e32 v23, 31, v23
	v_cmp_gt_i64_e32 vcc, 0, v[5:6]
	v_not_b32_e32 v26, v6
	v_lshlrev_b32_e32 v6, 28, v15
	v_lshrrev_b32_e32 v28, 6, v22
	v_and_b32_e32 v25, exec_hi, v25
	v_and_b32_e32 v24, exec_lo, v24
	v_xor_b32_e32 v27, s1, v23
	v_xor_b32_e32 v23, s0, v23
	v_ashrrev_i32_e32 v26, 31, v26
	v_cmp_gt_i64_e64 s[0:1], 0, v[5:6]
	v_not_b32_e32 v29, v6
	v_lshlrev_b32_e32 v6, 27, v15
	v_lshl_add_u32 v22, v28, 2, v16
	v_and_b32_e32 v16, v25, v27
	v_and_b32_e32 v23, v24, v23
	v_xor_b32_e32 v24, vcc_hi, v26
	v_xor_b32_e32 v25, vcc_lo, v26
	v_ashrrev_i32_e32 v26, 31, v29
	v_cmp_gt_i64_e32 vcc, 0, v[5:6]
	v_not_b32_e32 v27, v6
	v_lshlrev_b32_e32 v6, 26, v15
	v_and_b32_e32 v16, v16, v24
	v_and_b32_e32 v23, v23, v25
	v_xor_b32_e32 v24, s1, v26
	v_xor_b32_e32 v25, s0, v26
	v_ashrrev_i32_e32 v26, 31, v27
	v_cmp_gt_i64_e64 s[0:1], 0, v[5:6]
	v_not_b32_e32 v6, v6
	v_and_b32_e32 v16, v16, v24
	v_and_b32_e32 v23, v23, v25
	v_xor_b32_e32 v24, vcc_hi, v26
	v_xor_b32_e32 v25, vcc_lo, v26
	v_ashrrev_i32_e32 v6, 31, v6
	v_and_b32_e32 v16, v16, v24
	v_and_b32_e32 v23, v23, v25
	v_xor_b32_e32 v24, s1, v6
	v_xor_b32_e32 v6, s0, v6
	v_and_b32_e32 v23, v23, v6
	v_lshlrev_b32_e32 v6, 25, v15
	v_cmp_gt_i64_e32 vcc, 0, v[5:6]
	v_not_b32_e32 v6, v6
	v_ashrrev_i32_e32 v6, 31, v6
	v_and_b32_e32 v16, v16, v24
	v_xor_b32_e32 v24, vcc_hi, v6
	v_xor_b32_e32 v6, vcc_lo, v6
	v_and_b32_e32 v23, v23, v6
	v_lshlrev_b32_e32 v6, 24, v15
	v_cmp_gt_i64_e32 vcc, 0, v[5:6]
	v_not_b32_e32 v6, v6
	v_ashrrev_i32_e32 v6, 31, v6
	v_and_b32_e32 v16, v16, v24
	v_xor_b32_e32 v15, vcc_hi, v6
	v_xor_b32_e32 v6, vcc_lo, v6
	v_and_b32_e32 v16, v16, v15
	v_and_b32_e32 v15, v23, v6
	v_mbcnt_lo_u32_b32 v6, v15, 0
	v_mbcnt_hi_u32_b32 v23, v16, v6
	v_cmp_ne_u64_e32 vcc, 0, v[15:16]
	v_cmp_eq_u32_e64 s[0:1], 0, v23
	s_and_b64 s[2:3], vcc, s[0:1]
	s_and_saveexec_b64 s[0:1], s[2:3]
; %bb.98:
	v_bcnt_u32_b32 v6, v15, 0
	v_bcnt_u32_b32 v6, v16, v6
	ds_write_b32 v22, v6 offset:32
; %bb.99:
	s_or_b64 exec, exec, s[0:1]
	v_xor_b32_e32 v4, 0x7fffffff, v4
	v_not_b32_e32 v3, v3
	v_lshrrev_b64 v[15:16], s48, v[3:4]
	v_and_b32_e32 v15, s14, v15
	v_mul_lo_u32 v6, v15, 36
	v_and_b32_e32 v16, 1, v15
	; wave barrier
	v_lshl_add_u32 v25, v28, 2, v6
	v_add_co_u32_e32 v6, vcc, -1, v16
	v_addc_co_u32_e64 v26, s[0:1], 0, -1, vcc
	v_cmp_ne_u32_e32 vcc, 0, v16
	v_xor_b32_e32 v6, vcc_lo, v6
	v_xor_b32_e32 v16, vcc_hi, v26
	v_and_b32_e32 v26, exec_lo, v6
	v_lshlrev_b32_e32 v6, 30, v15
	v_cmp_gt_i64_e32 vcc, 0, v[5:6]
	v_not_b32_e32 v6, v6
	v_ashrrev_i32_e32 v6, 31, v6
	v_xor_b32_e32 v27, vcc_hi, v6
	v_xor_b32_e32 v6, vcc_lo, v6
	v_and_b32_e32 v26, v26, v6
	v_lshlrev_b32_e32 v6, 29, v15
	v_cmp_gt_i64_e32 vcc, 0, v[5:6]
	v_not_b32_e32 v6, v6
	v_and_b32_e32 v16, exec_hi, v16
	v_ashrrev_i32_e32 v6, 31, v6
	v_and_b32_e32 v16, v16, v27
	v_xor_b32_e32 v27, vcc_hi, v6
	v_xor_b32_e32 v6, vcc_lo, v6
	v_and_b32_e32 v26, v26, v6
	v_lshlrev_b32_e32 v6, 28, v15
	v_cmp_gt_i64_e32 vcc, 0, v[5:6]
	v_not_b32_e32 v6, v6
	v_ashrrev_i32_e32 v6, 31, v6
	v_and_b32_e32 v16, v16, v27
	v_xor_b32_e32 v27, vcc_hi, v6
	v_xor_b32_e32 v6, vcc_lo, v6
	v_and_b32_e32 v26, v26, v6
	v_lshlrev_b32_e32 v6, 27, v15
	v_cmp_gt_i64_e32 vcc, 0, v[5:6]
	v_not_b32_e32 v6, v6
	;; [unrolled: 8-line block ×5, first 2 shown]
	v_ashrrev_i32_e32 v5, 31, v5
	v_xor_b32_e32 v6, vcc_hi, v5
	v_xor_b32_e32 v5, vcc_lo, v5
	ds_read_b32 v24, v25 offset:32
	v_and_b32_e32 v16, v16, v27
	v_and_b32_e32 v5, v26, v5
	;; [unrolled: 1-line block ×3, first 2 shown]
	v_mbcnt_lo_u32_b32 v15, v5, 0
	v_mbcnt_hi_u32_b32 v26, v6, v15
	v_cmp_ne_u64_e32 vcc, 0, v[5:6]
	v_cmp_eq_u32_e64 s[0:1], 0, v26
	s_and_b64 s[2:3], vcc, s[0:1]
	; wave barrier
	s_and_saveexec_b64 s[0:1], s[2:3]
	s_cbranch_execz .LBB110_101
; %bb.100:
	v_bcnt_u32_b32 v5, v5, 0
	v_bcnt_u32_b32 v5, v6, v5
	s_waitcnt lgkmcnt(0)
	v_add_u32_e32 v5, v24, v5
	ds_write_b32 v25, v5 offset:32
.LBB110_101:
	s_or_b64 exec, exec, s[0:1]
	v_xor_b32_e32 v6, 0x7fffffff, v14
	v_not_b32_e32 v5, v13
	v_lshrrev_b64 v[13:14], s48, v[5:6]
	v_and_b32_e32 v15, s14, v13
	v_mul_lo_u32 v13, v15, 36
	v_and_b32_e32 v14, 1, v15
	v_add_co_u32_e32 v16, vcc, -1, v14
	v_addc_co_u32_e64 v30, s[0:1], 0, -1, vcc
	v_cmp_ne_u32_e32 vcc, 0, v14
	v_xor_b32_e32 v14, vcc_hi, v30
	v_lshl_add_u32 v29, v28, 2, v13
	v_mov_b32_e32 v13, 0
	v_and_b32_e32 v30, exec_hi, v14
	v_lshlrev_b32_e32 v14, 30, v15
	v_xor_b32_e32 v16, vcc_lo, v16
	v_cmp_gt_i64_e32 vcc, 0, v[13:14]
	v_not_b32_e32 v14, v14
	v_ashrrev_i32_e32 v14, 31, v14
	v_and_b32_e32 v16, exec_lo, v16
	v_xor_b32_e32 v31, vcc_hi, v14
	v_xor_b32_e32 v14, vcc_lo, v14
	v_and_b32_e32 v16, v16, v14
	v_lshlrev_b32_e32 v14, 29, v15
	v_cmp_gt_i64_e32 vcc, 0, v[13:14]
	v_not_b32_e32 v14, v14
	v_ashrrev_i32_e32 v14, 31, v14
	v_and_b32_e32 v30, v30, v31
	v_xor_b32_e32 v31, vcc_hi, v14
	v_xor_b32_e32 v14, vcc_lo, v14
	v_and_b32_e32 v16, v16, v14
	v_lshlrev_b32_e32 v14, 28, v15
	v_cmp_gt_i64_e32 vcc, 0, v[13:14]
	v_not_b32_e32 v14, v14
	v_ashrrev_i32_e32 v14, 31, v14
	v_and_b32_e32 v30, v30, v31
	v_xor_b32_e32 v31, vcc_hi, v14
	v_xor_b32_e32 v14, vcc_lo, v14
	v_and_b32_e32 v16, v16, v14
	v_lshlrev_b32_e32 v14, 27, v15
	v_cmp_gt_i64_e32 vcc, 0, v[13:14]
	v_not_b32_e32 v14, v14
	v_ashrrev_i32_e32 v14, 31, v14
	v_and_b32_e32 v30, v30, v31
	v_xor_b32_e32 v31, vcc_hi, v14
	v_xor_b32_e32 v14, vcc_lo, v14
	v_and_b32_e32 v16, v16, v14
	v_lshlrev_b32_e32 v14, 26, v15
	v_cmp_gt_i64_e32 vcc, 0, v[13:14]
	v_not_b32_e32 v14, v14
	v_ashrrev_i32_e32 v14, 31, v14
	v_and_b32_e32 v30, v30, v31
	v_xor_b32_e32 v31, vcc_hi, v14
	v_xor_b32_e32 v14, vcc_lo, v14
	v_and_b32_e32 v16, v16, v14
	v_lshlrev_b32_e32 v14, 25, v15
	v_cmp_gt_i64_e32 vcc, 0, v[13:14]
	v_not_b32_e32 v14, v14
	v_ashrrev_i32_e32 v14, 31, v14
	v_and_b32_e32 v30, v30, v31
	v_xor_b32_e32 v31, vcc_hi, v14
	v_xor_b32_e32 v14, vcc_lo, v14
	v_and_b32_e32 v16, v16, v14
	v_lshlrev_b32_e32 v14, 24, v15
	v_cmp_gt_i64_e32 vcc, 0, v[13:14]
	v_not_b32_e32 v14, v14
	v_ashrrev_i32_e32 v14, 31, v14
	v_xor_b32_e32 v15, vcc_hi, v14
	v_xor_b32_e32 v14, vcc_lo, v14
	; wave barrier
	ds_read_b32 v27, v29 offset:32
	v_and_b32_e32 v30, v30, v31
	v_and_b32_e32 v14, v16, v14
	;; [unrolled: 1-line block ×3, first 2 shown]
	v_mbcnt_lo_u32_b32 v16, v14, 0
	v_mbcnt_hi_u32_b32 v30, v15, v16
	v_cmp_ne_u64_e32 vcc, 0, v[14:15]
	v_cmp_eq_u32_e64 s[0:1], 0, v30
	s_and_b64 s[2:3], vcc, s[0:1]
	; wave barrier
	s_and_saveexec_b64 s[0:1], s[2:3]
	s_cbranch_execz .LBB110_103
; %bb.102:
	v_bcnt_u32_b32 v14, v14, 0
	v_bcnt_u32_b32 v14, v15, v14
	s_waitcnt lgkmcnt(0)
	v_add_u32_e32 v14, v27, v14
	ds_write_b32 v29, v14 offset:32
.LBB110_103:
	s_or_b64 exec, exec, s[0:1]
	v_xor_b32_e32 v10, 0x7fffffff, v10
	v_not_b32_e32 v9, v9
	v_lshrrev_b64 v[14:15], s48, v[9:10]
	v_and_b32_e32 v15, s14, v14
	v_mul_lo_u32 v14, v15, 36
	v_and_b32_e32 v16, 1, v15
	; wave barrier
	v_lshl_add_u32 v32, v28, 2, v14
	v_add_co_u32_e32 v14, vcc, -1, v16
	v_addc_co_u32_e64 v33, s[0:1], 0, -1, vcc
	v_cmp_ne_u32_e32 vcc, 0, v16
	v_xor_b32_e32 v14, vcc_lo, v14
	v_xor_b32_e32 v16, vcc_hi, v33
	v_and_b32_e32 v33, exec_lo, v14
	v_lshlrev_b32_e32 v14, 30, v15
	v_cmp_gt_i64_e32 vcc, 0, v[13:14]
	v_not_b32_e32 v14, v14
	v_ashrrev_i32_e32 v14, 31, v14
	v_xor_b32_e32 v34, vcc_hi, v14
	v_xor_b32_e32 v14, vcc_lo, v14
	v_and_b32_e32 v33, v33, v14
	v_lshlrev_b32_e32 v14, 29, v15
	v_cmp_gt_i64_e32 vcc, 0, v[13:14]
	v_not_b32_e32 v14, v14
	v_and_b32_e32 v16, exec_hi, v16
	v_ashrrev_i32_e32 v14, 31, v14
	v_and_b32_e32 v16, v16, v34
	v_xor_b32_e32 v34, vcc_hi, v14
	v_xor_b32_e32 v14, vcc_lo, v14
	v_and_b32_e32 v33, v33, v14
	v_lshlrev_b32_e32 v14, 28, v15
	v_cmp_gt_i64_e32 vcc, 0, v[13:14]
	v_not_b32_e32 v14, v14
	v_ashrrev_i32_e32 v14, 31, v14
	v_and_b32_e32 v16, v16, v34
	v_xor_b32_e32 v34, vcc_hi, v14
	v_xor_b32_e32 v14, vcc_lo, v14
	v_and_b32_e32 v33, v33, v14
	v_lshlrev_b32_e32 v14, 27, v15
	v_cmp_gt_i64_e32 vcc, 0, v[13:14]
	v_not_b32_e32 v14, v14
	;; [unrolled: 8-line block ×5, first 2 shown]
	v_ashrrev_i32_e32 v13, 31, v13
	v_xor_b32_e32 v14, vcc_hi, v13
	v_xor_b32_e32 v13, vcc_lo, v13
	ds_read_b32 v31, v32 offset:32
	v_and_b32_e32 v16, v16, v34
	v_and_b32_e32 v13, v33, v13
	;; [unrolled: 1-line block ×3, first 2 shown]
	v_mbcnt_lo_u32_b32 v15, v13, 0
	v_mbcnt_hi_u32_b32 v33, v14, v15
	v_cmp_ne_u64_e32 vcc, 0, v[13:14]
	v_cmp_eq_u32_e64 s[0:1], 0, v33
	s_and_b64 s[2:3], vcc, s[0:1]
	; wave barrier
	s_and_saveexec_b64 s[0:1], s[2:3]
	s_cbranch_execz .LBB110_105
; %bb.104:
	v_bcnt_u32_b32 v13, v13, 0
	v_bcnt_u32_b32 v13, v14, v13
	s_waitcnt lgkmcnt(0)
	v_add_u32_e32 v13, v31, v13
	ds_write_b32 v32, v13 offset:32
.LBB110_105:
	s_or_b64 exec, exec, s[0:1]
	v_xor_b32_e32 v12, 0x7fffffff, v12
	v_not_b32_e32 v11, v11
	v_lshrrev_b64 v[13:14], s48, v[11:12]
	v_mov_b32_e32 v15, 0
	v_and_b32_e32 v13, s14, v13
	v_mul_lo_u32 v14, v13, 36
	v_and_b32_e32 v16, 1, v13
	; wave barrier
	v_lshl_add_u32 v35, v28, 2, v14
	v_add_co_u32_e32 v14, vcc, -1, v16
	v_addc_co_u32_e64 v36, s[0:1], 0, -1, vcc
	v_cmp_ne_u32_e32 vcc, 0, v16
	v_xor_b32_e32 v16, vcc_hi, v36
	v_and_b32_e32 v36, exec_hi, v16
	v_lshlrev_b32_e32 v16, 30, v13
	v_xor_b32_e32 v14, vcc_lo, v14
	v_cmp_gt_i64_e32 vcc, 0, v[15:16]
	v_not_b32_e32 v16, v16
	v_ashrrev_i32_e32 v16, 31, v16
	v_and_b32_e32 v14, exec_lo, v14
	v_xor_b32_e32 v37, vcc_hi, v16
	v_xor_b32_e32 v16, vcc_lo, v16
	v_and_b32_e32 v14, v14, v16
	v_lshlrev_b32_e32 v16, 29, v13
	v_cmp_gt_i64_e32 vcc, 0, v[15:16]
	v_not_b32_e32 v16, v16
	v_ashrrev_i32_e32 v16, 31, v16
	v_and_b32_e32 v36, v36, v37
	v_xor_b32_e32 v37, vcc_hi, v16
	v_xor_b32_e32 v16, vcc_lo, v16
	v_and_b32_e32 v14, v14, v16
	v_lshlrev_b32_e32 v16, 28, v13
	v_cmp_gt_i64_e32 vcc, 0, v[15:16]
	v_not_b32_e32 v16, v16
	v_ashrrev_i32_e32 v16, 31, v16
	v_and_b32_e32 v36, v36, v37
	;; [unrolled: 8-line block ×5, first 2 shown]
	v_xor_b32_e32 v37, vcc_hi, v16
	v_xor_b32_e32 v16, vcc_lo, v16
	v_and_b32_e32 v36, v36, v37
	v_and_b32_e32 v37, v14, v16
	v_lshlrev_b32_e32 v16, 24, v13
	v_cmp_gt_i64_e32 vcc, 0, v[15:16]
	v_not_b32_e32 v13, v16
	v_ashrrev_i32_e32 v13, 31, v13
	v_xor_b32_e32 v14, vcc_hi, v13
	v_xor_b32_e32 v13, vcc_lo, v13
	ds_read_b32 v34, v35 offset:32
	v_and_b32_e32 v13, v37, v13
	v_and_b32_e32 v14, v36, v14
	v_mbcnt_lo_u32_b32 v16, v13, 0
	v_mbcnt_hi_u32_b32 v36, v14, v16
	v_cmp_ne_u64_e32 vcc, 0, v[13:14]
	v_cmp_eq_u32_e64 s[0:1], 0, v36
	s_and_b64 s[2:3], vcc, s[0:1]
	; wave barrier
	s_and_saveexec_b64 s[0:1], s[2:3]
	s_cbranch_execz .LBB110_107
; %bb.106:
	v_bcnt_u32_b32 v13, v13, 0
	v_bcnt_u32_b32 v13, v14, v13
	s_waitcnt lgkmcnt(0)
	v_add_u32_e32 v13, v34, v13
	ds_write_b32 v35, v13 offset:32
.LBB110_107:
	s_or_b64 exec, exec, s[0:1]
	v_xor_b32_e32 v14, 0x7fffffff, v8
	v_not_b32_e32 v13, v7
	v_lshrrev_b64 v[7:8], s48, v[13:14]
	v_and_b32_e32 v7, s14, v7
	v_mul_lo_u32 v8, v7, 36
	v_and_b32_e32 v16, 1, v7
	; wave barrier
	v_lshl_add_u32 v37, v28, 2, v8
	v_add_co_u32_e32 v8, vcc, -1, v16
	v_addc_co_u32_e64 v38, s[0:1], 0, -1, vcc
	v_cmp_ne_u32_e32 vcc, 0, v16
	v_xor_b32_e32 v16, vcc_hi, v38
	v_and_b32_e32 v38, exec_hi, v16
	v_lshlrev_b32_e32 v16, 30, v7
	v_xor_b32_e32 v8, vcc_lo, v8
	v_cmp_gt_i64_e32 vcc, 0, v[15:16]
	v_not_b32_e32 v16, v16
	v_ashrrev_i32_e32 v16, 31, v16
	v_and_b32_e32 v8, exec_lo, v8
	v_xor_b32_e32 v39, vcc_hi, v16
	v_xor_b32_e32 v16, vcc_lo, v16
	v_and_b32_e32 v8, v8, v16
	v_lshlrev_b32_e32 v16, 29, v7
	v_cmp_gt_i64_e32 vcc, 0, v[15:16]
	v_not_b32_e32 v16, v16
	v_ashrrev_i32_e32 v16, 31, v16
	v_and_b32_e32 v38, v38, v39
	v_xor_b32_e32 v39, vcc_hi, v16
	v_xor_b32_e32 v16, vcc_lo, v16
	v_and_b32_e32 v8, v8, v16
	v_lshlrev_b32_e32 v16, 28, v7
	v_cmp_gt_i64_e32 vcc, 0, v[15:16]
	v_not_b32_e32 v16, v16
	v_ashrrev_i32_e32 v16, 31, v16
	v_and_b32_e32 v38, v38, v39
	;; [unrolled: 8-line block ×5, first 2 shown]
	v_xor_b32_e32 v39, vcc_hi, v16
	v_xor_b32_e32 v16, vcc_lo, v16
	v_and_b32_e32 v38, v38, v39
	v_and_b32_e32 v39, v8, v16
	v_lshlrev_b32_e32 v16, 24, v7
	v_cmp_gt_i64_e32 vcc, 0, v[15:16]
	v_not_b32_e32 v7, v16
	v_ashrrev_i32_e32 v7, 31, v7
	v_xor_b32_e32 v8, vcc_hi, v7
	v_xor_b32_e32 v7, vcc_lo, v7
	ds_read_b32 v28, v37 offset:32
	v_and_b32_e32 v7, v39, v7
	v_and_b32_e32 v8, v38, v8
	v_mbcnt_lo_u32_b32 v15, v7, 0
	v_mbcnt_hi_u32_b32 v38, v8, v15
	v_cmp_ne_u64_e32 vcc, 0, v[7:8]
	v_cmp_eq_u32_e64 s[0:1], 0, v38
	s_and_b64 s[2:3], vcc, s[0:1]
	; wave barrier
	s_and_saveexec_b64 s[0:1], s[2:3]
	s_cbranch_execz .LBB110_109
; %bb.108:
	v_bcnt_u32_b32 v7, v7, 0
	v_bcnt_u32_b32 v7, v8, v7
	s_waitcnt lgkmcnt(0)
	v_add_u32_e32 v7, v28, v7
	ds_write_b32 v37, v7 offset:32
.LBB110_109:
	s_or_b64 exec, exec, s[0:1]
	; wave barrier
	s_waitcnt lgkmcnt(0)
	s_barrier
	ds_read2_b32 v[15:16], v20 offset0:8 offset1:9
	ds_read2_b32 v[7:8], v20 offset0:10 offset1:11
	ds_read_b32 v39, v20 offset:48
	v_min_u32_e32 v21, 0x1c0, v21
	v_or_b32_e32 v21, 63, v21
	s_waitcnt lgkmcnt(1)
	v_add3_u32 v40, v16, v15, v7
	s_waitcnt lgkmcnt(0)
	v_add3_u32 v39, v40, v8, v39
	v_and_b32_e32 v40, 15, v19
	v_cmp_ne_u32_e32 vcc, 0, v40
	v_mov_b32_dpp v41, v39 row_shr:1 row_mask:0xf bank_mask:0xf
	v_cndmask_b32_e32 v41, 0, v41, vcc
	v_add_u32_e32 v39, v41, v39
	v_cmp_lt_u32_e32 vcc, 1, v40
	s_nop 0
	v_mov_b32_dpp v41, v39 row_shr:2 row_mask:0xf bank_mask:0xf
	v_cndmask_b32_e32 v41, 0, v41, vcc
	v_add_u32_e32 v39, v39, v41
	v_cmp_lt_u32_e32 vcc, 3, v40
	s_nop 0
	;; [unrolled: 5-line block ×3, first 2 shown]
	v_mov_b32_dpp v41, v39 row_shr:8 row_mask:0xf bank_mask:0xf
	v_cndmask_b32_e32 v40, 0, v41, vcc
	v_add_u32_e32 v39, v39, v40
	v_bfe_i32 v41, v19, 4, 1
	v_cmp_lt_u32_e32 vcc, 31, v19
	v_mov_b32_dpp v40, v39 row_bcast:15 row_mask:0xf bank_mask:0xf
	v_and_b32_e32 v40, v41, v40
	v_add_u32_e32 v39, v39, v40
	s_nop 1
	v_mov_b32_dpp v40, v39 row_bcast:31 row_mask:0xf bank_mask:0xf
	v_cndmask_b32_e32 v40, 0, v40, vcc
	v_add_u32_e32 v39, v39, v40
	v_lshrrev_b32_e32 v40, 6, v0
	v_cmp_eq_u32_e32 vcc, v0, v21
	s_and_saveexec_b64 s[0:1], vcc
; %bb.110:
	v_lshlrev_b32_e32 v21, 2, v40
	ds_write_b32 v21, v39
; %bb.111:
	s_or_b64 exec, exec, s[0:1]
	v_cmp_gt_u32_e32 vcc, 8, v0
	s_waitcnt lgkmcnt(0)
	s_barrier
	s_and_saveexec_b64 s[0:1], vcc
	s_cbranch_execz .LBB110_113
; %bb.112:
	v_lshlrev_b32_e32 v21, 2, v0
	ds_read_b32 v41, v21
	v_and_b32_e32 v42, 7, v19
	v_cmp_ne_u32_e32 vcc, 0, v42
	s_waitcnt lgkmcnt(0)
	v_mov_b32_dpp v43, v41 row_shr:1 row_mask:0xf bank_mask:0xf
	v_cndmask_b32_e32 v43, 0, v43, vcc
	v_add_u32_e32 v41, v43, v41
	v_cmp_lt_u32_e32 vcc, 1, v42
	s_nop 0
	v_mov_b32_dpp v43, v41 row_shr:2 row_mask:0xf bank_mask:0xf
	v_cndmask_b32_e32 v43, 0, v43, vcc
	v_add_u32_e32 v41, v41, v43
	v_cmp_lt_u32_e32 vcc, 3, v42
	s_nop 0
	v_mov_b32_dpp v43, v41 row_shr:4 row_mask:0xf bank_mask:0xf
	v_cndmask_b32_e32 v42, 0, v43, vcc
	v_add_u32_e32 v41, v41, v42
	ds_write_b32 v21, v41
.LBB110_113:
	s_or_b64 exec, exec, s[0:1]
	v_cmp_lt_u32_e32 vcc, 63, v0
	v_mov_b32_e32 v21, 0
	s_waitcnt lgkmcnt(0)
	s_barrier
	s_and_saveexec_b64 s[0:1], vcc
; %bb.114:
	v_lshl_add_u32 v21, v40, 2, -4
	ds_read_b32 v21, v21
; %bb.115:
	s_or_b64 exec, exec, s[0:1]
	v_add_u32_e32 v40, -1, v19
	v_and_b32_e32 v41, 64, v19
	v_cmp_lt_i32_e32 vcc, v40, v41
	v_cndmask_b32_e32 v40, v40, v19, vcc
	s_waitcnt lgkmcnt(0)
	v_add_u32_e32 v39, v21, v39
	v_lshlrev_b32_e32 v40, 2, v40
	ds_bpermute_b32 v39, v40, v39
	v_cmp_eq_u32_e32 vcc, 0, v19
	s_movk_i32 s0, 0xff
	s_movk_i32 s2, 0x100
	s_waitcnt lgkmcnt(0)
	v_cndmask_b32_e32 v19, v39, v21, vcc
	v_cmp_ne_u32_e32 vcc, 0, v0
	v_cndmask_b32_e32 v19, 0, v19, vcc
	v_add_u32_e32 v15, v19, v15
	v_add_u32_e32 v16, v15, v16
	v_add_u32_e32 v7, v16, v7
	v_add_u32_e32 v8, v7, v8
	ds_write2_b32 v20, v19, v15 offset0:8 offset1:9
	ds_write2_b32 v20, v16, v7 offset0:10 offset1:11
	ds_write_b32 v20, v8 offset:48
	s_waitcnt lgkmcnt(0)
	s_barrier
	ds_read_b32 v16, v22 offset:32
	ds_read_b32 v19, v25 offset:32
	;; [unrolled: 1-line block ×6, first 2 shown]
	v_mov_b32_e32 v7, 0
	v_cmp_lt_u32_e32 vcc, s0, v0
	v_mov_b32_e32 v8, 0
	v_cmp_gt_u32_e64 s[0:1], s2, v0
                                        ; implicit-def: $vgpr15
	s_and_saveexec_b64 s[4:5], s[0:1]
	s_cbranch_execz .LBB110_119
; %bb.116:
	v_mul_u32_u24_e32 v7, 36, v0
	ds_read_b32 v7, v7 offset:32
	v_add_u32_e32 v15, 1, v0
	v_cmp_ne_u32_e64 s[2:3], s2, v15
	v_mov_b32_e32 v8, 0xc00
	s_and_saveexec_b64 s[10:11], s[2:3]
; %bb.117:
	v_mul_u32_u24_e32 v8, 36, v15
	ds_read_b32 v8, v8 offset:32
; %bb.118:
	s_or_b64 exec, exec, s[10:11]
	s_waitcnt lgkmcnt(0)
	v_sub_u32_e32 v15, v8, v7
	v_mov_b32_e32 v8, 0
.LBB110_119:
	s_or_b64 exec, exec, s[4:5]
	v_lshlrev_b32_e32 v23, 3, v23
	s_waitcnt lgkmcnt(5)
	v_lshl_add_u32 v16, v16, 3, v23
	s_waitcnt lgkmcnt(0)
	s_barrier
	ds_write_b64 v16, v[1:2] offset:2048
	v_lshlrev_b32_e32 v1, 3, v26
	v_lshlrev_b32_e32 v2, 3, v24
	;; [unrolled: 1-line block ×3, first 2 shown]
	v_add3_u32 v19, v1, v2, v19
	ds_write_b64 v19, v[3:4] offset:2048
	v_lshlrev_b32_e32 v1, 3, v30
	v_lshlrev_b32_e32 v2, 3, v27
	;; [unrolled: 1-line block ×3, first 2 shown]
	v_add3_u32 v20, v1, v2, v3
	v_lshlrev_b32_e32 v1, 3, v33
	v_lshlrev_b32_e32 v2, 3, v31
	v_lshlrev_b32_e32 v3, 3, v21
	v_add3_u32 v21, v1, v2, v3
	v_lshlrev_b32_e32 v1, 3, v36
	v_lshlrev_b32_e32 v2, 3, v34
	;; [unrolled: 1-line block ×3, first 2 shown]
	ds_write_b64 v20, v[5:6] offset:2048
	ds_write_b64 v21, v[9:10] offset:2048
	v_add3_u32 v10, v1, v2, v3
	v_lshlrev_b32_e32 v1, 3, v38
	v_lshlrev_b32_e32 v2, 3, v28
	;; [unrolled: 1-line block ×3, first 2 shown]
	ds_write_b64 v10, v[11:12] offset:2048
	v_add3_u32 v11, v1, v2, v3
	v_mov_b32_e32 v2, 0
	v_lshlrev_b32_e32 v9, 3, v0
	ds_write_b64 v11, v[13:14] offset:2048
	s_waitcnt lgkmcnt(0)
	s_barrier
	s_and_saveexec_b64 s[2:3], s[0:1]
	s_cbranch_execz .LBB110_129
; %bb.120:
	v_lshl_add_u32 v1, s6, 8, v0
	v_lshlrev_b64 v[3:4], 2, v[1:2]
	v_mov_b32_e32 v12, s31
	v_add_co_u32_e64 v3, s[0:1], s30, v3
	v_addc_co_u32_e64 v4, s[0:1], v12, v4, s[0:1]
	v_or_b32_e32 v1, 2.0, v15
	s_mov_b64 s[4:5], 0
	s_brev_b32 s15, -4
	s_mov_b32 s16, s6
	v_mov_b32_e32 v13, 0
	global_store_dword v[3:4], v1, off
                                        ; implicit-def: $sgpr0_sgpr1
	s_branch .LBB110_123
.LBB110_121:                            ;   in Loop: Header=BB110_123 Depth=1
	s_or_b64 exec, exec, s[12:13]
.LBB110_122:                            ;   in Loop: Header=BB110_123 Depth=1
	s_or_b64 exec, exec, s[10:11]
	v_and_b32_e32 v5, 0x3fffffff, v1
	v_add_u32_e32 v13, v5, v13
	v_cmp_gt_i32_e64 s[0:1], -2.0, v1
	s_and_b64 s[10:11], exec, s[0:1]
	s_or_b64 s[4:5], s[10:11], s[4:5]
	s_andn2_b64 exec, exec, s[4:5]
	s_cbranch_execz .LBB110_128
.LBB110_123:                            ; =>This Loop Header: Depth=1
                                        ;     Child Loop BB110_126 Depth 2
	s_or_b64 s[0:1], s[0:1], exec
	s_cmp_eq_u32 s16, 0
	s_cbranch_scc1 .LBB110_127
; %bb.124:                              ;   in Loop: Header=BB110_123 Depth=1
	s_add_i32 s16, s16, -1
	v_lshl_or_b32 v1, s16, 8, v0
	v_lshlrev_b64 v[5:6], 2, v[1:2]
	v_add_co_u32_e64 v5, s[0:1], s30, v5
	v_addc_co_u32_e64 v6, s[0:1], v12, v6, s[0:1]
	global_load_dword v1, v[5:6], off glc
	s_waitcnt vmcnt(0)
	v_cmp_gt_u32_e64 s[0:1], 2.0, v1
	s_and_saveexec_b64 s[10:11], s[0:1]
	s_cbranch_execz .LBB110_122
; %bb.125:                              ;   in Loop: Header=BB110_123 Depth=1
	s_mov_b64 s[12:13], 0
.LBB110_126:                            ;   Parent Loop BB110_123 Depth=1
                                        ; =>  This Inner Loop Header: Depth=2
	global_load_dword v1, v[5:6], off glc
	s_waitcnt vmcnt(0)
	v_cmp_lt_u32_e64 s[0:1], s15, v1
	s_or_b64 s[12:13], s[0:1], s[12:13]
	s_andn2_b64 exec, exec, s[12:13]
	s_cbranch_execnz .LBB110_126
	s_branch .LBB110_121
.LBB110_127:                            ;   in Loop: Header=BB110_123 Depth=1
                                        ; implicit-def: $sgpr16
	s_and_b64 s[10:11], exec, s[0:1]
	s_or_b64 s[4:5], s[10:11], s[4:5]
	s_andn2_b64 exec, exec, s[4:5]
	s_cbranch_execnz .LBB110_123
.LBB110_128:
	s_or_b64 exec, exec, s[4:5]
	v_add_u32_e32 v0, v13, v15
	v_or_b32_e32 v0, 0x80000000, v0
	global_store_dword v[3:4], v0, off
	global_load_dwordx2 v[0:1], v9, s[44:45]
	v_sub_co_u32_e64 v2, s[0:1], v13, v7
	v_subb_co_u32_e64 v3, s[0:1], 0, v8, s[0:1]
	s_waitcnt vmcnt(0)
	v_add_co_u32_e64 v0, s[0:1], v2, v0
	v_addc_co_u32_e64 v1, s[0:1], v3, v1, s[0:1]
	ds_write_b64 v9, v[0:1]
.LBB110_129:
	s_or_b64 exec, exec, s[2:3]
	s_waitcnt lgkmcnt(0)
	s_barrier
	ds_read2st64_b64 v[0:3], v9 offset0:4 offset1:12
	ds_read2st64_b64 v[22:25], v9 offset0:20 offset1:28
	v_or_b32_e32 v33, 0x4000, v9
	v_or_b32_e32 v34, 0x5000, v9
	s_waitcnt lgkmcnt(1)
	v_lshrrev_b64 v[4:5], s48, v[0:1]
	s_waitcnt lgkmcnt(0)
	v_lshrrev_b64 v[12:13], s48, v[22:23]
	v_and_b32_e32 v4, s14, v4
	v_lshlrev_b32_e32 v14, 3, v4
	v_lshrrev_b64 v[4:5], s48, v[2:3]
	ds_read_b64 v[5:6], v14
	v_and_b32_e32 v4, s14, v4
	v_lshlrev_b32_e32 v30, 3, v4
	v_and_b32_e32 v4, s14, v12
	v_lshrrev_b64 v[12:13], s48, v[24:25]
	v_lshlrev_b32_e32 v31, 3, v4
	v_and_b32_e32 v4, s14, v12
	v_lshlrev_b32_e32 v32, 3, v4
	s_waitcnt lgkmcnt(0)
	v_lshlrev_b64 v[4:5], 3, v[5:6]
	v_mov_b32_e32 v6, s39
	v_add_co_u32_e64 v4, s[0:1], s38, v4
	ds_read_b64 v[12:13], v30
	ds_read_b64 v[26:27], v31
	;; [unrolled: 1-line block ×3, first 2 shown]
	v_addc_co_u32_e64 v5, s[0:1], v6, v5, s[0:1]
	v_add_co_u32_e64 v4, s[0:1], v4, v9
	v_xor_b32_e32 v1, 0x7fffffff, v1
	v_xor_b32_e32 v0, -1, v0
	v_addc_co_u32_e64 v5, s[0:1], 0, v5, s[0:1]
	global_store_dwordx2 v[4:5], v[0:1], off
	v_xor_b32_e32 v1, 0x7fffffff, v3
	v_xor_b32_e32 v0, -1, v2
	s_waitcnt lgkmcnt(2)
	v_lshlrev_b64 v[2:3], 3, v[12:13]
	v_mov_b32_e32 v4, s39
	v_add_co_u32_e64 v2, s[0:1], s38, v2
	v_addc_co_u32_e64 v3, s[0:1], v4, v3, s[0:1]
	v_or_b32_e32 v6, 0x1000, v9
	v_add_co_u32_e64 v2, s[0:1], v2, v6
	v_addc_co_u32_e64 v3, s[0:1], 0, v3, s[0:1]
	global_store_dwordx2 v[2:3], v[0:1], off
	s_waitcnt lgkmcnt(1)
	v_lshlrev_b64 v[2:3], 3, v[26:27]
	v_or_b32_e32 v26, 0x2000, v9
	v_add_co_u32_e64 v2, s[0:1], s38, v2
	v_addc_co_u32_e64 v3, s[0:1], v4, v3, s[0:1]
	v_add_co_u32_e64 v2, s[0:1], v2, v26
	v_xor_b32_e32 v1, 0x7fffffff, v23
	v_xor_b32_e32 v0, -1, v22
	v_addc_co_u32_e64 v3, s[0:1], 0, v3, s[0:1]
	global_store_dwordx2 v[2:3], v[0:1], off
	s_waitcnt lgkmcnt(0)
	v_lshlrev_b64 v[0:1], 3, v[28:29]
	v_mov_b32_e32 v2, s39
	v_add_co_u32_e64 v12, s[0:1], s38, v0
	v_addc_co_u32_e64 v13, s[0:1], v2, v1, s[0:1]
	ds_read2st64_b64 v[0:3], v9 offset0:36 offset1:44
	v_or_b32_e32 v27, 0x3000, v9
	v_add_co_u32_e64 v12, s[0:1], v12, v27
	v_xor_b32_e32 v5, 0x7fffffff, v25
	s_waitcnt lgkmcnt(0)
	v_lshrrev_b64 v[22:23], s48, v[0:1]
	v_xor_b32_e32 v4, -1, v24
	v_addc_co_u32_e64 v13, s[0:1], 0, v13, s[0:1]
	global_store_dwordx2 v[12:13], v[4:5], off
	v_and_b32_e32 v4, s14, v22
	v_lshlrev_b32_e32 v28, 3, v4
	ds_read_b64 v[4:5], v28
	v_lshrrev_b64 v[12:13], s48, v[2:3]
	v_mov_b32_e32 v22, s39
	v_and_b32_e32 v12, s14, v12
	v_lshlrev_b32_e32 v29, 3, v12
	ds_read_b64 v[12:13], v29
	s_waitcnt lgkmcnt(1)
	v_lshlrev_b64 v[4:5], 3, v[4:5]
	v_xor_b32_e32 v1, 0x7fffffff, v1
	v_add_co_u32_e64 v4, s[0:1], s38, v4
	v_addc_co_u32_e64 v5, s[0:1], v22, v5, s[0:1]
	v_add_co_u32_e64 v4, s[0:1], v4, v33
	v_xor_b32_e32 v0, -1, v0
	v_addc_co_u32_e64 v5, s[0:1], 0, v5, s[0:1]
	global_store_dwordx2 v[4:5], v[0:1], off
	v_xor_b32_e32 v1, 0x7fffffff, v3
	v_xor_b32_e32 v0, -1, v2
	s_waitcnt lgkmcnt(0)
	v_lshlrev_b64 v[2:3], 3, v[12:13]
	v_mov_b32_e32 v4, s39
	v_add_co_u32_e64 v2, s[0:1], s38, v2
	v_addc_co_u32_e64 v3, s[0:1], v4, v3, s[0:1]
	v_add_co_u32_e64 v2, s[0:1], v2, v34
	v_addc_co_u32_e64 v3, s[0:1], 0, v3, s[0:1]
	s_add_u32 s0, s40, s8
	s_addc_u32 s1, s41, s9
	global_store_dwordx2 v[2:3], v[0:1], off
	v_mov_b32_e32 v0, s1
	v_add_co_u32_e64 v1, s[0:1], s0, v17
	v_addc_co_u32_e64 v2, s[0:1], 0, v0, s[0:1]
	v_add_co_u32_e64 v0, s[0:1], v1, v18
	v_addc_co_u32_e64 v1, s[0:1], 0, v2, s[0:1]
	global_load_dwordx2 v[2:3], v[0:1], off
	global_load_dwordx2 v[4:5], v[0:1], off offset:512
	global_load_dwordx2 v[12:13], v[0:1], off offset:1024
	;; [unrolled: 1-line block ×5, first 2 shown]
	s_waitcnt vmcnt(0)
	s_barrier
	s_add_i32 s7, s7, -1
	s_cmp_eq_u32 s6, s7
	ds_write_b64 v16, v[2:3] offset:2048
	ds_write_b64 v19, v[4:5] offset:2048
	;; [unrolled: 1-line block ×6, first 2 shown]
	s_waitcnt lgkmcnt(0)
	s_barrier
	ds_read_b64 v[4:5], v14
	ds_read2st64_b64 v[0:3], v9 offset0:4 offset1:12
	ds_read_b64 v[10:11], v30
	ds_read_b64 v[12:13], v31
	;; [unrolled: 1-line block ×3, first 2 shown]
	s_waitcnt lgkmcnt(4)
	v_lshlrev_b64 v[4:5], 3, v[4:5]
	v_mov_b32_e32 v14, s43
	v_add_co_u32_e64 v4, s[0:1], s42, v4
	v_addc_co_u32_e64 v5, s[0:1], v14, v5, s[0:1]
	v_add_co_u32_e64 v4, s[0:1], v4, v9
	v_addc_co_u32_e64 v5, s[0:1], 0, v5, s[0:1]
	s_waitcnt lgkmcnt(3)
	global_store_dwordx2 v[4:5], v[0:1], off
	s_waitcnt lgkmcnt(2)
	v_lshlrev_b64 v[0:1], 3, v[10:11]
	v_mov_b32_e32 v4, s43
	v_add_co_u32_e64 v0, s[0:1], s42, v0
	v_addc_co_u32_e64 v1, s[0:1], v4, v1, s[0:1]
	v_add_co_u32_e64 v0, s[0:1], v0, v6
	v_addc_co_u32_e64 v1, s[0:1], 0, v1, s[0:1]
	s_waitcnt lgkmcnt(1)
	v_lshlrev_b64 v[4:5], 3, v[12:13]
	global_store_dwordx2 v[0:1], v[2:3], off
	ds_read2st64_b64 v[0:3], v9 offset0:20 offset1:28
	v_mov_b32_e32 v6, s43
	v_add_co_u32_e64 v4, s[0:1], s42, v4
	v_addc_co_u32_e64 v5, s[0:1], v6, v5, s[0:1]
	v_add_co_u32_e64 v4, s[0:1], v4, v26
	v_addc_co_u32_e64 v5, s[0:1], 0, v5, s[0:1]
	s_waitcnt lgkmcnt(0)
	global_store_dwordx2 v[4:5], v[0:1], off
	v_lshlrev_b64 v[0:1], 3, v[16:17]
	v_mov_b32_e32 v4, s43
	v_add_co_u32_e64 v0, s[0:1], s42, v0
	v_addc_co_u32_e64 v1, s[0:1], v4, v1, s[0:1]
	ds_read_b64 v[4:5], v28
	v_add_co_u32_e64 v0, s[0:1], v0, v27
	v_addc_co_u32_e64 v1, s[0:1], 0, v1, s[0:1]
	global_store_dwordx2 v[0:1], v[2:3], off
	s_waitcnt lgkmcnt(0)
	v_lshlrev_b64 v[4:5], 3, v[4:5]
	ds_read2st64_b64 v[0:3], v9 offset0:36 offset1:44
	ds_read_b64 v[10:11], v29
	v_add_co_u32_e64 v4, s[0:1], s42, v4
	v_addc_co_u32_e64 v5, s[0:1], v6, v5, s[0:1]
	v_add_co_u32_e64 v4, s[0:1], v4, v33
	v_addc_co_u32_e64 v5, s[0:1], 0, v5, s[0:1]
	s_waitcnt lgkmcnt(1)
	global_store_dwordx2 v[4:5], v[0:1], off
	s_waitcnt lgkmcnt(0)
	v_lshlrev_b64 v[0:1], 3, v[10:11]
	v_mov_b32_e32 v4, s43
	v_add_co_u32_e64 v0, s[0:1], s42, v0
	v_addc_co_u32_e64 v1, s[0:1], v4, v1, s[0:1]
	v_add_co_u32_e64 v0, s[0:1], v0, v34
	v_addc_co_u32_e64 v1, s[0:1], 0, v1, s[0:1]
	s_cselect_b64 s[0:1], -1, 0
	s_xor_b64 s[2:3], vcc, -1
	s_and_b64 s[0:1], s[2:3], s[0:1]
	global_store_dwordx2 v[0:1], v[2:3], off
	s_and_saveexec_b64 s[2:3], s[0:1]
	s_cbranch_execz .LBB110_131
; %bb.130:
	ds_read_b64 v[0:1], v9
	v_add_co_u32_e32 v2, vcc, v7, v15
	v_addc_co_u32_e32 v3, vcc, 0, v8, vcc
	s_waitcnt lgkmcnt(0)
	v_add_co_u32_e32 v0, vcc, v2, v0
	v_addc_co_u32_e32 v1, vcc, v3, v1, vcc
	global_store_dwordx2 v9, v[0:1], s[46:47]
.LBB110_131:
	s_endpgm
	.section	.rodata,"a",@progbits
	.p2align	6, 0x0
	.amdhsa_kernel _ZN7rocprim17ROCPRIM_304000_NS6detail25onesweep_iteration_kernelINS1_34wrapped_radix_sort_onesweep_configINS0_14default_configElN2at4cuda3cub6detail10OpaqueTypeILi8EEEEELb1EPKlPlPKSA_PSA_mNS0_19identity_decomposerEEEvT1_T2_T3_T4_jPT5_SO_PNS1_23onesweep_lookback_stateET6_jjj
		.amdhsa_group_segment_fixed_size 26624
		.amdhsa_private_segment_fixed_size 0
		.amdhsa_kernarg_size 336
		.amdhsa_user_sgpr_count 6
		.amdhsa_user_sgpr_private_segment_buffer 1
		.amdhsa_user_sgpr_dispatch_ptr 0
		.amdhsa_user_sgpr_queue_ptr 0
		.amdhsa_user_sgpr_kernarg_segment_ptr 1
		.amdhsa_user_sgpr_dispatch_id 0
		.amdhsa_user_sgpr_flat_scratch_init 0
		.amdhsa_user_sgpr_private_segment_size 0
		.amdhsa_uses_dynamic_stack 0
		.amdhsa_system_sgpr_private_segment_wavefront_offset 0
		.amdhsa_system_sgpr_workgroup_id_x 1
		.amdhsa_system_sgpr_workgroup_id_y 0
		.amdhsa_system_sgpr_workgroup_id_z 0
		.amdhsa_system_sgpr_workgroup_info 0
		.amdhsa_system_vgpr_workitem_id 2
		.amdhsa_next_free_vgpr 49
		.amdhsa_next_free_sgpr 98
		.amdhsa_reserve_vcc 1
		.amdhsa_reserve_flat_scratch 0
		.amdhsa_float_round_mode_32 0
		.amdhsa_float_round_mode_16_64 0
		.amdhsa_float_denorm_mode_32 3
		.amdhsa_float_denorm_mode_16_64 3
		.amdhsa_dx10_clamp 1
		.amdhsa_ieee_mode 1
		.amdhsa_fp16_overflow 0
		.amdhsa_exception_fp_ieee_invalid_op 0
		.amdhsa_exception_fp_denorm_src 0
		.amdhsa_exception_fp_ieee_div_zero 0
		.amdhsa_exception_fp_ieee_overflow 0
		.amdhsa_exception_fp_ieee_underflow 0
		.amdhsa_exception_fp_ieee_inexact 0
		.amdhsa_exception_int_div_zero 0
	.end_amdhsa_kernel
	.section	.text._ZN7rocprim17ROCPRIM_304000_NS6detail25onesweep_iteration_kernelINS1_34wrapped_radix_sort_onesweep_configINS0_14default_configElN2at4cuda3cub6detail10OpaqueTypeILi8EEEEELb1EPKlPlPKSA_PSA_mNS0_19identity_decomposerEEEvT1_T2_T3_T4_jPT5_SO_PNS1_23onesweep_lookback_stateET6_jjj,"axG",@progbits,_ZN7rocprim17ROCPRIM_304000_NS6detail25onesweep_iteration_kernelINS1_34wrapped_radix_sort_onesweep_configINS0_14default_configElN2at4cuda3cub6detail10OpaqueTypeILi8EEEEELb1EPKlPlPKSA_PSA_mNS0_19identity_decomposerEEEvT1_T2_T3_T4_jPT5_SO_PNS1_23onesweep_lookback_stateET6_jjj,comdat
.Lfunc_end110:
	.size	_ZN7rocprim17ROCPRIM_304000_NS6detail25onesweep_iteration_kernelINS1_34wrapped_radix_sort_onesweep_configINS0_14default_configElN2at4cuda3cub6detail10OpaqueTypeILi8EEEEELb1EPKlPlPKSA_PSA_mNS0_19identity_decomposerEEEvT1_T2_T3_T4_jPT5_SO_PNS1_23onesweep_lookback_stateET6_jjj, .Lfunc_end110-_ZN7rocprim17ROCPRIM_304000_NS6detail25onesweep_iteration_kernelINS1_34wrapped_radix_sort_onesweep_configINS0_14default_configElN2at4cuda3cub6detail10OpaqueTypeILi8EEEEELb1EPKlPlPKSA_PSA_mNS0_19identity_decomposerEEEvT1_T2_T3_T4_jPT5_SO_PNS1_23onesweep_lookback_stateET6_jjj
                                        ; -- End function
	.set _ZN7rocprim17ROCPRIM_304000_NS6detail25onesweep_iteration_kernelINS1_34wrapped_radix_sort_onesweep_configINS0_14default_configElN2at4cuda3cub6detail10OpaqueTypeILi8EEEEELb1EPKlPlPKSA_PSA_mNS0_19identity_decomposerEEEvT1_T2_T3_T4_jPT5_SO_PNS1_23onesweep_lookback_stateET6_jjj.num_vgpr, 47
	.set _ZN7rocprim17ROCPRIM_304000_NS6detail25onesweep_iteration_kernelINS1_34wrapped_radix_sort_onesweep_configINS0_14default_configElN2at4cuda3cub6detail10OpaqueTypeILi8EEEEELb1EPKlPlPKSA_PSA_mNS0_19identity_decomposerEEEvT1_T2_T3_T4_jPT5_SO_PNS1_23onesweep_lookback_stateET6_jjj.num_agpr, 0
	.set _ZN7rocprim17ROCPRIM_304000_NS6detail25onesweep_iteration_kernelINS1_34wrapped_radix_sort_onesweep_configINS0_14default_configElN2at4cuda3cub6detail10OpaqueTypeILi8EEEEELb1EPKlPlPKSA_PSA_mNS0_19identity_decomposerEEEvT1_T2_T3_T4_jPT5_SO_PNS1_23onesweep_lookback_stateET6_jjj.numbered_sgpr, 54
	.set _ZN7rocprim17ROCPRIM_304000_NS6detail25onesweep_iteration_kernelINS1_34wrapped_radix_sort_onesweep_configINS0_14default_configElN2at4cuda3cub6detail10OpaqueTypeILi8EEEEELb1EPKlPlPKSA_PSA_mNS0_19identity_decomposerEEEvT1_T2_T3_T4_jPT5_SO_PNS1_23onesweep_lookback_stateET6_jjj.num_named_barrier, 0
	.set _ZN7rocprim17ROCPRIM_304000_NS6detail25onesweep_iteration_kernelINS1_34wrapped_radix_sort_onesweep_configINS0_14default_configElN2at4cuda3cub6detail10OpaqueTypeILi8EEEEELb1EPKlPlPKSA_PSA_mNS0_19identity_decomposerEEEvT1_T2_T3_T4_jPT5_SO_PNS1_23onesweep_lookback_stateET6_jjj.private_seg_size, 0
	.set _ZN7rocprim17ROCPRIM_304000_NS6detail25onesweep_iteration_kernelINS1_34wrapped_radix_sort_onesweep_configINS0_14default_configElN2at4cuda3cub6detail10OpaqueTypeILi8EEEEELb1EPKlPlPKSA_PSA_mNS0_19identity_decomposerEEEvT1_T2_T3_T4_jPT5_SO_PNS1_23onesweep_lookback_stateET6_jjj.uses_vcc, 1
	.set _ZN7rocprim17ROCPRIM_304000_NS6detail25onesweep_iteration_kernelINS1_34wrapped_radix_sort_onesweep_configINS0_14default_configElN2at4cuda3cub6detail10OpaqueTypeILi8EEEEELb1EPKlPlPKSA_PSA_mNS0_19identity_decomposerEEEvT1_T2_T3_T4_jPT5_SO_PNS1_23onesweep_lookback_stateET6_jjj.uses_flat_scratch, 0
	.set _ZN7rocprim17ROCPRIM_304000_NS6detail25onesweep_iteration_kernelINS1_34wrapped_radix_sort_onesweep_configINS0_14default_configElN2at4cuda3cub6detail10OpaqueTypeILi8EEEEELb1EPKlPlPKSA_PSA_mNS0_19identity_decomposerEEEvT1_T2_T3_T4_jPT5_SO_PNS1_23onesweep_lookback_stateET6_jjj.has_dyn_sized_stack, 0
	.set _ZN7rocprim17ROCPRIM_304000_NS6detail25onesweep_iteration_kernelINS1_34wrapped_radix_sort_onesweep_configINS0_14default_configElN2at4cuda3cub6detail10OpaqueTypeILi8EEEEELb1EPKlPlPKSA_PSA_mNS0_19identity_decomposerEEEvT1_T2_T3_T4_jPT5_SO_PNS1_23onesweep_lookback_stateET6_jjj.has_recursion, 0
	.set _ZN7rocprim17ROCPRIM_304000_NS6detail25onesweep_iteration_kernelINS1_34wrapped_radix_sort_onesweep_configINS0_14default_configElN2at4cuda3cub6detail10OpaqueTypeILi8EEEEELb1EPKlPlPKSA_PSA_mNS0_19identity_decomposerEEEvT1_T2_T3_T4_jPT5_SO_PNS1_23onesweep_lookback_stateET6_jjj.has_indirect_call, 0
	.section	.AMDGPU.csdata,"",@progbits
; Kernel info:
; codeLenInByte = 11304
; TotalNumSgprs: 58
; NumVgprs: 47
; ScratchSize: 0
; MemoryBound: 1
; FloatMode: 240
; IeeeMode: 1
; LDSByteSize: 26624 bytes/workgroup (compile time only)
; SGPRBlocks: 12
; VGPRBlocks: 12
; NumSGPRsForWavesPerEU: 102
; NumVGPRsForWavesPerEU: 49
; Occupancy: 4
; WaveLimiterHint : 1
; COMPUTE_PGM_RSRC2:SCRATCH_EN: 0
; COMPUTE_PGM_RSRC2:USER_SGPR: 6
; COMPUTE_PGM_RSRC2:TRAP_HANDLER: 0
; COMPUTE_PGM_RSRC2:TGID_X_EN: 1
; COMPUTE_PGM_RSRC2:TGID_Y_EN: 0
; COMPUTE_PGM_RSRC2:TGID_Z_EN: 0
; COMPUTE_PGM_RSRC2:TIDIG_COMP_CNT: 2
	.section	.text._ZN7rocprim17ROCPRIM_304000_NS6detail25onesweep_iteration_kernelINS1_34wrapped_radix_sort_onesweep_configINS0_14default_configElN2at4cuda3cub6detail10OpaqueTypeILi8EEEEELb1EPlSC_PSA_SD_mNS0_19identity_decomposerEEEvT1_T2_T3_T4_jPT5_SK_PNS1_23onesweep_lookback_stateET6_jjj,"axG",@progbits,_ZN7rocprim17ROCPRIM_304000_NS6detail25onesweep_iteration_kernelINS1_34wrapped_radix_sort_onesweep_configINS0_14default_configElN2at4cuda3cub6detail10OpaqueTypeILi8EEEEELb1EPlSC_PSA_SD_mNS0_19identity_decomposerEEEvT1_T2_T3_T4_jPT5_SK_PNS1_23onesweep_lookback_stateET6_jjj,comdat
	.protected	_ZN7rocprim17ROCPRIM_304000_NS6detail25onesweep_iteration_kernelINS1_34wrapped_radix_sort_onesweep_configINS0_14default_configElN2at4cuda3cub6detail10OpaqueTypeILi8EEEEELb1EPlSC_PSA_SD_mNS0_19identity_decomposerEEEvT1_T2_T3_T4_jPT5_SK_PNS1_23onesweep_lookback_stateET6_jjj ; -- Begin function _ZN7rocprim17ROCPRIM_304000_NS6detail25onesweep_iteration_kernelINS1_34wrapped_radix_sort_onesweep_configINS0_14default_configElN2at4cuda3cub6detail10OpaqueTypeILi8EEEEELb1EPlSC_PSA_SD_mNS0_19identity_decomposerEEEvT1_T2_T3_T4_jPT5_SK_PNS1_23onesweep_lookback_stateET6_jjj
	.globl	_ZN7rocprim17ROCPRIM_304000_NS6detail25onesweep_iteration_kernelINS1_34wrapped_radix_sort_onesweep_configINS0_14default_configElN2at4cuda3cub6detail10OpaqueTypeILi8EEEEELb1EPlSC_PSA_SD_mNS0_19identity_decomposerEEEvT1_T2_T3_T4_jPT5_SK_PNS1_23onesweep_lookback_stateET6_jjj
	.p2align	8
	.type	_ZN7rocprim17ROCPRIM_304000_NS6detail25onesweep_iteration_kernelINS1_34wrapped_radix_sort_onesweep_configINS0_14default_configElN2at4cuda3cub6detail10OpaqueTypeILi8EEEEELb1EPlSC_PSA_SD_mNS0_19identity_decomposerEEEvT1_T2_T3_T4_jPT5_SK_PNS1_23onesweep_lookback_stateET6_jjj,@function
_ZN7rocprim17ROCPRIM_304000_NS6detail25onesweep_iteration_kernelINS1_34wrapped_radix_sort_onesweep_configINS0_14default_configElN2at4cuda3cub6detail10OpaqueTypeILi8EEEEELb1EPlSC_PSA_SD_mNS0_19identity_decomposerEEEvT1_T2_T3_T4_jPT5_SK_PNS1_23onesweep_lookback_stateET6_jjj: ; @_ZN7rocprim17ROCPRIM_304000_NS6detail25onesweep_iteration_kernelINS1_34wrapped_radix_sort_onesweep_configINS0_14default_configElN2at4cuda3cub6detail10OpaqueTypeILi8EEEEELb1EPlSC_PSA_SD_mNS0_19identity_decomposerEEEvT1_T2_T3_T4_jPT5_SK_PNS1_23onesweep_lookback_stateET6_jjj
; %bb.0:
	s_load_dwordx4 s[48:51], s[4:5], 0x44
	s_load_dwordx8 s[36:43], s[4:5], 0x0
	s_load_dwordx4 s[44:47], s[4:5], 0x28
	s_load_dwordx2 s[30:31], s[4:5], 0x38
	s_mov_b64 s[0:1], -1
	s_waitcnt lgkmcnt(0)
	s_cmp_ge_u32 s6, s50
	s_mul_i32 s34, s6, 0xc00
	v_mbcnt_lo_u32_b32 v19, -1, 0
	s_cbranch_scc0 .LBB111_96
; %bb.1:
	s_load_dword s0, s[4:5], 0x20
	s_mul_i32 s1, s50, 0xfffff400
	s_mov_b32 s35, 0
	s_lshl_b64 s[50:51], s[34:35], 3
	v_mbcnt_hi_u32_b32 v22, -1, v19
	s_waitcnt lgkmcnt(0)
	s_add_i32 s35, s1, s0
	s_add_u32 s0, s36, s50
	s_addc_u32 s1, s37, s51
	v_and_b32_e32 v23, 0x1c0, v0
	v_lshlrev_b32_e32 v20, 3, v22
	v_mul_u32_u24_e32 v3, 6, v23
	v_mov_b32_e32 v4, s1
	v_add_co_u32_e32 v5, vcc, s0, v20
	v_addc_co_u32_e32 v4, vcc, 0, v4, vcc
	v_lshlrev_b32_e32 v21, 3, v3
	v_add_co_u32_e32 v15, vcc, v5, v21
	v_addc_co_u32_e32 v16, vcc, 0, v4, vcc
	v_or_b32_e32 v17, v22, v3
	v_mov_b32_e32 v3, -1
	v_mov_b32_e32 v5, -1
	;; [unrolled: 1-line block ×4, first 2 shown]
	v_cmp_gt_u32_e32 vcc, s35, v17
	s_and_saveexec_b64 s[0:1], vcc
	s_cbranch_execz .LBB111_3
; %bb.2:
	global_load_dwordx2 v[5:6], v[15:16], off
	s_waitcnt vmcnt(0)
	v_xor_b32_e32 v6, 0x7fffffff, v6
	v_not_b32_e32 v5, v5
.LBB111_3:
	s_or_b64 exec, exec, s[0:1]
	v_add_u32_e32 v7, 64, v17
	v_cmp_gt_u32_e64 s[0:1], s35, v7
	s_and_saveexec_b64 s[2:3], s[0:1]
	s_cbranch_execz .LBB111_5
; %bb.4:
	global_load_dwordx2 v[3:4], v[15:16], off offset:512
	s_waitcnt vmcnt(0)
	v_xor_b32_e32 v4, 0x7fffffff, v4
	v_not_b32_e32 v3, v3
.LBB111_5:
	s_or_b64 exec, exec, s[2:3]
	v_add_u32_e32 v11, 0x80, v17
	v_mov_b32_e32 v7, -1
	v_mov_b32_e32 v9, -1
	;; [unrolled: 1-line block ×4, first 2 shown]
	v_cmp_gt_u32_e64 s[2:3], s35, v11
	s_and_saveexec_b64 s[8:9], s[2:3]
	s_cbranch_execz .LBB111_7
; %bb.6:
	global_load_dwordx2 v[9:10], v[15:16], off offset:1024
	s_waitcnt vmcnt(0)
	v_xor_b32_e32 v10, 0x7fffffff, v10
	v_not_b32_e32 v9, v9
.LBB111_7:
	s_or_b64 exec, exec, s[8:9]
	v_add_u32_e32 v11, 0xc0, v17
	v_cmp_gt_u32_e64 s[26:27], s35, v11
	s_and_saveexec_b64 s[8:9], s[26:27]
	s_cbranch_execz .LBB111_9
; %bb.8:
	global_load_dwordx2 v[7:8], v[15:16], off offset:1536
	s_waitcnt vmcnt(0)
	v_xor_b32_e32 v8, 0x7fffffff, v8
	v_not_b32_e32 v7, v7
.LBB111_9:
	s_or_b64 exec, exec, s[8:9]
	v_add_u32_e32 v18, 0x100, v17
	v_mov_b32_e32 v11, -1
	v_mov_b32_e32 v13, -1
	;; [unrolled: 1-line block ×4, first 2 shown]
	v_cmp_gt_u32_e64 s[8:9], s35, v18
	s_and_saveexec_b64 s[10:11], s[8:9]
	s_cbranch_execz .LBB111_11
; %bb.10:
	global_load_dwordx2 v[13:14], v[15:16], off offset:2048
	s_waitcnt vmcnt(0)
	v_xor_b32_e32 v14, 0x7fffffff, v14
	v_not_b32_e32 v13, v13
.LBB111_11:
	s_or_b64 exec, exec, s[10:11]
	v_add_u32_e32 v17, 0x140, v17
	v_cmp_gt_u32_e64 s[10:11], s35, v17
	s_and_saveexec_b64 s[12:13], s[10:11]
	s_cbranch_execz .LBB111_13
; %bb.12:
	global_load_dwordx2 v[11:12], v[15:16], off offset:2560
	s_waitcnt vmcnt(0)
	v_xor_b32_e32 v12, 0x7fffffff, v12
	v_not_b32_e32 v11, v11
.LBB111_13:
	s_or_b64 exec, exec, s[12:13]
	s_load_dword s12, s[4:5], 0x5c
	s_load_dword s7, s[4:5], 0x50
	s_add_u32 s13, s4, 0x50
	s_addc_u32 s14, s5, 0
	v_mov_b32_e32 v15, 0
	s_waitcnt lgkmcnt(0)
	s_lshr_b32 s15, s12, 16
	s_cmp_lt_u32 s6, s7
	s_cselect_b32 s12, 12, 18
	s_add_u32 s12, s13, s12
	s_addc_u32 s13, s14, 0
	global_load_ushort v18, v15, s[12:13]
	v_lshrrev_b64 v[16:17], s48, v[5:6]
	s_lshl_b32 s12, -1, s49
	s_not_b32 s33, s12
	v_and_b32_e32 v25, s33, v16
	v_and_b32_e32 v26, 1, v25
	v_add_co_u32_e64 v28, s[12:13], -1, v26
	v_lshlrev_b32_e32 v16, 30, v25
	v_addc_co_u32_e64 v29, s[12:13], 0, -1, s[12:13]
	v_mad_u32_u24 v17, v2, s15, v1
	v_cmp_ne_u32_e64 s[12:13], 0, v26
	v_cmp_gt_i64_e64 s[14:15], 0, v[15:16]
	v_not_b32_e32 v26, v16
	v_lshlrev_b32_e32 v16, 29, v25
	v_xor_b32_e32 v29, s13, v29
	v_xor_b32_e32 v28, s12, v28
	v_ashrrev_i32_e32 v26, 31, v26
	v_cmp_gt_i64_e64 s[12:13], 0, v[15:16]
	v_not_b32_e32 v30, v16
	v_lshlrev_b32_e32 v16, 28, v25
	v_and_b32_e32 v29, exec_hi, v29
	v_and_b32_e32 v28, exec_lo, v28
	v_xor_b32_e32 v31, s15, v26
	v_xor_b32_e32 v26, s14, v26
	v_ashrrev_i32_e32 v30, 31, v30
	v_cmp_gt_i64_e64 s[14:15], 0, v[15:16]
	v_not_b32_e32 v32, v16
	v_lshlrev_b32_e32 v16, 27, v25
	v_and_b32_e32 v29, v29, v31
	v_and_b32_e32 v26, v28, v26
	v_xor_b32_e32 v28, s13, v30
	v_xor_b32_e32 v30, s12, v30
	v_ashrrev_i32_e32 v31, 31, v32
	v_cmp_gt_i64_e64 s[12:13], 0, v[15:16]
	v_not_b32_e32 v32, v16
	v_lshlrev_b32_e32 v16, 26, v25
	v_and_b32_e32 v28, v29, v28
	v_and_b32_e32 v26, v26, v30
	v_xor_b32_e32 v29, s15, v31
	v_xor_b32_e32 v30, s14, v31
	v_ashrrev_i32_e32 v31, 31, v32
	v_cmp_gt_i64_e64 s[14:15], 0, v[15:16]
	v_not_b32_e32 v32, v16
	v_lshlrev_b32_e32 v16, 25, v25
	v_and_b32_e32 v28, v28, v29
	v_and_b32_e32 v26, v26, v30
	v_xor_b32_e32 v29, s13, v31
	v_xor_b32_e32 v30, s12, v31
	v_ashrrev_i32_e32 v31, 31, v32
	v_cmp_gt_i64_e64 s[12:13], 0, v[15:16]
	v_not_b32_e32 v32, v16
	v_mul_lo_u32 v27, v25, 36
	v_lshlrev_b32_e32 v16, 24, v25
	v_and_b32_e32 v25, v28, v29
	v_and_b32_e32 v26, v26, v30
	v_xor_b32_e32 v28, s15, v31
	v_xor_b32_e32 v29, s14, v31
	v_ashrrev_i32_e32 v30, 31, v32
	v_and_b32_e32 v25, v25, v28
	v_and_b32_e32 v26, v26, v29
	v_xor_b32_e32 v28, s13, v30
	v_xor_b32_e32 v29, s12, v30
	v_cmp_gt_i64_e64 s[14:15], 0, v[15:16]
	v_not_b32_e32 v16, v16
	v_and_b32_e32 v28, v25, v28
	v_and_b32_e32 v29, v26, v29
	v_ashrrev_i32_e32 v16, 31, v16
	v_xor_b32_e32 v30, s15, v16
	v_xor_b32_e32 v16, s14, v16
	v_and_b32_e32 v16, v29, v16
	v_mul_u32_u24_e32 v24, 20, v0
	ds_write2_b32 v24, v15, v15 offset0:8 offset1:9
	ds_write2_b32 v24, v15, v15 offset0:10 offset1:11
	ds_write_b32 v24, v15 offset:48
	s_waitcnt vmcnt(0) lgkmcnt(0)
	s_barrier
	; wave barrier
	v_mad_u64_u32 v[25:26], s[12:13], v17, v18, v[0:1]
	v_and_b32_e32 v17, v28, v30
	v_cmp_ne_u64_e64 s[12:13], 0, v[16:17]
	v_lshrrev_b32_e32 v18, 6, v25
	v_mbcnt_lo_u32_b32 v25, v16, 0
	v_mbcnt_hi_u32_b32 v25, v17, v25
	v_cmp_eq_u32_e64 s[14:15], 0, v25
	v_lshl_add_u32 v27, v18, 2, v27
	s_and_b64 s[14:15], s[12:13], s[14:15]
	s_and_saveexec_b64 s[12:13], s[14:15]
; %bb.14:
	v_bcnt_u32_b32 v16, v16, 0
	v_bcnt_u32_b32 v16, v17, v16
	ds_write_b32 v27, v16 offset:32
; %bb.15:
	s_or_b64 exec, exec, s[12:13]
	v_lshrrev_b64 v[16:17], s48, v[3:4]
	v_and_b32_e32 v17, s33, v16
	v_mul_lo_u32 v16, v17, 36
	v_and_b32_e32 v29, 1, v17
	; wave barrier
	v_lshl_add_u32 v28, v18, 2, v16
	v_add_co_u32_e64 v16, s[12:13], -1, v29
	v_addc_co_u32_e64 v30, s[12:13], 0, -1, s[12:13]
	v_cmp_ne_u32_e64 s[12:13], 0, v29
	v_xor_b32_e32 v16, s12, v16
	v_xor_b32_e32 v29, s13, v30
	v_and_b32_e32 v30, exec_lo, v16
	v_lshlrev_b32_e32 v16, 30, v17
	v_cmp_gt_i64_e64 s[12:13], 0, v[15:16]
	v_not_b32_e32 v16, v16
	v_ashrrev_i32_e32 v16, 31, v16
	v_xor_b32_e32 v31, s13, v16
	v_xor_b32_e32 v16, s12, v16
	v_and_b32_e32 v30, v30, v16
	v_lshlrev_b32_e32 v16, 29, v17
	v_cmp_gt_i64_e64 s[12:13], 0, v[15:16]
	v_not_b32_e32 v16, v16
	v_and_b32_e32 v29, exec_hi, v29
	v_ashrrev_i32_e32 v16, 31, v16
	v_and_b32_e32 v29, v29, v31
	v_xor_b32_e32 v31, s13, v16
	v_xor_b32_e32 v16, s12, v16
	v_and_b32_e32 v30, v30, v16
	v_lshlrev_b32_e32 v16, 28, v17
	v_cmp_gt_i64_e64 s[12:13], 0, v[15:16]
	v_not_b32_e32 v16, v16
	v_ashrrev_i32_e32 v16, 31, v16
	v_and_b32_e32 v29, v29, v31
	v_xor_b32_e32 v31, s13, v16
	v_xor_b32_e32 v16, s12, v16
	v_and_b32_e32 v30, v30, v16
	v_lshlrev_b32_e32 v16, 27, v17
	v_cmp_gt_i64_e64 s[12:13], 0, v[15:16]
	v_not_b32_e32 v16, v16
	;; [unrolled: 8-line block ×5, first 2 shown]
	v_ashrrev_i32_e32 v15, 31, v15
	v_xor_b32_e32 v16, s13, v15
	v_xor_b32_e32 v15, s12, v15
	ds_read_b32 v26, v28 offset:32
	v_and_b32_e32 v29, v29, v31
	v_and_b32_e32 v15, v30, v15
	;; [unrolled: 1-line block ×3, first 2 shown]
	v_mbcnt_lo_u32_b32 v17, v15, 0
	v_mbcnt_hi_u32_b32 v29, v16, v17
	v_cmp_ne_u64_e64 s[12:13], 0, v[15:16]
	v_cmp_eq_u32_e64 s[14:15], 0, v29
	s_and_b64 s[14:15], s[12:13], s[14:15]
	; wave barrier
	s_and_saveexec_b64 s[12:13], s[14:15]
	s_cbranch_execz .LBB111_17
; %bb.16:
	v_bcnt_u32_b32 v15, v15, 0
	v_bcnt_u32_b32 v15, v16, v15
	s_waitcnt lgkmcnt(0)
	v_add_u32_e32 v15, v26, v15
	ds_write_b32 v28, v15 offset:32
.LBB111_17:
	s_or_b64 exec, exec, s[12:13]
	v_lshrrev_b64 v[15:16], s48, v[9:10]
	v_and_b32_e32 v17, s33, v15
	v_mul_lo_u32 v16, v17, 36
	v_and_b32_e32 v32, 1, v17
	v_mov_b32_e32 v15, 0
	; wave barrier
	v_lshl_add_u32 v31, v18, 2, v16
	v_add_co_u32_e64 v16, s[12:13], -1, v32
	v_addc_co_u32_e64 v33, s[12:13], 0, -1, s[12:13]
	v_cmp_ne_u32_e64 s[12:13], 0, v32
	v_xor_b32_e32 v16, s12, v16
	v_xor_b32_e32 v32, s13, v33
	v_and_b32_e32 v33, exec_lo, v16
	v_lshlrev_b32_e32 v16, 30, v17
	v_cmp_gt_i64_e64 s[12:13], 0, v[15:16]
	v_not_b32_e32 v16, v16
	v_ashrrev_i32_e32 v16, 31, v16
	v_xor_b32_e32 v34, s13, v16
	v_xor_b32_e32 v16, s12, v16
	v_and_b32_e32 v33, v33, v16
	v_lshlrev_b32_e32 v16, 29, v17
	v_cmp_gt_i64_e64 s[12:13], 0, v[15:16]
	v_not_b32_e32 v16, v16
	v_and_b32_e32 v32, exec_hi, v32
	v_ashrrev_i32_e32 v16, 31, v16
	v_and_b32_e32 v32, v32, v34
	v_xor_b32_e32 v34, s13, v16
	v_xor_b32_e32 v16, s12, v16
	v_and_b32_e32 v33, v33, v16
	v_lshlrev_b32_e32 v16, 28, v17
	v_cmp_gt_i64_e64 s[12:13], 0, v[15:16]
	v_not_b32_e32 v16, v16
	v_ashrrev_i32_e32 v16, 31, v16
	v_and_b32_e32 v32, v32, v34
	v_xor_b32_e32 v34, s13, v16
	v_xor_b32_e32 v16, s12, v16
	v_and_b32_e32 v33, v33, v16
	v_lshlrev_b32_e32 v16, 27, v17
	v_cmp_gt_i64_e64 s[12:13], 0, v[15:16]
	v_not_b32_e32 v16, v16
	v_ashrrev_i32_e32 v16, 31, v16
	v_and_b32_e32 v32, v32, v34
	v_xor_b32_e32 v34, s13, v16
	v_xor_b32_e32 v16, s12, v16
	v_and_b32_e32 v33, v33, v16
	v_lshlrev_b32_e32 v16, 26, v17
	v_cmp_gt_i64_e64 s[12:13], 0, v[15:16]
	v_not_b32_e32 v16, v16
	v_ashrrev_i32_e32 v16, 31, v16
	v_and_b32_e32 v32, v32, v34
	v_xor_b32_e32 v34, s13, v16
	v_xor_b32_e32 v16, s12, v16
	v_and_b32_e32 v33, v33, v16
	v_lshlrev_b32_e32 v16, 25, v17
	v_cmp_gt_i64_e64 s[12:13], 0, v[15:16]
	v_not_b32_e32 v16, v16
	v_ashrrev_i32_e32 v16, 31, v16
	v_and_b32_e32 v32, v32, v34
	v_xor_b32_e32 v34, s13, v16
	v_xor_b32_e32 v16, s12, v16
	v_and_b32_e32 v33, v33, v16
	v_lshlrev_b32_e32 v16, 24, v17
	v_cmp_gt_i64_e64 s[12:13], 0, v[15:16]
	v_not_b32_e32 v16, v16
	v_ashrrev_i32_e32 v16, 31, v16
	v_xor_b32_e32 v17, s13, v16
	v_xor_b32_e32 v16, s12, v16
	ds_read_b32 v30, v31 offset:32
	v_and_b32_e32 v32, v32, v34
	v_and_b32_e32 v16, v33, v16
	;; [unrolled: 1-line block ×3, first 2 shown]
	v_mbcnt_lo_u32_b32 v32, v16, 0
	v_mbcnt_hi_u32_b32 v32, v17, v32
	v_cmp_ne_u64_e64 s[12:13], 0, v[16:17]
	v_cmp_eq_u32_e64 s[14:15], 0, v32
	s_and_b64 s[14:15], s[12:13], s[14:15]
	; wave barrier
	s_and_saveexec_b64 s[12:13], s[14:15]
	s_cbranch_execz .LBB111_19
; %bb.18:
	v_bcnt_u32_b32 v16, v16, 0
	v_bcnt_u32_b32 v16, v17, v16
	s_waitcnt lgkmcnt(0)
	v_add_u32_e32 v16, v30, v16
	ds_write_b32 v31, v16 offset:32
.LBB111_19:
	s_or_b64 exec, exec, s[12:13]
	v_lshrrev_b64 v[16:17], s48, v[7:8]
	v_and_b32_e32 v17, s33, v16
	v_mul_lo_u32 v16, v17, 36
	v_and_b32_e32 v35, 1, v17
	; wave barrier
	v_lshl_add_u32 v34, v18, 2, v16
	v_add_co_u32_e64 v16, s[12:13], -1, v35
	v_addc_co_u32_e64 v36, s[12:13], 0, -1, s[12:13]
	v_cmp_ne_u32_e64 s[12:13], 0, v35
	v_xor_b32_e32 v16, s12, v16
	v_xor_b32_e32 v35, s13, v36
	v_and_b32_e32 v36, exec_lo, v16
	v_lshlrev_b32_e32 v16, 30, v17
	v_cmp_gt_i64_e64 s[12:13], 0, v[15:16]
	v_not_b32_e32 v16, v16
	v_ashrrev_i32_e32 v16, 31, v16
	v_xor_b32_e32 v37, s13, v16
	v_xor_b32_e32 v16, s12, v16
	v_and_b32_e32 v36, v36, v16
	v_lshlrev_b32_e32 v16, 29, v17
	v_cmp_gt_i64_e64 s[12:13], 0, v[15:16]
	v_not_b32_e32 v16, v16
	v_and_b32_e32 v35, exec_hi, v35
	v_ashrrev_i32_e32 v16, 31, v16
	v_and_b32_e32 v35, v35, v37
	v_xor_b32_e32 v37, s13, v16
	v_xor_b32_e32 v16, s12, v16
	v_and_b32_e32 v36, v36, v16
	v_lshlrev_b32_e32 v16, 28, v17
	v_cmp_gt_i64_e64 s[12:13], 0, v[15:16]
	v_not_b32_e32 v16, v16
	v_ashrrev_i32_e32 v16, 31, v16
	v_and_b32_e32 v35, v35, v37
	v_xor_b32_e32 v37, s13, v16
	v_xor_b32_e32 v16, s12, v16
	v_and_b32_e32 v36, v36, v16
	v_lshlrev_b32_e32 v16, 27, v17
	v_cmp_gt_i64_e64 s[12:13], 0, v[15:16]
	v_not_b32_e32 v16, v16
	;; [unrolled: 8-line block ×5, first 2 shown]
	v_ashrrev_i32_e32 v15, 31, v15
	v_xor_b32_e32 v16, s13, v15
	v_xor_b32_e32 v15, s12, v15
	ds_read_b32 v33, v34 offset:32
	v_and_b32_e32 v35, v35, v37
	v_and_b32_e32 v15, v36, v15
	;; [unrolled: 1-line block ×3, first 2 shown]
	v_mbcnt_lo_u32_b32 v17, v15, 0
	v_mbcnt_hi_u32_b32 v35, v16, v17
	v_cmp_ne_u64_e64 s[12:13], 0, v[15:16]
	v_cmp_eq_u32_e64 s[14:15], 0, v35
	s_and_b64 s[14:15], s[12:13], s[14:15]
	; wave barrier
	s_and_saveexec_b64 s[12:13], s[14:15]
	s_cbranch_execz .LBB111_21
; %bb.20:
	v_bcnt_u32_b32 v15, v15, 0
	v_bcnt_u32_b32 v15, v16, v15
	s_waitcnt lgkmcnt(0)
	v_add_u32_e32 v15, v33, v15
	ds_write_b32 v34, v15 offset:32
.LBB111_21:
	s_or_b64 exec, exec, s[12:13]
	v_lshrrev_b64 v[15:16], s48, v[13:14]
	v_and_b32_e32 v17, s33, v15
	v_mul_lo_u32 v16, v17, 36
	v_and_b32_e32 v38, 1, v17
	v_mov_b32_e32 v15, 0
	; wave barrier
	v_lshl_add_u32 v37, v18, 2, v16
	v_add_co_u32_e64 v16, s[12:13], -1, v38
	v_addc_co_u32_e64 v39, s[12:13], 0, -1, s[12:13]
	v_cmp_ne_u32_e64 s[12:13], 0, v38
	v_xor_b32_e32 v16, s12, v16
	v_xor_b32_e32 v38, s13, v39
	v_and_b32_e32 v39, exec_lo, v16
	v_lshlrev_b32_e32 v16, 30, v17
	v_cmp_gt_i64_e64 s[12:13], 0, v[15:16]
	v_not_b32_e32 v16, v16
	v_ashrrev_i32_e32 v16, 31, v16
	v_xor_b32_e32 v40, s13, v16
	v_xor_b32_e32 v16, s12, v16
	v_and_b32_e32 v39, v39, v16
	v_lshlrev_b32_e32 v16, 29, v17
	v_cmp_gt_i64_e64 s[12:13], 0, v[15:16]
	v_not_b32_e32 v16, v16
	v_and_b32_e32 v38, exec_hi, v38
	v_ashrrev_i32_e32 v16, 31, v16
	v_and_b32_e32 v38, v38, v40
	v_xor_b32_e32 v40, s13, v16
	v_xor_b32_e32 v16, s12, v16
	v_and_b32_e32 v39, v39, v16
	v_lshlrev_b32_e32 v16, 28, v17
	v_cmp_gt_i64_e64 s[12:13], 0, v[15:16]
	v_not_b32_e32 v16, v16
	v_ashrrev_i32_e32 v16, 31, v16
	v_and_b32_e32 v38, v38, v40
	v_xor_b32_e32 v40, s13, v16
	v_xor_b32_e32 v16, s12, v16
	v_and_b32_e32 v39, v39, v16
	v_lshlrev_b32_e32 v16, 27, v17
	v_cmp_gt_i64_e64 s[12:13], 0, v[15:16]
	v_not_b32_e32 v16, v16
	;; [unrolled: 8-line block ×5, first 2 shown]
	v_ashrrev_i32_e32 v16, 31, v16
	v_xor_b32_e32 v17, s13, v16
	v_xor_b32_e32 v16, s12, v16
	ds_read_b32 v36, v37 offset:32
	v_and_b32_e32 v38, v38, v40
	v_and_b32_e32 v16, v39, v16
	;; [unrolled: 1-line block ×3, first 2 shown]
	v_mbcnt_lo_u32_b32 v38, v16, 0
	v_mbcnt_hi_u32_b32 v38, v17, v38
	v_cmp_ne_u64_e64 s[12:13], 0, v[16:17]
	v_cmp_eq_u32_e64 s[14:15], 0, v38
	s_and_b64 s[14:15], s[12:13], s[14:15]
	; wave barrier
	s_and_saveexec_b64 s[12:13], s[14:15]
	s_cbranch_execz .LBB111_23
; %bb.22:
	v_bcnt_u32_b32 v16, v16, 0
	v_bcnt_u32_b32 v16, v17, v16
	s_waitcnt lgkmcnt(0)
	v_add_u32_e32 v16, v36, v16
	ds_write_b32 v37, v16 offset:32
.LBB111_23:
	s_or_b64 exec, exec, s[12:13]
	v_lshrrev_b64 v[16:17], s48, v[11:12]
	v_and_b32_e32 v17, s33, v16
	v_mul_lo_u32 v16, v17, 36
	v_and_b32_e32 v41, 1, v17
	; wave barrier
	v_lshl_add_u32 v40, v18, 2, v16
	v_add_co_u32_e64 v16, s[12:13], -1, v41
	v_addc_co_u32_e64 v18, s[12:13], 0, -1, s[12:13]
	v_cmp_ne_u32_e64 s[12:13], 0, v41
	v_xor_b32_e32 v16, s12, v16
	v_and_b32_e32 v41, exec_lo, v16
	v_lshlrev_b32_e32 v16, 30, v17
	v_xor_b32_e32 v18, s13, v18
	v_cmp_gt_i64_e64 s[12:13], 0, v[15:16]
	v_not_b32_e32 v16, v16
	v_ashrrev_i32_e32 v16, 31, v16
	v_xor_b32_e32 v42, s13, v16
	v_xor_b32_e32 v16, s12, v16
	v_and_b32_e32 v41, v41, v16
	v_lshlrev_b32_e32 v16, 29, v17
	v_cmp_gt_i64_e64 s[12:13], 0, v[15:16]
	v_not_b32_e32 v16, v16
	v_and_b32_e32 v18, exec_hi, v18
	v_ashrrev_i32_e32 v16, 31, v16
	v_and_b32_e32 v18, v18, v42
	v_xor_b32_e32 v42, s13, v16
	v_xor_b32_e32 v16, s12, v16
	v_and_b32_e32 v41, v41, v16
	v_lshlrev_b32_e32 v16, 28, v17
	v_cmp_gt_i64_e64 s[12:13], 0, v[15:16]
	v_not_b32_e32 v16, v16
	v_ashrrev_i32_e32 v16, 31, v16
	v_and_b32_e32 v18, v18, v42
	v_xor_b32_e32 v42, s13, v16
	v_xor_b32_e32 v16, s12, v16
	v_and_b32_e32 v41, v41, v16
	v_lshlrev_b32_e32 v16, 27, v17
	v_cmp_gt_i64_e64 s[12:13], 0, v[15:16]
	v_not_b32_e32 v16, v16
	;; [unrolled: 8-line block ×5, first 2 shown]
	v_ashrrev_i32_e32 v15, 31, v15
	v_xor_b32_e32 v16, s13, v15
	v_xor_b32_e32 v15, s12, v15
	ds_read_b32 v39, v40 offset:32
	v_and_b32_e32 v18, v18, v42
	v_and_b32_e32 v15, v41, v15
	;; [unrolled: 1-line block ×3, first 2 shown]
	v_mbcnt_lo_u32_b32 v17, v15, 0
	v_mbcnt_hi_u32_b32 v41, v16, v17
	v_cmp_ne_u64_e64 s[12:13], 0, v[15:16]
	v_cmp_eq_u32_e64 s[14:15], 0, v41
	s_and_b64 s[14:15], s[12:13], s[14:15]
	; wave barrier
	s_and_saveexec_b64 s[12:13], s[14:15]
	s_cbranch_execz .LBB111_25
; %bb.24:
	v_bcnt_u32_b32 v15, v15, 0
	v_bcnt_u32_b32 v15, v16, v15
	s_waitcnt lgkmcnt(0)
	v_add_u32_e32 v15, v39, v15
	ds_write_b32 v40, v15 offset:32
.LBB111_25:
	s_or_b64 exec, exec, s[12:13]
	; wave barrier
	s_waitcnt lgkmcnt(0)
	s_barrier
	ds_read2_b32 v[17:18], v24 offset0:8 offset1:9
	ds_read2_b32 v[15:16], v24 offset0:10 offset1:11
	ds_read_b32 v42, v24 offset:48
	v_min_u32_e32 v23, 0x1c0, v23
	v_or_b32_e32 v23, 63, v23
	s_waitcnt lgkmcnt(1)
	v_add3_u32 v43, v18, v17, v15
	s_waitcnt lgkmcnt(0)
	v_add3_u32 v42, v43, v16, v42
	v_and_b32_e32 v43, 15, v22
	v_cmp_ne_u32_e64 s[12:13], 0, v43
	v_mov_b32_dpp v44, v42 row_shr:1 row_mask:0xf bank_mask:0xf
	v_cndmask_b32_e64 v44, 0, v44, s[12:13]
	v_add_u32_e32 v42, v44, v42
	v_cmp_lt_u32_e64 s[12:13], 1, v43
	s_nop 0
	v_mov_b32_dpp v44, v42 row_shr:2 row_mask:0xf bank_mask:0xf
	v_cndmask_b32_e64 v44, 0, v44, s[12:13]
	v_add_u32_e32 v42, v42, v44
	v_cmp_lt_u32_e64 s[12:13], 3, v43
	s_nop 0
	;; [unrolled: 5-line block ×3, first 2 shown]
	v_mov_b32_dpp v44, v42 row_shr:8 row_mask:0xf bank_mask:0xf
	v_cndmask_b32_e64 v43, 0, v44, s[12:13]
	v_add_u32_e32 v42, v42, v43
	v_bfe_i32 v44, v22, 4, 1
	v_cmp_lt_u32_e64 s[12:13], 31, v22
	v_mov_b32_dpp v43, v42 row_bcast:15 row_mask:0xf bank_mask:0xf
	v_and_b32_e32 v43, v44, v43
	v_add_u32_e32 v42, v42, v43
	s_nop 1
	v_mov_b32_dpp v43, v42 row_bcast:31 row_mask:0xf bank_mask:0xf
	v_cndmask_b32_e64 v43, 0, v43, s[12:13]
	v_add_u32_e32 v42, v42, v43
	v_lshrrev_b32_e32 v43, 6, v0
	v_cmp_eq_u32_e64 s[12:13], v0, v23
	s_and_saveexec_b64 s[14:15], s[12:13]
; %bb.26:
	v_lshlrev_b32_e32 v23, 2, v43
	ds_write_b32 v23, v42
; %bb.27:
	s_or_b64 exec, exec, s[14:15]
	v_cmp_gt_u32_e64 s[12:13], 8, v0
	s_waitcnt lgkmcnt(0)
	s_barrier
	s_and_saveexec_b64 s[14:15], s[12:13]
	s_cbranch_execz .LBB111_29
; %bb.28:
	v_lshlrev_b32_e32 v23, 2, v0
	ds_read_b32 v44, v23
	v_and_b32_e32 v45, 7, v22
	v_cmp_ne_u32_e64 s[12:13], 0, v45
	s_waitcnt lgkmcnt(0)
	v_mov_b32_dpp v46, v44 row_shr:1 row_mask:0xf bank_mask:0xf
	v_cndmask_b32_e64 v46, 0, v46, s[12:13]
	v_add_u32_e32 v44, v46, v44
	v_cmp_lt_u32_e64 s[12:13], 1, v45
	s_nop 0
	v_mov_b32_dpp v46, v44 row_shr:2 row_mask:0xf bank_mask:0xf
	v_cndmask_b32_e64 v46, 0, v46, s[12:13]
	v_add_u32_e32 v44, v44, v46
	v_cmp_lt_u32_e64 s[12:13], 3, v45
	s_nop 0
	v_mov_b32_dpp v46, v44 row_shr:4 row_mask:0xf bank_mask:0xf
	v_cndmask_b32_e64 v45, 0, v46, s[12:13]
	v_add_u32_e32 v44, v44, v45
	ds_write_b32 v23, v44
.LBB111_29:
	s_or_b64 exec, exec, s[14:15]
	v_cmp_lt_u32_e64 s[12:13], 63, v0
	v_mov_b32_e32 v23, 0
	s_waitcnt lgkmcnt(0)
	s_barrier
	s_and_saveexec_b64 s[14:15], s[12:13]
; %bb.30:
	v_lshl_add_u32 v23, v43, 2, -4
	ds_read_b32 v23, v23
; %bb.31:
	s_or_b64 exec, exec, s[14:15]
	v_add_u32_e32 v43, -1, v22
	v_and_b32_e32 v44, 64, v22
	v_cmp_lt_i32_e64 s[12:13], v43, v44
	v_cndmask_b32_e64 v43, v43, v22, s[12:13]
	s_waitcnt lgkmcnt(0)
	v_add_u32_e32 v42, v23, v42
	v_lshlrev_b32_e32 v43, 2, v43
	ds_bpermute_b32 v42, v43, v42
	v_cmp_eq_u32_e64 s[12:13], 0, v22
	s_movk_i32 s16, 0x100
	v_cmp_gt_u32_e64 s[14:15], s16, v0
	s_waitcnt lgkmcnt(0)
	v_cndmask_b32_e64 v22, v42, v23, s[12:13]
	v_cmp_ne_u32_e64 s[12:13], 0, v0
	v_cndmask_b32_e64 v22, 0, v22, s[12:13]
	v_add_u32_e32 v17, v22, v17
	v_add_u32_e32 v18, v17, v18
	;; [unrolled: 1-line block ×4, first 2 shown]
	ds_write2_b32 v24, v22, v17 offset0:8 offset1:9
	ds_write2_b32 v24, v18, v15 offset0:10 offset1:11
	ds_write_b32 v24, v16 offset:48
	s_waitcnt lgkmcnt(0)
	s_barrier
	ds_read_b32 v24, v27 offset:32
	ds_read_b32 v28, v28 offset:32
	;; [unrolled: 1-line block ×6, first 2 shown]
	s_movk_i32 s12, 0xff
	v_mov_b32_e32 v15, 0
	v_cmp_lt_u32_e64 s[12:13], s12, v0
	v_mov_b32_e32 v16, 0
                                        ; implicit-def: $vgpr22
	s_and_saveexec_b64 s[18:19], s[14:15]
	s_cbranch_execz .LBB111_35
; %bb.32:
	v_mul_u32_u24_e32 v15, 36, v0
	ds_read_b32 v15, v15 offset:32
	v_add_u32_e32 v22, 1, v0
	v_cmp_ne_u32_e64 s[16:17], s16, v22
	v_mov_b32_e32 v16, 0xc00
	s_and_saveexec_b64 s[20:21], s[16:17]
; %bb.33:
	v_mul_u32_u24_e32 v16, 36, v22
	ds_read_b32 v16, v16 offset:32
; %bb.34:
	s_or_b64 exec, exec, s[20:21]
	s_waitcnt lgkmcnt(0)
	v_sub_u32_e32 v22, v16, v15
	v_mov_b32_e32 v16, 0
.LBB111_35:
	s_or_b64 exec, exec, s[18:19]
	v_lshlrev_b32_e32 v25, 3, v25
	s_waitcnt lgkmcnt(5)
	v_lshl_add_u32 v24, v24, 3, v25
	s_waitcnt lgkmcnt(0)
	s_barrier
	ds_write_b64 v24, v[5:6] offset:2048
	v_lshlrev_b32_e32 v5, 3, v28
	v_lshlrev_b32_e32 v6, 3, v29
	;; [unrolled: 1-line block ×3, first 2 shown]
	v_add3_u32 v25, v5, v6, v25
	ds_write_b64 v25, v[3:4] offset:2048
	v_lshlrev_b32_e32 v3, 3, v27
	v_lshlrev_b32_e32 v4, 3, v32
	v_lshlrev_b32_e32 v5, 3, v30
	v_add3_u32 v26, v3, v4, v5
	v_lshlrev_b32_e32 v3, 3, v23
	v_lshlrev_b32_e32 v4, 3, v35
	v_lshlrev_b32_e32 v5, 3, v33
	v_add3_u32 v27, v3, v4, v5
	;; [unrolled: 4-line block ×4, first 2 shown]
	v_mov_b32_e32 v4, 0
	v_lshlrev_b32_e32 v23, 3, v0
	ds_write_b64 v26, v[9:10] offset:2048
	ds_write_b64 v27, v[7:8] offset:2048
	;; [unrolled: 1-line block ×4, first 2 shown]
	s_waitcnt lgkmcnt(0)
	s_barrier
	s_and_saveexec_b64 s[16:17], s[14:15]
	s_cbranch_execz .LBB111_45
; %bb.36:
	v_lshl_add_u32 v3, s6, 8, v0
	v_lshlrev_b64 v[5:6], 2, v[3:4]
	v_mov_b32_e32 v9, s31
	v_add_co_u32_e64 v5, s[14:15], s30, v5
	v_addc_co_u32_e64 v6, s[14:15], v9, v6, s[14:15]
	v_or_b32_e32 v3, 2.0, v22
	s_mov_b64 s[18:19], 0
	s_brev_b32 s24, -4
	s_mov_b32 s25, s6
	v_mov_b32_e32 v10, 0
	global_store_dword v[5:6], v3, off
                                        ; implicit-def: $sgpr14_sgpr15
	s_branch .LBB111_39
.LBB111_37:                             ;   in Loop: Header=BB111_39 Depth=1
	s_or_b64 exec, exec, s[22:23]
.LBB111_38:                             ;   in Loop: Header=BB111_39 Depth=1
	s_or_b64 exec, exec, s[20:21]
	v_and_b32_e32 v7, 0x3fffffff, v3
	v_add_u32_e32 v10, v7, v10
	v_cmp_gt_i32_e64 s[14:15], -2.0, v3
	s_and_b64 s[20:21], exec, s[14:15]
	s_or_b64 s[18:19], s[20:21], s[18:19]
	s_andn2_b64 exec, exec, s[18:19]
	s_cbranch_execz .LBB111_44
.LBB111_39:                             ; =>This Loop Header: Depth=1
                                        ;     Child Loop BB111_42 Depth 2
	s_or_b64 s[14:15], s[14:15], exec
	s_cmp_eq_u32 s25, 0
	s_cbranch_scc1 .LBB111_43
; %bb.40:                               ;   in Loop: Header=BB111_39 Depth=1
	s_add_i32 s25, s25, -1
	v_lshl_or_b32 v3, s25, 8, v0
	v_lshlrev_b64 v[7:8], 2, v[3:4]
	v_add_co_u32_e64 v7, s[14:15], s30, v7
	v_addc_co_u32_e64 v8, s[14:15], v9, v8, s[14:15]
	global_load_dword v3, v[7:8], off glc
	s_waitcnt vmcnt(0)
	v_cmp_gt_u32_e64 s[14:15], 2.0, v3
	s_and_saveexec_b64 s[20:21], s[14:15]
	s_cbranch_execz .LBB111_38
; %bb.41:                               ;   in Loop: Header=BB111_39 Depth=1
	s_mov_b64 s[22:23], 0
.LBB111_42:                             ;   Parent Loop BB111_39 Depth=1
                                        ; =>  This Inner Loop Header: Depth=2
	global_load_dword v3, v[7:8], off glc
	s_waitcnt vmcnt(0)
	v_cmp_lt_u32_e64 s[14:15], s24, v3
	s_or_b64 s[22:23], s[14:15], s[22:23]
	s_andn2_b64 exec, exec, s[22:23]
	s_cbranch_execnz .LBB111_42
	s_branch .LBB111_37
.LBB111_43:                             ;   in Loop: Header=BB111_39 Depth=1
                                        ; implicit-def: $sgpr25
	s_and_b64 s[20:21], exec, s[14:15]
	s_or_b64 s[18:19], s[20:21], s[18:19]
	s_andn2_b64 exec, exec, s[18:19]
	s_cbranch_execnz .LBB111_39
.LBB111_44:
	s_or_b64 exec, exec, s[18:19]
	v_add_u32_e32 v3, v10, v22
	v_or_b32_e32 v3, 0x80000000, v3
	global_store_dword v[5:6], v3, off
	global_load_dwordx2 v[3:4], v23, s[44:45]
	v_sub_co_u32_e64 v5, s[14:15], v10, v15
	v_subb_co_u32_e64 v6, s[14:15], 0, v16, s[14:15]
	s_waitcnt vmcnt(0)
	v_add_co_u32_e64 v3, s[14:15], v5, v3
	v_addc_co_u32_e64 v4, s[14:15], v6, v4, s[14:15]
	ds_write_b64 v23, v[3:4]
.LBB111_45:
	s_or_b64 exec, exec, s[16:17]
	v_cmp_gt_u32_e64 s[14:15], s35, v0
	s_waitcnt lgkmcnt(0)
	s_barrier
	s_and_saveexec_b64 s[18:19], s[14:15]
	s_cbranch_execz .LBB111_47
; %bb.46:
	ds_read_b64 v[3:4], v23 offset:2048
	v_mov_b32_e32 v7, s39
	s_waitcnt lgkmcnt(0)
	v_lshrrev_b64 v[5:6], s48, v[3:4]
	v_xor_b32_e32 v4, 0x7fffffff, v4
	v_and_b32_e32 v5, s33, v5
	v_lshlrev_b32_e32 v5, 3, v5
	ds_read_b64 v[5:6], v5
	v_not_b32_e32 v3, v3
	s_waitcnt lgkmcnt(0)
	v_lshlrev_b64 v[5:6], 3, v[5:6]
	v_add_co_u32_e64 v5, s[16:17], s38, v5
	v_addc_co_u32_e64 v6, s[16:17], v7, v6, s[16:17]
	v_add_co_u32_e64 v5, s[16:17], v5, v23
	v_addc_co_u32_e64 v6, s[16:17], 0, v6, s[16:17]
	global_store_dwordx2 v[5:6], v[3:4], off
.LBB111_47:
	s_or_b64 exec, exec, s[18:19]
	v_or_b32_e32 v3, 0x200, v0
	v_cmp_gt_u32_e64 s[16:17], s35, v3
	v_lshlrev_b32_e32 v30, 3, v3
	s_and_saveexec_b64 s[20:21], s[16:17]
	s_cbranch_execz .LBB111_49
; %bb.48:
	ds_read_b64 v[3:4], v23 offset:6144
	v_mov_b32_e32 v7, s39
	s_waitcnt lgkmcnt(0)
	v_lshrrev_b64 v[5:6], s48, v[3:4]
	v_xor_b32_e32 v4, 0x7fffffff, v4
	v_and_b32_e32 v5, s33, v5
	v_lshlrev_b32_e32 v5, 3, v5
	ds_read_b64 v[5:6], v5
	v_not_b32_e32 v3, v3
	s_waitcnt lgkmcnt(0)
	v_lshlrev_b64 v[5:6], 3, v[5:6]
	v_add_co_u32_e64 v5, s[18:19], s38, v5
	v_addc_co_u32_e64 v6, s[18:19], v7, v6, s[18:19]
	v_add_co_u32_e64 v5, s[18:19], v5, v30
	v_addc_co_u32_e64 v6, s[18:19], 0, v6, s[18:19]
	global_store_dwordx2 v[5:6], v[3:4], off
.LBB111_49:
	s_or_b64 exec, exec, s[20:21]
	v_or_b32_e32 v3, 0x400, v0
	v_cmp_gt_u32_e64 s[18:19], s35, v3
	v_lshlrev_b32_e32 v31, 3, v3
	;; [unrolled: 24-line block ×5, first 2 shown]
	s_and_saveexec_b64 s[52:53], s[24:25]
	s_cbranch_execz .LBB111_57
; %bb.56:
	ds_read_b64 v[3:4], v23 offset:22528
	v_mov_b32_e32 v7, s39
	s_waitcnt lgkmcnt(0)
	v_lshrrev_b64 v[5:6], s48, v[3:4]
	v_xor_b32_e32 v4, 0x7fffffff, v4
	v_and_b32_e32 v5, s33, v5
	v_lshlrev_b32_e32 v5, 3, v5
	ds_read_b64 v[5:6], v5
	v_not_b32_e32 v3, v3
	s_waitcnt lgkmcnt(0)
	v_lshlrev_b64 v[5:6], 3, v[5:6]
	v_add_co_u32_e64 v5, s[28:29], s38, v5
	v_addc_co_u32_e64 v6, s[28:29], v7, v6, s[28:29]
	v_add_co_u32_e64 v5, s[28:29], v5, v34
	v_addc_co_u32_e64 v6, s[28:29], 0, v6, s[28:29]
	global_store_dwordx2 v[5:6], v[3:4], off
.LBB111_57:
	s_or_b64 exec, exec, s[52:53]
	s_add_u32 s28, s40, s50
	s_addc_u32 s29, s41, s51
	v_mov_b32_e32 v3, s29
	v_add_co_u32_e64 v4, s[28:29], s28, v20
	v_addc_co_u32_e64 v3, s[28:29], 0, v3, s[28:29]
	v_add_co_u32_e64 v17, s[28:29], v4, v21
	v_addc_co_u32_e64 v18, s[28:29], 0, v3, s[28:29]
                                        ; implicit-def: $vgpr3_vgpr4
	s_and_saveexec_b64 s[28:29], vcc
	s_xor_b64 s[28:29], exec, s[28:29]
	s_cbranch_execz .LBB111_63
; %bb.58:
	global_load_dwordx2 v[3:4], v[17:18], off
	s_or_b64 exec, exec, s[28:29]
                                        ; implicit-def: $vgpr5_vgpr6
	s_and_saveexec_b64 s[28:29], s[0:1]
	s_cbranch_execnz .LBB111_64
.LBB111_59:
	s_or_b64 exec, exec, s[28:29]
                                        ; implicit-def: $vgpr7_vgpr8
	s_and_saveexec_b64 s[0:1], s[2:3]
	s_cbranch_execz .LBB111_65
.LBB111_60:
	global_load_dwordx2 v[7:8], v[17:18], off offset:1024
	s_or_b64 exec, exec, s[0:1]
                                        ; implicit-def: $vgpr9_vgpr10
	s_and_saveexec_b64 s[0:1], s[26:27]
	s_cbranch_execnz .LBB111_66
.LBB111_61:
	s_or_b64 exec, exec, s[0:1]
                                        ; implicit-def: $vgpr11_vgpr12
	s_and_saveexec_b64 s[0:1], s[8:9]
	s_cbranch_execz .LBB111_67
.LBB111_62:
	global_load_dwordx2 v[11:12], v[17:18], off offset:2048
	s_or_b64 exec, exec, s[0:1]
                                        ; implicit-def: $vgpr13_vgpr14
	s_and_saveexec_b64 s[0:1], s[10:11]
	s_cbranch_execnz .LBB111_68
	s_branch .LBB111_69
.LBB111_63:
	s_or_b64 exec, exec, s[28:29]
                                        ; implicit-def: $vgpr5_vgpr6
	s_and_saveexec_b64 s[28:29], s[0:1]
	s_cbranch_execz .LBB111_59
.LBB111_64:
	global_load_dwordx2 v[5:6], v[17:18], off offset:512
	s_or_b64 exec, exec, s[28:29]
                                        ; implicit-def: $vgpr7_vgpr8
	s_and_saveexec_b64 s[0:1], s[2:3]
	s_cbranch_execnz .LBB111_60
.LBB111_65:
	s_or_b64 exec, exec, s[0:1]
                                        ; implicit-def: $vgpr9_vgpr10
	s_and_saveexec_b64 s[0:1], s[26:27]
	s_cbranch_execz .LBB111_61
.LBB111_66:
	global_load_dwordx2 v[9:10], v[17:18], off offset:1536
	s_or_b64 exec, exec, s[0:1]
                                        ; implicit-def: $vgpr11_vgpr12
	s_and_saveexec_b64 s[0:1], s[8:9]
	s_cbranch_execnz .LBB111_62
.LBB111_67:
	s_or_b64 exec, exec, s[0:1]
                                        ; implicit-def: $vgpr13_vgpr14
	s_and_saveexec_b64 s[0:1], s[10:11]
	s_cbranch_execz .LBB111_69
.LBB111_68:
	global_load_dwordx2 v[13:14], v[17:18], off offset:2560
.LBB111_69:
	s_or_b64 exec, exec, s[0:1]
	v_mov_b32_e32 v21, 0
	v_mov_b32_e32 v36, 0
	s_and_saveexec_b64 s[0:1], s[14:15]
	s_cbranch_execz .LBB111_71
; %bb.70:
	ds_read_b64 v[17:18], v23 offset:2048
	s_waitcnt lgkmcnt(0)
	v_lshrrev_b64 v[17:18], s48, v[17:18]
	v_and_b32_e32 v36, s33, v17
.LBB111_71:
	s_or_b64 exec, exec, s[0:1]
	s_and_saveexec_b64 s[0:1], s[16:17]
	s_cbranch_execz .LBB111_73
; %bb.72:
	ds_read_b64 v[17:18], v23 offset:6144
	s_waitcnt lgkmcnt(0)
	v_lshrrev_b64 v[17:18], s48, v[17:18]
	v_and_b32_e32 v21, s33, v17
.LBB111_73:
	s_or_b64 exec, exec, s[0:1]
	v_mov_b32_e32 v18, 0
	v_mov_b32_e32 v35, 0
	s_and_saveexec_b64 s[0:1], s[18:19]
	s_cbranch_execz .LBB111_75
; %bb.74:
	ds_read_b64 v[37:38], v23 offset:10240
	s_waitcnt lgkmcnt(0)
	v_lshrrev_b64 v[37:38], s48, v[37:38]
	v_and_b32_e32 v35, s33, v37
.LBB111_75:
	s_or_b64 exec, exec, s[0:1]
	s_and_saveexec_b64 s[0:1], s[20:21]
	s_cbranch_execz .LBB111_77
; %bb.76:
	ds_read_b64 v[17:18], v23 offset:14336
	s_waitcnt lgkmcnt(0)
	v_lshrrev_b64 v[17:18], s48, v[17:18]
	v_and_b32_e32 v18, s33, v17
.LBB111_77:
	;; [unrolled: 20-line block ×3, first 2 shown]
	s_or_b64 exec, exec, s[0:1]
	s_waitcnt vmcnt(0)
	s_barrier
	ds_write_b64 v24, v[3:4] offset:2048
	ds_write_b64 v25, v[5:6] offset:2048
	ds_write_b64 v26, v[7:8] offset:2048
	ds_write_b64 v27, v[9:10] offset:2048
	ds_write_b64 v28, v[11:12] offset:2048
	ds_write_b64 v29, v[13:14] offset:2048
	s_waitcnt lgkmcnt(0)
	s_barrier
	s_and_saveexec_b64 s[0:1], s[14:15]
	s_cbranch_execz .LBB111_87
; %bb.82:
	v_lshlrev_b32_e32 v3, 3, v36
	ds_read_b64 v[3:4], v3
	ds_read_b64 v[5:6], v23 offset:2048
	v_mov_b32_e32 v7, s43
	s_waitcnt lgkmcnt(1)
	v_lshlrev_b64 v[3:4], 3, v[3:4]
	v_add_co_u32_e32 v3, vcc, s42, v3
	v_addc_co_u32_e32 v4, vcc, v7, v4, vcc
	v_add_co_u32_e32 v3, vcc, v3, v23
	v_addc_co_u32_e32 v4, vcc, 0, v4, vcc
	s_waitcnt lgkmcnt(0)
	global_store_dwordx2 v[3:4], v[5:6], off
	s_or_b64 exec, exec, s[0:1]
	s_and_saveexec_b64 s[0:1], s[16:17]
	s_cbranch_execnz .LBB111_88
.LBB111_83:
	s_or_b64 exec, exec, s[0:1]
	s_and_saveexec_b64 s[0:1], s[18:19]
	s_cbranch_execz .LBB111_89
.LBB111_84:
	v_lshlrev_b32_e32 v3, 3, v35
	ds_read_b64 v[3:4], v3
	ds_read_b64 v[5:6], v23 offset:10240
	v_mov_b32_e32 v7, s43
	s_waitcnt lgkmcnt(1)
	v_lshlrev_b64 v[3:4], 3, v[3:4]
	v_add_co_u32_e32 v3, vcc, s42, v3
	v_addc_co_u32_e32 v4, vcc, v7, v4, vcc
	v_add_co_u32_e32 v3, vcc, v3, v31
	v_addc_co_u32_e32 v4, vcc, 0, v4, vcc
	s_waitcnt lgkmcnt(0)
	global_store_dwordx2 v[3:4], v[5:6], off
	s_or_b64 exec, exec, s[0:1]
	s_and_saveexec_b64 s[0:1], s[20:21]
	s_cbranch_execnz .LBB111_90
.LBB111_85:
	s_or_b64 exec, exec, s[0:1]
	s_and_saveexec_b64 s[0:1], s[22:23]
	s_cbranch_execz .LBB111_91
.LBB111_86:
	v_lshlrev_b32_e32 v3, 3, v20
	ds_read_b64 v[3:4], v3
	ds_read_b64 v[5:6], v23 offset:18432
	v_mov_b32_e32 v7, s43
	s_waitcnt lgkmcnt(1)
	v_lshlrev_b64 v[3:4], 3, v[3:4]
	v_add_co_u32_e32 v3, vcc, s42, v3
	v_addc_co_u32_e32 v4, vcc, v7, v4, vcc
	v_add_co_u32_e32 v3, vcc, v3, v33
	v_addc_co_u32_e32 v4, vcc, 0, v4, vcc
	s_waitcnt lgkmcnt(0)
	global_store_dwordx2 v[3:4], v[5:6], off
	s_or_b64 exec, exec, s[0:1]
	s_and_saveexec_b64 s[0:1], s[24:25]
	s_cbranch_execnz .LBB111_92
	s_branch .LBB111_93
.LBB111_87:
	s_or_b64 exec, exec, s[0:1]
	s_and_saveexec_b64 s[0:1], s[16:17]
	s_cbranch_execz .LBB111_83
.LBB111_88:
	v_lshlrev_b32_e32 v3, 3, v21
	ds_read_b64 v[3:4], v3
	ds_read_b64 v[5:6], v23 offset:6144
	v_mov_b32_e32 v7, s43
	s_waitcnt lgkmcnt(1)
	v_lshlrev_b64 v[3:4], 3, v[3:4]
	v_add_co_u32_e32 v3, vcc, s42, v3
	v_addc_co_u32_e32 v4, vcc, v7, v4, vcc
	v_add_co_u32_e32 v3, vcc, v3, v30
	v_addc_co_u32_e32 v4, vcc, 0, v4, vcc
	s_waitcnt lgkmcnt(0)
	global_store_dwordx2 v[3:4], v[5:6], off
	s_or_b64 exec, exec, s[0:1]
	s_and_saveexec_b64 s[0:1], s[18:19]
	s_cbranch_execnz .LBB111_84
.LBB111_89:
	s_or_b64 exec, exec, s[0:1]
	s_and_saveexec_b64 s[0:1], s[20:21]
	s_cbranch_execz .LBB111_85
.LBB111_90:
	v_lshlrev_b32_e32 v3, 3, v18
	ds_read_b64 v[3:4], v3
	ds_read_b64 v[5:6], v23 offset:14336
	v_mov_b32_e32 v7, s43
	s_waitcnt lgkmcnt(1)
	v_lshlrev_b64 v[3:4], 3, v[3:4]
	v_add_co_u32_e32 v3, vcc, s42, v3
	v_addc_co_u32_e32 v4, vcc, v7, v4, vcc
	v_add_co_u32_e32 v3, vcc, v3, v32
	v_addc_co_u32_e32 v4, vcc, 0, v4, vcc
	s_waitcnt lgkmcnt(0)
	global_store_dwordx2 v[3:4], v[5:6], off
	s_or_b64 exec, exec, s[0:1]
	s_and_saveexec_b64 s[0:1], s[22:23]
	s_cbranch_execnz .LBB111_86
.LBB111_91:
	s_or_b64 exec, exec, s[0:1]
	s_and_saveexec_b64 s[0:1], s[24:25]
	s_cbranch_execz .LBB111_93
.LBB111_92:
	v_lshlrev_b32_e32 v3, 3, v17
	ds_read_b64 v[3:4], v3
	ds_read_b64 v[5:6], v23 offset:22528
	v_mov_b32_e32 v7, s43
	s_waitcnt lgkmcnt(1)
	v_lshlrev_b64 v[3:4], 3, v[3:4]
	v_add_co_u32_e32 v3, vcc, s42, v3
	v_addc_co_u32_e32 v4, vcc, v7, v4, vcc
	v_add_co_u32_e32 v3, vcc, v3, v34
	v_addc_co_u32_e32 v4, vcc, 0, v4, vcc
	s_waitcnt lgkmcnt(0)
	global_store_dwordx2 v[3:4], v[5:6], off
.LBB111_93:
	s_or_b64 exec, exec, s[0:1]
	s_add_i32 s7, s7, -1
	s_cmp_eq_u32 s6, s7
	s_cselect_b64 s[0:1], -1, 0
	s_xor_b64 s[2:3], s[12:13], -1
	s_and_b64 s[2:3], s[2:3], s[0:1]
	s_and_saveexec_b64 s[0:1], s[2:3]
	s_cbranch_execz .LBB111_95
; %bb.94:
	ds_read_b64 v[3:4], v23
	v_add_co_u32_e32 v5, vcc, v15, v22
	v_addc_co_u32_e32 v6, vcc, 0, v16, vcc
	s_waitcnt lgkmcnt(0)
	v_add_co_u32_e32 v3, vcc, v5, v3
	v_addc_co_u32_e32 v4, vcc, v6, v4, vcc
	global_store_dwordx2 v23, v[3:4], s[46:47]
.LBB111_95:
	s_or_b64 exec, exec, s[0:1]
	s_mov_b64 s[0:1], 0
.LBB111_96:
	s_and_b64 vcc, exec, s[0:1]
	s_cbranch_vccz .LBB111_131
; %bb.97:
	s_mov_b32 s35, 0
	s_lshl_b64 s[8:9], s[34:35], 3
	v_mbcnt_hi_u32_b32 v19, -1, v19
	s_add_u32 s0, s36, s8
	v_lshlrev_b32_e32 v17, 3, v19
	v_add_co_u32_e32 v6, vcc, s0, v17
	s_load_dword s7, s[4:5], 0x50
	s_load_dword s0, s[4:5], 0x5c
	s_addc_u32 s1, s37, s9
	v_and_b32_e32 v21, 0x1c0, v0
	v_mul_u32_u24_e32 v3, 6, v21
	v_mov_b32_e32 v4, s1
	v_addc_co_u32_e32 v4, vcc, 0, v4, vcc
	v_lshlrev_b32_e32 v18, 3, v3
	s_add_u32 s1, s4, 0x50
	v_add_co_u32_e32 v15, vcc, v6, v18
	s_addc_u32 s2, s5, 0
	s_waitcnt lgkmcnt(0)
	s_lshr_b32 s3, s0, 16
	v_addc_co_u32_e32 v16, vcc, 0, v4, vcc
	s_cmp_lt_u32 s6, s7
	global_load_dwordx2 v[22:23], v[15:16], off
	s_cselect_b32 s0, 12, 18
	s_add_u32 s0, s1, s0
	v_mov_b32_e32 v5, 0
	s_addc_u32 s1, s2, 0
	global_load_ushort v6, v5, s[0:1]
	v_mul_u32_u24_e32 v20, 20, v0
	ds_write2_b32 v20, v5, v5 offset0:8 offset1:9
	ds_write2_b32 v20, v5, v5 offset0:10 offset1:11
	ds_write_b32 v20, v5 offset:48
	global_load_dwordx2 v[3:4], v[15:16], off offset:512
	global_load_dwordx2 v[13:14], v[15:16], off offset:1024
	;; [unrolled: 1-line block ×5, first 2 shown]
	v_mad_u32_u24 v24, v2, s3, v1
	s_lshl_b32 s0, -1, s49
	s_not_b32 s14, s0
	s_waitcnt vmcnt(0) lgkmcnt(0)
	s_barrier
	; wave barrier
	v_xor_b32_e32 v2, 0x7fffffff, v23
	v_not_b32_e32 v1, v22
	v_lshrrev_b64 v[15:16], s48, v[1:2]
	v_and_b32_e32 v15, s14, v15
	v_mad_u64_u32 v[22:23], s[0:1], v24, v6, v[0:1]
	v_and_b32_e32 v23, 1, v15
	v_add_co_u32_e32 v24, vcc, -1, v23
	v_mul_lo_u32 v16, v15, 36
	v_lshlrev_b32_e32 v6, 30, v15
	v_addc_co_u32_e64 v25, s[0:1], 0, -1, vcc
	v_cmp_ne_u32_e32 vcc, 0, v23
	v_cmp_gt_i64_e64 s[0:1], 0, v[5:6]
	v_not_b32_e32 v23, v6
	v_lshlrev_b32_e32 v6, 29, v15
	v_xor_b32_e32 v25, vcc_hi, v25
	v_xor_b32_e32 v24, vcc_lo, v24
	v_ashrrev_i32_e32 v23, 31, v23
	v_cmp_gt_i64_e32 vcc, 0, v[5:6]
	v_not_b32_e32 v26, v6
	v_lshlrev_b32_e32 v6, 28, v15
	v_lshrrev_b32_e32 v28, 6, v22
	v_and_b32_e32 v25, exec_hi, v25
	v_and_b32_e32 v24, exec_lo, v24
	v_xor_b32_e32 v27, s1, v23
	v_xor_b32_e32 v23, s0, v23
	v_ashrrev_i32_e32 v26, 31, v26
	v_cmp_gt_i64_e64 s[0:1], 0, v[5:6]
	v_not_b32_e32 v29, v6
	v_lshlrev_b32_e32 v6, 27, v15
	v_lshl_add_u32 v22, v28, 2, v16
	v_and_b32_e32 v16, v25, v27
	v_and_b32_e32 v23, v24, v23
	v_xor_b32_e32 v24, vcc_hi, v26
	v_xor_b32_e32 v25, vcc_lo, v26
	v_ashrrev_i32_e32 v26, 31, v29
	v_cmp_gt_i64_e32 vcc, 0, v[5:6]
	v_not_b32_e32 v27, v6
	v_lshlrev_b32_e32 v6, 26, v15
	v_and_b32_e32 v16, v16, v24
	v_and_b32_e32 v23, v23, v25
	v_xor_b32_e32 v24, s1, v26
	v_xor_b32_e32 v25, s0, v26
	v_ashrrev_i32_e32 v26, 31, v27
	v_cmp_gt_i64_e64 s[0:1], 0, v[5:6]
	v_not_b32_e32 v6, v6
	v_and_b32_e32 v16, v16, v24
	v_and_b32_e32 v23, v23, v25
	v_xor_b32_e32 v24, vcc_hi, v26
	v_xor_b32_e32 v25, vcc_lo, v26
	v_ashrrev_i32_e32 v6, 31, v6
	v_and_b32_e32 v16, v16, v24
	v_and_b32_e32 v23, v23, v25
	v_xor_b32_e32 v24, s1, v6
	v_xor_b32_e32 v6, s0, v6
	v_and_b32_e32 v23, v23, v6
	v_lshlrev_b32_e32 v6, 25, v15
	v_cmp_gt_i64_e32 vcc, 0, v[5:6]
	v_not_b32_e32 v6, v6
	v_ashrrev_i32_e32 v6, 31, v6
	v_and_b32_e32 v16, v16, v24
	v_xor_b32_e32 v24, vcc_hi, v6
	v_xor_b32_e32 v6, vcc_lo, v6
	v_and_b32_e32 v23, v23, v6
	v_lshlrev_b32_e32 v6, 24, v15
	v_cmp_gt_i64_e32 vcc, 0, v[5:6]
	v_not_b32_e32 v6, v6
	v_ashrrev_i32_e32 v6, 31, v6
	v_and_b32_e32 v16, v16, v24
	v_xor_b32_e32 v15, vcc_hi, v6
	v_xor_b32_e32 v6, vcc_lo, v6
	v_and_b32_e32 v16, v16, v15
	v_and_b32_e32 v15, v23, v6
	v_mbcnt_lo_u32_b32 v6, v15, 0
	v_mbcnt_hi_u32_b32 v23, v16, v6
	v_cmp_ne_u64_e32 vcc, 0, v[15:16]
	v_cmp_eq_u32_e64 s[0:1], 0, v23
	s_and_b64 s[2:3], vcc, s[0:1]
	s_and_saveexec_b64 s[0:1], s[2:3]
; %bb.98:
	v_bcnt_u32_b32 v6, v15, 0
	v_bcnt_u32_b32 v6, v16, v6
	ds_write_b32 v22, v6 offset:32
; %bb.99:
	s_or_b64 exec, exec, s[0:1]
	v_xor_b32_e32 v4, 0x7fffffff, v4
	v_not_b32_e32 v3, v3
	v_lshrrev_b64 v[15:16], s48, v[3:4]
	v_and_b32_e32 v15, s14, v15
	v_mul_lo_u32 v6, v15, 36
	v_and_b32_e32 v16, 1, v15
	; wave barrier
	v_lshl_add_u32 v25, v28, 2, v6
	v_add_co_u32_e32 v6, vcc, -1, v16
	v_addc_co_u32_e64 v26, s[0:1], 0, -1, vcc
	v_cmp_ne_u32_e32 vcc, 0, v16
	v_xor_b32_e32 v6, vcc_lo, v6
	v_xor_b32_e32 v16, vcc_hi, v26
	v_and_b32_e32 v26, exec_lo, v6
	v_lshlrev_b32_e32 v6, 30, v15
	v_cmp_gt_i64_e32 vcc, 0, v[5:6]
	v_not_b32_e32 v6, v6
	v_ashrrev_i32_e32 v6, 31, v6
	v_xor_b32_e32 v27, vcc_hi, v6
	v_xor_b32_e32 v6, vcc_lo, v6
	v_and_b32_e32 v26, v26, v6
	v_lshlrev_b32_e32 v6, 29, v15
	v_cmp_gt_i64_e32 vcc, 0, v[5:6]
	v_not_b32_e32 v6, v6
	v_and_b32_e32 v16, exec_hi, v16
	v_ashrrev_i32_e32 v6, 31, v6
	v_and_b32_e32 v16, v16, v27
	v_xor_b32_e32 v27, vcc_hi, v6
	v_xor_b32_e32 v6, vcc_lo, v6
	v_and_b32_e32 v26, v26, v6
	v_lshlrev_b32_e32 v6, 28, v15
	v_cmp_gt_i64_e32 vcc, 0, v[5:6]
	v_not_b32_e32 v6, v6
	v_ashrrev_i32_e32 v6, 31, v6
	v_and_b32_e32 v16, v16, v27
	v_xor_b32_e32 v27, vcc_hi, v6
	v_xor_b32_e32 v6, vcc_lo, v6
	v_and_b32_e32 v26, v26, v6
	v_lshlrev_b32_e32 v6, 27, v15
	v_cmp_gt_i64_e32 vcc, 0, v[5:6]
	v_not_b32_e32 v6, v6
	;; [unrolled: 8-line block ×5, first 2 shown]
	v_ashrrev_i32_e32 v5, 31, v5
	v_xor_b32_e32 v6, vcc_hi, v5
	v_xor_b32_e32 v5, vcc_lo, v5
	ds_read_b32 v24, v25 offset:32
	v_and_b32_e32 v16, v16, v27
	v_and_b32_e32 v5, v26, v5
	;; [unrolled: 1-line block ×3, first 2 shown]
	v_mbcnt_lo_u32_b32 v15, v5, 0
	v_mbcnt_hi_u32_b32 v26, v6, v15
	v_cmp_ne_u64_e32 vcc, 0, v[5:6]
	v_cmp_eq_u32_e64 s[0:1], 0, v26
	s_and_b64 s[2:3], vcc, s[0:1]
	; wave barrier
	s_and_saveexec_b64 s[0:1], s[2:3]
	s_cbranch_execz .LBB111_101
; %bb.100:
	v_bcnt_u32_b32 v5, v5, 0
	v_bcnt_u32_b32 v5, v6, v5
	s_waitcnt lgkmcnt(0)
	v_add_u32_e32 v5, v24, v5
	ds_write_b32 v25, v5 offset:32
.LBB111_101:
	s_or_b64 exec, exec, s[0:1]
	v_xor_b32_e32 v6, 0x7fffffff, v14
	v_not_b32_e32 v5, v13
	v_lshrrev_b64 v[13:14], s48, v[5:6]
	v_and_b32_e32 v15, s14, v13
	v_mul_lo_u32 v13, v15, 36
	v_and_b32_e32 v14, 1, v15
	v_add_co_u32_e32 v16, vcc, -1, v14
	v_addc_co_u32_e64 v30, s[0:1], 0, -1, vcc
	v_cmp_ne_u32_e32 vcc, 0, v14
	v_xor_b32_e32 v14, vcc_hi, v30
	v_lshl_add_u32 v29, v28, 2, v13
	v_mov_b32_e32 v13, 0
	v_and_b32_e32 v30, exec_hi, v14
	v_lshlrev_b32_e32 v14, 30, v15
	v_xor_b32_e32 v16, vcc_lo, v16
	v_cmp_gt_i64_e32 vcc, 0, v[13:14]
	v_not_b32_e32 v14, v14
	v_ashrrev_i32_e32 v14, 31, v14
	v_and_b32_e32 v16, exec_lo, v16
	v_xor_b32_e32 v31, vcc_hi, v14
	v_xor_b32_e32 v14, vcc_lo, v14
	v_and_b32_e32 v16, v16, v14
	v_lshlrev_b32_e32 v14, 29, v15
	v_cmp_gt_i64_e32 vcc, 0, v[13:14]
	v_not_b32_e32 v14, v14
	v_ashrrev_i32_e32 v14, 31, v14
	v_and_b32_e32 v30, v30, v31
	v_xor_b32_e32 v31, vcc_hi, v14
	v_xor_b32_e32 v14, vcc_lo, v14
	v_and_b32_e32 v16, v16, v14
	v_lshlrev_b32_e32 v14, 28, v15
	v_cmp_gt_i64_e32 vcc, 0, v[13:14]
	v_not_b32_e32 v14, v14
	v_ashrrev_i32_e32 v14, 31, v14
	v_and_b32_e32 v30, v30, v31
	v_xor_b32_e32 v31, vcc_hi, v14
	v_xor_b32_e32 v14, vcc_lo, v14
	v_and_b32_e32 v16, v16, v14
	v_lshlrev_b32_e32 v14, 27, v15
	v_cmp_gt_i64_e32 vcc, 0, v[13:14]
	v_not_b32_e32 v14, v14
	v_ashrrev_i32_e32 v14, 31, v14
	v_and_b32_e32 v30, v30, v31
	v_xor_b32_e32 v31, vcc_hi, v14
	v_xor_b32_e32 v14, vcc_lo, v14
	v_and_b32_e32 v16, v16, v14
	v_lshlrev_b32_e32 v14, 26, v15
	v_cmp_gt_i64_e32 vcc, 0, v[13:14]
	v_not_b32_e32 v14, v14
	v_ashrrev_i32_e32 v14, 31, v14
	v_and_b32_e32 v30, v30, v31
	v_xor_b32_e32 v31, vcc_hi, v14
	v_xor_b32_e32 v14, vcc_lo, v14
	v_and_b32_e32 v16, v16, v14
	v_lshlrev_b32_e32 v14, 25, v15
	v_cmp_gt_i64_e32 vcc, 0, v[13:14]
	v_not_b32_e32 v14, v14
	v_ashrrev_i32_e32 v14, 31, v14
	v_and_b32_e32 v30, v30, v31
	v_xor_b32_e32 v31, vcc_hi, v14
	v_xor_b32_e32 v14, vcc_lo, v14
	v_and_b32_e32 v16, v16, v14
	v_lshlrev_b32_e32 v14, 24, v15
	v_cmp_gt_i64_e32 vcc, 0, v[13:14]
	v_not_b32_e32 v14, v14
	v_ashrrev_i32_e32 v14, 31, v14
	v_xor_b32_e32 v15, vcc_hi, v14
	v_xor_b32_e32 v14, vcc_lo, v14
	; wave barrier
	ds_read_b32 v27, v29 offset:32
	v_and_b32_e32 v30, v30, v31
	v_and_b32_e32 v14, v16, v14
	;; [unrolled: 1-line block ×3, first 2 shown]
	v_mbcnt_lo_u32_b32 v16, v14, 0
	v_mbcnt_hi_u32_b32 v30, v15, v16
	v_cmp_ne_u64_e32 vcc, 0, v[14:15]
	v_cmp_eq_u32_e64 s[0:1], 0, v30
	s_and_b64 s[2:3], vcc, s[0:1]
	; wave barrier
	s_and_saveexec_b64 s[0:1], s[2:3]
	s_cbranch_execz .LBB111_103
; %bb.102:
	v_bcnt_u32_b32 v14, v14, 0
	v_bcnt_u32_b32 v14, v15, v14
	s_waitcnt lgkmcnt(0)
	v_add_u32_e32 v14, v27, v14
	ds_write_b32 v29, v14 offset:32
.LBB111_103:
	s_or_b64 exec, exec, s[0:1]
	v_xor_b32_e32 v10, 0x7fffffff, v10
	v_not_b32_e32 v9, v9
	v_lshrrev_b64 v[14:15], s48, v[9:10]
	v_and_b32_e32 v15, s14, v14
	v_mul_lo_u32 v14, v15, 36
	v_and_b32_e32 v16, 1, v15
	; wave barrier
	v_lshl_add_u32 v32, v28, 2, v14
	v_add_co_u32_e32 v14, vcc, -1, v16
	v_addc_co_u32_e64 v33, s[0:1], 0, -1, vcc
	v_cmp_ne_u32_e32 vcc, 0, v16
	v_xor_b32_e32 v14, vcc_lo, v14
	v_xor_b32_e32 v16, vcc_hi, v33
	v_and_b32_e32 v33, exec_lo, v14
	v_lshlrev_b32_e32 v14, 30, v15
	v_cmp_gt_i64_e32 vcc, 0, v[13:14]
	v_not_b32_e32 v14, v14
	v_ashrrev_i32_e32 v14, 31, v14
	v_xor_b32_e32 v34, vcc_hi, v14
	v_xor_b32_e32 v14, vcc_lo, v14
	v_and_b32_e32 v33, v33, v14
	v_lshlrev_b32_e32 v14, 29, v15
	v_cmp_gt_i64_e32 vcc, 0, v[13:14]
	v_not_b32_e32 v14, v14
	v_and_b32_e32 v16, exec_hi, v16
	v_ashrrev_i32_e32 v14, 31, v14
	v_and_b32_e32 v16, v16, v34
	v_xor_b32_e32 v34, vcc_hi, v14
	v_xor_b32_e32 v14, vcc_lo, v14
	v_and_b32_e32 v33, v33, v14
	v_lshlrev_b32_e32 v14, 28, v15
	v_cmp_gt_i64_e32 vcc, 0, v[13:14]
	v_not_b32_e32 v14, v14
	v_ashrrev_i32_e32 v14, 31, v14
	v_and_b32_e32 v16, v16, v34
	v_xor_b32_e32 v34, vcc_hi, v14
	v_xor_b32_e32 v14, vcc_lo, v14
	v_and_b32_e32 v33, v33, v14
	v_lshlrev_b32_e32 v14, 27, v15
	v_cmp_gt_i64_e32 vcc, 0, v[13:14]
	v_not_b32_e32 v14, v14
	;; [unrolled: 8-line block ×5, first 2 shown]
	v_ashrrev_i32_e32 v13, 31, v13
	v_xor_b32_e32 v14, vcc_hi, v13
	v_xor_b32_e32 v13, vcc_lo, v13
	ds_read_b32 v31, v32 offset:32
	v_and_b32_e32 v16, v16, v34
	v_and_b32_e32 v13, v33, v13
	;; [unrolled: 1-line block ×3, first 2 shown]
	v_mbcnt_lo_u32_b32 v15, v13, 0
	v_mbcnt_hi_u32_b32 v33, v14, v15
	v_cmp_ne_u64_e32 vcc, 0, v[13:14]
	v_cmp_eq_u32_e64 s[0:1], 0, v33
	s_and_b64 s[2:3], vcc, s[0:1]
	; wave barrier
	s_and_saveexec_b64 s[0:1], s[2:3]
	s_cbranch_execz .LBB111_105
; %bb.104:
	v_bcnt_u32_b32 v13, v13, 0
	v_bcnt_u32_b32 v13, v14, v13
	s_waitcnt lgkmcnt(0)
	v_add_u32_e32 v13, v31, v13
	ds_write_b32 v32, v13 offset:32
.LBB111_105:
	s_or_b64 exec, exec, s[0:1]
	v_xor_b32_e32 v12, 0x7fffffff, v12
	v_not_b32_e32 v11, v11
	v_lshrrev_b64 v[13:14], s48, v[11:12]
	v_mov_b32_e32 v15, 0
	v_and_b32_e32 v13, s14, v13
	v_mul_lo_u32 v14, v13, 36
	v_and_b32_e32 v16, 1, v13
	; wave barrier
	v_lshl_add_u32 v35, v28, 2, v14
	v_add_co_u32_e32 v14, vcc, -1, v16
	v_addc_co_u32_e64 v36, s[0:1], 0, -1, vcc
	v_cmp_ne_u32_e32 vcc, 0, v16
	v_xor_b32_e32 v16, vcc_hi, v36
	v_and_b32_e32 v36, exec_hi, v16
	v_lshlrev_b32_e32 v16, 30, v13
	v_xor_b32_e32 v14, vcc_lo, v14
	v_cmp_gt_i64_e32 vcc, 0, v[15:16]
	v_not_b32_e32 v16, v16
	v_ashrrev_i32_e32 v16, 31, v16
	v_and_b32_e32 v14, exec_lo, v14
	v_xor_b32_e32 v37, vcc_hi, v16
	v_xor_b32_e32 v16, vcc_lo, v16
	v_and_b32_e32 v14, v14, v16
	v_lshlrev_b32_e32 v16, 29, v13
	v_cmp_gt_i64_e32 vcc, 0, v[15:16]
	v_not_b32_e32 v16, v16
	v_ashrrev_i32_e32 v16, 31, v16
	v_and_b32_e32 v36, v36, v37
	v_xor_b32_e32 v37, vcc_hi, v16
	v_xor_b32_e32 v16, vcc_lo, v16
	v_and_b32_e32 v14, v14, v16
	v_lshlrev_b32_e32 v16, 28, v13
	v_cmp_gt_i64_e32 vcc, 0, v[15:16]
	v_not_b32_e32 v16, v16
	v_ashrrev_i32_e32 v16, 31, v16
	v_and_b32_e32 v36, v36, v37
	;; [unrolled: 8-line block ×5, first 2 shown]
	v_xor_b32_e32 v37, vcc_hi, v16
	v_xor_b32_e32 v16, vcc_lo, v16
	v_and_b32_e32 v36, v36, v37
	v_and_b32_e32 v37, v14, v16
	v_lshlrev_b32_e32 v16, 24, v13
	v_cmp_gt_i64_e32 vcc, 0, v[15:16]
	v_not_b32_e32 v13, v16
	v_ashrrev_i32_e32 v13, 31, v13
	v_xor_b32_e32 v14, vcc_hi, v13
	v_xor_b32_e32 v13, vcc_lo, v13
	ds_read_b32 v34, v35 offset:32
	v_and_b32_e32 v13, v37, v13
	v_and_b32_e32 v14, v36, v14
	v_mbcnt_lo_u32_b32 v16, v13, 0
	v_mbcnt_hi_u32_b32 v36, v14, v16
	v_cmp_ne_u64_e32 vcc, 0, v[13:14]
	v_cmp_eq_u32_e64 s[0:1], 0, v36
	s_and_b64 s[2:3], vcc, s[0:1]
	; wave barrier
	s_and_saveexec_b64 s[0:1], s[2:3]
	s_cbranch_execz .LBB111_107
; %bb.106:
	v_bcnt_u32_b32 v13, v13, 0
	v_bcnt_u32_b32 v13, v14, v13
	s_waitcnt lgkmcnt(0)
	v_add_u32_e32 v13, v34, v13
	ds_write_b32 v35, v13 offset:32
.LBB111_107:
	s_or_b64 exec, exec, s[0:1]
	v_xor_b32_e32 v14, 0x7fffffff, v8
	v_not_b32_e32 v13, v7
	v_lshrrev_b64 v[7:8], s48, v[13:14]
	v_and_b32_e32 v7, s14, v7
	v_mul_lo_u32 v8, v7, 36
	v_and_b32_e32 v16, 1, v7
	; wave barrier
	v_lshl_add_u32 v37, v28, 2, v8
	v_add_co_u32_e32 v8, vcc, -1, v16
	v_addc_co_u32_e64 v38, s[0:1], 0, -1, vcc
	v_cmp_ne_u32_e32 vcc, 0, v16
	v_xor_b32_e32 v16, vcc_hi, v38
	v_and_b32_e32 v38, exec_hi, v16
	v_lshlrev_b32_e32 v16, 30, v7
	v_xor_b32_e32 v8, vcc_lo, v8
	v_cmp_gt_i64_e32 vcc, 0, v[15:16]
	v_not_b32_e32 v16, v16
	v_ashrrev_i32_e32 v16, 31, v16
	v_and_b32_e32 v8, exec_lo, v8
	v_xor_b32_e32 v39, vcc_hi, v16
	v_xor_b32_e32 v16, vcc_lo, v16
	v_and_b32_e32 v8, v8, v16
	v_lshlrev_b32_e32 v16, 29, v7
	v_cmp_gt_i64_e32 vcc, 0, v[15:16]
	v_not_b32_e32 v16, v16
	v_ashrrev_i32_e32 v16, 31, v16
	v_and_b32_e32 v38, v38, v39
	v_xor_b32_e32 v39, vcc_hi, v16
	v_xor_b32_e32 v16, vcc_lo, v16
	v_and_b32_e32 v8, v8, v16
	v_lshlrev_b32_e32 v16, 28, v7
	v_cmp_gt_i64_e32 vcc, 0, v[15:16]
	v_not_b32_e32 v16, v16
	v_ashrrev_i32_e32 v16, 31, v16
	v_and_b32_e32 v38, v38, v39
	;; [unrolled: 8-line block ×5, first 2 shown]
	v_xor_b32_e32 v39, vcc_hi, v16
	v_xor_b32_e32 v16, vcc_lo, v16
	v_and_b32_e32 v38, v38, v39
	v_and_b32_e32 v39, v8, v16
	v_lshlrev_b32_e32 v16, 24, v7
	v_cmp_gt_i64_e32 vcc, 0, v[15:16]
	v_not_b32_e32 v7, v16
	v_ashrrev_i32_e32 v7, 31, v7
	v_xor_b32_e32 v8, vcc_hi, v7
	v_xor_b32_e32 v7, vcc_lo, v7
	ds_read_b32 v28, v37 offset:32
	v_and_b32_e32 v7, v39, v7
	v_and_b32_e32 v8, v38, v8
	v_mbcnt_lo_u32_b32 v15, v7, 0
	v_mbcnt_hi_u32_b32 v38, v8, v15
	v_cmp_ne_u64_e32 vcc, 0, v[7:8]
	v_cmp_eq_u32_e64 s[0:1], 0, v38
	s_and_b64 s[2:3], vcc, s[0:1]
	; wave barrier
	s_and_saveexec_b64 s[0:1], s[2:3]
	s_cbranch_execz .LBB111_109
; %bb.108:
	v_bcnt_u32_b32 v7, v7, 0
	v_bcnt_u32_b32 v7, v8, v7
	s_waitcnt lgkmcnt(0)
	v_add_u32_e32 v7, v28, v7
	ds_write_b32 v37, v7 offset:32
.LBB111_109:
	s_or_b64 exec, exec, s[0:1]
	; wave barrier
	s_waitcnt lgkmcnt(0)
	s_barrier
	ds_read2_b32 v[15:16], v20 offset0:8 offset1:9
	ds_read2_b32 v[7:8], v20 offset0:10 offset1:11
	ds_read_b32 v39, v20 offset:48
	v_min_u32_e32 v21, 0x1c0, v21
	v_or_b32_e32 v21, 63, v21
	s_waitcnt lgkmcnt(1)
	v_add3_u32 v40, v16, v15, v7
	s_waitcnt lgkmcnt(0)
	v_add3_u32 v39, v40, v8, v39
	v_and_b32_e32 v40, 15, v19
	v_cmp_ne_u32_e32 vcc, 0, v40
	v_mov_b32_dpp v41, v39 row_shr:1 row_mask:0xf bank_mask:0xf
	v_cndmask_b32_e32 v41, 0, v41, vcc
	v_add_u32_e32 v39, v41, v39
	v_cmp_lt_u32_e32 vcc, 1, v40
	s_nop 0
	v_mov_b32_dpp v41, v39 row_shr:2 row_mask:0xf bank_mask:0xf
	v_cndmask_b32_e32 v41, 0, v41, vcc
	v_add_u32_e32 v39, v39, v41
	v_cmp_lt_u32_e32 vcc, 3, v40
	s_nop 0
	;; [unrolled: 5-line block ×3, first 2 shown]
	v_mov_b32_dpp v41, v39 row_shr:8 row_mask:0xf bank_mask:0xf
	v_cndmask_b32_e32 v40, 0, v41, vcc
	v_add_u32_e32 v39, v39, v40
	v_bfe_i32 v41, v19, 4, 1
	v_cmp_lt_u32_e32 vcc, 31, v19
	v_mov_b32_dpp v40, v39 row_bcast:15 row_mask:0xf bank_mask:0xf
	v_and_b32_e32 v40, v41, v40
	v_add_u32_e32 v39, v39, v40
	s_nop 1
	v_mov_b32_dpp v40, v39 row_bcast:31 row_mask:0xf bank_mask:0xf
	v_cndmask_b32_e32 v40, 0, v40, vcc
	v_add_u32_e32 v39, v39, v40
	v_lshrrev_b32_e32 v40, 6, v0
	v_cmp_eq_u32_e32 vcc, v0, v21
	s_and_saveexec_b64 s[0:1], vcc
; %bb.110:
	v_lshlrev_b32_e32 v21, 2, v40
	ds_write_b32 v21, v39
; %bb.111:
	s_or_b64 exec, exec, s[0:1]
	v_cmp_gt_u32_e32 vcc, 8, v0
	s_waitcnt lgkmcnt(0)
	s_barrier
	s_and_saveexec_b64 s[0:1], vcc
	s_cbranch_execz .LBB111_113
; %bb.112:
	v_lshlrev_b32_e32 v21, 2, v0
	ds_read_b32 v41, v21
	v_and_b32_e32 v42, 7, v19
	v_cmp_ne_u32_e32 vcc, 0, v42
	s_waitcnt lgkmcnt(0)
	v_mov_b32_dpp v43, v41 row_shr:1 row_mask:0xf bank_mask:0xf
	v_cndmask_b32_e32 v43, 0, v43, vcc
	v_add_u32_e32 v41, v43, v41
	v_cmp_lt_u32_e32 vcc, 1, v42
	s_nop 0
	v_mov_b32_dpp v43, v41 row_shr:2 row_mask:0xf bank_mask:0xf
	v_cndmask_b32_e32 v43, 0, v43, vcc
	v_add_u32_e32 v41, v41, v43
	v_cmp_lt_u32_e32 vcc, 3, v42
	s_nop 0
	v_mov_b32_dpp v43, v41 row_shr:4 row_mask:0xf bank_mask:0xf
	v_cndmask_b32_e32 v42, 0, v43, vcc
	v_add_u32_e32 v41, v41, v42
	ds_write_b32 v21, v41
.LBB111_113:
	s_or_b64 exec, exec, s[0:1]
	v_cmp_lt_u32_e32 vcc, 63, v0
	v_mov_b32_e32 v21, 0
	s_waitcnt lgkmcnt(0)
	s_barrier
	s_and_saveexec_b64 s[0:1], vcc
; %bb.114:
	v_lshl_add_u32 v21, v40, 2, -4
	ds_read_b32 v21, v21
; %bb.115:
	s_or_b64 exec, exec, s[0:1]
	v_add_u32_e32 v40, -1, v19
	v_and_b32_e32 v41, 64, v19
	v_cmp_lt_i32_e32 vcc, v40, v41
	v_cndmask_b32_e32 v40, v40, v19, vcc
	s_waitcnt lgkmcnt(0)
	v_add_u32_e32 v39, v21, v39
	v_lshlrev_b32_e32 v40, 2, v40
	ds_bpermute_b32 v39, v40, v39
	v_cmp_eq_u32_e32 vcc, 0, v19
	s_movk_i32 s0, 0xff
	s_movk_i32 s2, 0x100
	s_waitcnt lgkmcnt(0)
	v_cndmask_b32_e32 v19, v39, v21, vcc
	v_cmp_ne_u32_e32 vcc, 0, v0
	v_cndmask_b32_e32 v19, 0, v19, vcc
	v_add_u32_e32 v15, v19, v15
	v_add_u32_e32 v16, v15, v16
	;; [unrolled: 1-line block ×4, first 2 shown]
	ds_write2_b32 v20, v19, v15 offset0:8 offset1:9
	ds_write2_b32 v20, v16, v7 offset0:10 offset1:11
	ds_write_b32 v20, v8 offset:48
	s_waitcnt lgkmcnt(0)
	s_barrier
	ds_read_b32 v16, v22 offset:32
	ds_read_b32 v19, v25 offset:32
	;; [unrolled: 1-line block ×6, first 2 shown]
	v_mov_b32_e32 v7, 0
	v_cmp_lt_u32_e32 vcc, s0, v0
	v_mov_b32_e32 v8, 0
	v_cmp_gt_u32_e64 s[0:1], s2, v0
                                        ; implicit-def: $vgpr15
	s_and_saveexec_b64 s[4:5], s[0:1]
	s_cbranch_execz .LBB111_119
; %bb.116:
	v_mul_u32_u24_e32 v7, 36, v0
	ds_read_b32 v7, v7 offset:32
	v_add_u32_e32 v15, 1, v0
	v_cmp_ne_u32_e64 s[2:3], s2, v15
	v_mov_b32_e32 v8, 0xc00
	s_and_saveexec_b64 s[10:11], s[2:3]
; %bb.117:
	v_mul_u32_u24_e32 v8, 36, v15
	ds_read_b32 v8, v8 offset:32
; %bb.118:
	s_or_b64 exec, exec, s[10:11]
	s_waitcnt lgkmcnt(0)
	v_sub_u32_e32 v15, v8, v7
	v_mov_b32_e32 v8, 0
.LBB111_119:
	s_or_b64 exec, exec, s[4:5]
	v_lshlrev_b32_e32 v23, 3, v23
	s_waitcnt lgkmcnt(5)
	v_lshl_add_u32 v16, v16, 3, v23
	s_waitcnt lgkmcnt(0)
	s_barrier
	ds_write_b64 v16, v[1:2] offset:2048
	v_lshlrev_b32_e32 v1, 3, v26
	v_lshlrev_b32_e32 v2, 3, v24
	;; [unrolled: 1-line block ×3, first 2 shown]
	v_add3_u32 v19, v1, v2, v19
	ds_write_b64 v19, v[3:4] offset:2048
	v_lshlrev_b32_e32 v1, 3, v30
	v_lshlrev_b32_e32 v2, 3, v27
	;; [unrolled: 1-line block ×3, first 2 shown]
	v_add3_u32 v20, v1, v2, v3
	v_lshlrev_b32_e32 v1, 3, v33
	v_lshlrev_b32_e32 v2, 3, v31
	v_lshlrev_b32_e32 v3, 3, v21
	v_add3_u32 v21, v1, v2, v3
	v_lshlrev_b32_e32 v1, 3, v36
	v_lshlrev_b32_e32 v2, 3, v34
	;; [unrolled: 1-line block ×3, first 2 shown]
	ds_write_b64 v20, v[5:6] offset:2048
	ds_write_b64 v21, v[9:10] offset:2048
	v_add3_u32 v10, v1, v2, v3
	v_lshlrev_b32_e32 v1, 3, v38
	v_lshlrev_b32_e32 v2, 3, v28
	;; [unrolled: 1-line block ×3, first 2 shown]
	ds_write_b64 v10, v[11:12] offset:2048
	v_add3_u32 v11, v1, v2, v3
	v_mov_b32_e32 v2, 0
	v_lshlrev_b32_e32 v9, 3, v0
	ds_write_b64 v11, v[13:14] offset:2048
	s_waitcnt lgkmcnt(0)
	s_barrier
	s_and_saveexec_b64 s[2:3], s[0:1]
	s_cbranch_execz .LBB111_129
; %bb.120:
	v_lshl_add_u32 v1, s6, 8, v0
	v_lshlrev_b64 v[3:4], 2, v[1:2]
	v_mov_b32_e32 v12, s31
	v_add_co_u32_e64 v3, s[0:1], s30, v3
	v_addc_co_u32_e64 v4, s[0:1], v12, v4, s[0:1]
	v_or_b32_e32 v1, 2.0, v15
	s_mov_b64 s[4:5], 0
	s_brev_b32 s15, -4
	s_mov_b32 s16, s6
	v_mov_b32_e32 v13, 0
	global_store_dword v[3:4], v1, off
                                        ; implicit-def: $sgpr0_sgpr1
	s_branch .LBB111_123
.LBB111_121:                            ;   in Loop: Header=BB111_123 Depth=1
	s_or_b64 exec, exec, s[12:13]
.LBB111_122:                            ;   in Loop: Header=BB111_123 Depth=1
	s_or_b64 exec, exec, s[10:11]
	v_and_b32_e32 v5, 0x3fffffff, v1
	v_add_u32_e32 v13, v5, v13
	v_cmp_gt_i32_e64 s[0:1], -2.0, v1
	s_and_b64 s[10:11], exec, s[0:1]
	s_or_b64 s[4:5], s[10:11], s[4:5]
	s_andn2_b64 exec, exec, s[4:5]
	s_cbranch_execz .LBB111_128
.LBB111_123:                            ; =>This Loop Header: Depth=1
                                        ;     Child Loop BB111_126 Depth 2
	s_or_b64 s[0:1], s[0:1], exec
	s_cmp_eq_u32 s16, 0
	s_cbranch_scc1 .LBB111_127
; %bb.124:                              ;   in Loop: Header=BB111_123 Depth=1
	s_add_i32 s16, s16, -1
	v_lshl_or_b32 v1, s16, 8, v0
	v_lshlrev_b64 v[5:6], 2, v[1:2]
	v_add_co_u32_e64 v5, s[0:1], s30, v5
	v_addc_co_u32_e64 v6, s[0:1], v12, v6, s[0:1]
	global_load_dword v1, v[5:6], off glc
	s_waitcnt vmcnt(0)
	v_cmp_gt_u32_e64 s[0:1], 2.0, v1
	s_and_saveexec_b64 s[10:11], s[0:1]
	s_cbranch_execz .LBB111_122
; %bb.125:                              ;   in Loop: Header=BB111_123 Depth=1
	s_mov_b64 s[12:13], 0
.LBB111_126:                            ;   Parent Loop BB111_123 Depth=1
                                        ; =>  This Inner Loop Header: Depth=2
	global_load_dword v1, v[5:6], off glc
	s_waitcnt vmcnt(0)
	v_cmp_lt_u32_e64 s[0:1], s15, v1
	s_or_b64 s[12:13], s[0:1], s[12:13]
	s_andn2_b64 exec, exec, s[12:13]
	s_cbranch_execnz .LBB111_126
	s_branch .LBB111_121
.LBB111_127:                            ;   in Loop: Header=BB111_123 Depth=1
                                        ; implicit-def: $sgpr16
	s_and_b64 s[10:11], exec, s[0:1]
	s_or_b64 s[4:5], s[10:11], s[4:5]
	s_andn2_b64 exec, exec, s[4:5]
	s_cbranch_execnz .LBB111_123
.LBB111_128:
	s_or_b64 exec, exec, s[4:5]
	v_add_u32_e32 v0, v13, v15
	v_or_b32_e32 v0, 0x80000000, v0
	global_store_dword v[3:4], v0, off
	global_load_dwordx2 v[0:1], v9, s[44:45]
	v_sub_co_u32_e64 v2, s[0:1], v13, v7
	v_subb_co_u32_e64 v3, s[0:1], 0, v8, s[0:1]
	s_waitcnt vmcnt(0)
	v_add_co_u32_e64 v0, s[0:1], v2, v0
	v_addc_co_u32_e64 v1, s[0:1], v3, v1, s[0:1]
	ds_write_b64 v9, v[0:1]
.LBB111_129:
	s_or_b64 exec, exec, s[2:3]
	s_waitcnt lgkmcnt(0)
	s_barrier
	ds_read2st64_b64 v[0:3], v9 offset0:4 offset1:12
	ds_read2st64_b64 v[22:25], v9 offset0:20 offset1:28
	v_or_b32_e32 v33, 0x4000, v9
	v_or_b32_e32 v34, 0x5000, v9
	s_waitcnt lgkmcnt(1)
	v_lshrrev_b64 v[4:5], s48, v[0:1]
	s_waitcnt lgkmcnt(0)
	v_lshrrev_b64 v[12:13], s48, v[22:23]
	v_and_b32_e32 v4, s14, v4
	v_lshlrev_b32_e32 v14, 3, v4
	v_lshrrev_b64 v[4:5], s48, v[2:3]
	ds_read_b64 v[5:6], v14
	v_and_b32_e32 v4, s14, v4
	v_lshlrev_b32_e32 v30, 3, v4
	v_and_b32_e32 v4, s14, v12
	v_lshrrev_b64 v[12:13], s48, v[24:25]
	v_lshlrev_b32_e32 v31, 3, v4
	v_and_b32_e32 v4, s14, v12
	v_lshlrev_b32_e32 v32, 3, v4
	s_waitcnt lgkmcnt(0)
	v_lshlrev_b64 v[4:5], 3, v[5:6]
	v_mov_b32_e32 v6, s39
	v_add_co_u32_e64 v4, s[0:1], s38, v4
	ds_read_b64 v[12:13], v30
	ds_read_b64 v[26:27], v31
	;; [unrolled: 1-line block ×3, first 2 shown]
	v_addc_co_u32_e64 v5, s[0:1], v6, v5, s[0:1]
	v_add_co_u32_e64 v4, s[0:1], v4, v9
	v_xor_b32_e32 v1, 0x7fffffff, v1
	v_xor_b32_e32 v0, -1, v0
	v_addc_co_u32_e64 v5, s[0:1], 0, v5, s[0:1]
	global_store_dwordx2 v[4:5], v[0:1], off
	v_xor_b32_e32 v1, 0x7fffffff, v3
	v_xor_b32_e32 v0, -1, v2
	s_waitcnt lgkmcnt(2)
	v_lshlrev_b64 v[2:3], 3, v[12:13]
	v_mov_b32_e32 v4, s39
	v_add_co_u32_e64 v2, s[0:1], s38, v2
	v_addc_co_u32_e64 v3, s[0:1], v4, v3, s[0:1]
	v_or_b32_e32 v6, 0x1000, v9
	v_add_co_u32_e64 v2, s[0:1], v2, v6
	v_addc_co_u32_e64 v3, s[0:1], 0, v3, s[0:1]
	global_store_dwordx2 v[2:3], v[0:1], off
	s_waitcnt lgkmcnt(1)
	v_lshlrev_b64 v[2:3], 3, v[26:27]
	v_or_b32_e32 v26, 0x2000, v9
	v_add_co_u32_e64 v2, s[0:1], s38, v2
	v_addc_co_u32_e64 v3, s[0:1], v4, v3, s[0:1]
	v_add_co_u32_e64 v2, s[0:1], v2, v26
	v_xor_b32_e32 v1, 0x7fffffff, v23
	v_xor_b32_e32 v0, -1, v22
	v_addc_co_u32_e64 v3, s[0:1], 0, v3, s[0:1]
	global_store_dwordx2 v[2:3], v[0:1], off
	s_waitcnt lgkmcnt(0)
	v_lshlrev_b64 v[0:1], 3, v[28:29]
	v_mov_b32_e32 v2, s39
	v_add_co_u32_e64 v12, s[0:1], s38, v0
	v_addc_co_u32_e64 v13, s[0:1], v2, v1, s[0:1]
	ds_read2st64_b64 v[0:3], v9 offset0:36 offset1:44
	v_or_b32_e32 v27, 0x3000, v9
	v_add_co_u32_e64 v12, s[0:1], v12, v27
	v_xor_b32_e32 v5, 0x7fffffff, v25
	s_waitcnt lgkmcnt(0)
	v_lshrrev_b64 v[22:23], s48, v[0:1]
	v_xor_b32_e32 v4, -1, v24
	v_addc_co_u32_e64 v13, s[0:1], 0, v13, s[0:1]
	global_store_dwordx2 v[12:13], v[4:5], off
	v_and_b32_e32 v4, s14, v22
	v_lshlrev_b32_e32 v28, 3, v4
	ds_read_b64 v[4:5], v28
	v_lshrrev_b64 v[12:13], s48, v[2:3]
	v_mov_b32_e32 v22, s39
	v_and_b32_e32 v12, s14, v12
	v_lshlrev_b32_e32 v29, 3, v12
	ds_read_b64 v[12:13], v29
	s_waitcnt lgkmcnt(1)
	v_lshlrev_b64 v[4:5], 3, v[4:5]
	v_xor_b32_e32 v1, 0x7fffffff, v1
	v_add_co_u32_e64 v4, s[0:1], s38, v4
	v_addc_co_u32_e64 v5, s[0:1], v22, v5, s[0:1]
	v_add_co_u32_e64 v4, s[0:1], v4, v33
	v_xor_b32_e32 v0, -1, v0
	v_addc_co_u32_e64 v5, s[0:1], 0, v5, s[0:1]
	global_store_dwordx2 v[4:5], v[0:1], off
	v_xor_b32_e32 v1, 0x7fffffff, v3
	v_xor_b32_e32 v0, -1, v2
	s_waitcnt lgkmcnt(0)
	v_lshlrev_b64 v[2:3], 3, v[12:13]
	v_mov_b32_e32 v4, s39
	v_add_co_u32_e64 v2, s[0:1], s38, v2
	v_addc_co_u32_e64 v3, s[0:1], v4, v3, s[0:1]
	v_add_co_u32_e64 v2, s[0:1], v2, v34
	v_addc_co_u32_e64 v3, s[0:1], 0, v3, s[0:1]
	s_add_u32 s0, s40, s8
	s_addc_u32 s1, s41, s9
	global_store_dwordx2 v[2:3], v[0:1], off
	v_mov_b32_e32 v0, s1
	v_add_co_u32_e64 v1, s[0:1], s0, v17
	v_addc_co_u32_e64 v2, s[0:1], 0, v0, s[0:1]
	v_add_co_u32_e64 v0, s[0:1], v1, v18
	v_addc_co_u32_e64 v1, s[0:1], 0, v2, s[0:1]
	global_load_dwordx2 v[2:3], v[0:1], off
	global_load_dwordx2 v[4:5], v[0:1], off offset:512
	global_load_dwordx2 v[12:13], v[0:1], off offset:1024
	;; [unrolled: 1-line block ×5, first 2 shown]
	s_waitcnt vmcnt(0)
	s_barrier
	s_add_i32 s7, s7, -1
	s_cmp_eq_u32 s6, s7
	ds_write_b64 v16, v[2:3] offset:2048
	ds_write_b64 v19, v[4:5] offset:2048
	;; [unrolled: 1-line block ×6, first 2 shown]
	s_waitcnt lgkmcnt(0)
	s_barrier
	ds_read_b64 v[4:5], v14
	ds_read2st64_b64 v[0:3], v9 offset0:4 offset1:12
	ds_read_b64 v[10:11], v30
	ds_read_b64 v[12:13], v31
	ds_read_b64 v[16:17], v32
	s_waitcnt lgkmcnt(4)
	v_lshlrev_b64 v[4:5], 3, v[4:5]
	v_mov_b32_e32 v14, s43
	v_add_co_u32_e64 v4, s[0:1], s42, v4
	v_addc_co_u32_e64 v5, s[0:1], v14, v5, s[0:1]
	v_add_co_u32_e64 v4, s[0:1], v4, v9
	v_addc_co_u32_e64 v5, s[0:1], 0, v5, s[0:1]
	s_waitcnt lgkmcnt(3)
	global_store_dwordx2 v[4:5], v[0:1], off
	s_waitcnt lgkmcnt(2)
	v_lshlrev_b64 v[0:1], 3, v[10:11]
	v_mov_b32_e32 v4, s43
	v_add_co_u32_e64 v0, s[0:1], s42, v0
	v_addc_co_u32_e64 v1, s[0:1], v4, v1, s[0:1]
	v_add_co_u32_e64 v0, s[0:1], v0, v6
	v_addc_co_u32_e64 v1, s[0:1], 0, v1, s[0:1]
	s_waitcnt lgkmcnt(1)
	v_lshlrev_b64 v[4:5], 3, v[12:13]
	global_store_dwordx2 v[0:1], v[2:3], off
	ds_read2st64_b64 v[0:3], v9 offset0:20 offset1:28
	v_mov_b32_e32 v6, s43
	v_add_co_u32_e64 v4, s[0:1], s42, v4
	v_addc_co_u32_e64 v5, s[0:1], v6, v5, s[0:1]
	v_add_co_u32_e64 v4, s[0:1], v4, v26
	v_addc_co_u32_e64 v5, s[0:1], 0, v5, s[0:1]
	s_waitcnt lgkmcnt(0)
	global_store_dwordx2 v[4:5], v[0:1], off
	v_lshlrev_b64 v[0:1], 3, v[16:17]
	v_mov_b32_e32 v4, s43
	v_add_co_u32_e64 v0, s[0:1], s42, v0
	v_addc_co_u32_e64 v1, s[0:1], v4, v1, s[0:1]
	ds_read_b64 v[4:5], v28
	v_add_co_u32_e64 v0, s[0:1], v0, v27
	v_addc_co_u32_e64 v1, s[0:1], 0, v1, s[0:1]
	global_store_dwordx2 v[0:1], v[2:3], off
	s_waitcnt lgkmcnt(0)
	v_lshlrev_b64 v[4:5], 3, v[4:5]
	ds_read2st64_b64 v[0:3], v9 offset0:36 offset1:44
	ds_read_b64 v[10:11], v29
	v_add_co_u32_e64 v4, s[0:1], s42, v4
	v_addc_co_u32_e64 v5, s[0:1], v6, v5, s[0:1]
	v_add_co_u32_e64 v4, s[0:1], v4, v33
	v_addc_co_u32_e64 v5, s[0:1], 0, v5, s[0:1]
	s_waitcnt lgkmcnt(1)
	global_store_dwordx2 v[4:5], v[0:1], off
	s_waitcnt lgkmcnt(0)
	v_lshlrev_b64 v[0:1], 3, v[10:11]
	v_mov_b32_e32 v4, s43
	v_add_co_u32_e64 v0, s[0:1], s42, v0
	v_addc_co_u32_e64 v1, s[0:1], v4, v1, s[0:1]
	v_add_co_u32_e64 v0, s[0:1], v0, v34
	v_addc_co_u32_e64 v1, s[0:1], 0, v1, s[0:1]
	s_cselect_b64 s[0:1], -1, 0
	s_xor_b64 s[2:3], vcc, -1
	s_and_b64 s[0:1], s[2:3], s[0:1]
	global_store_dwordx2 v[0:1], v[2:3], off
	s_and_saveexec_b64 s[2:3], s[0:1]
	s_cbranch_execz .LBB111_131
; %bb.130:
	ds_read_b64 v[0:1], v9
	v_add_co_u32_e32 v2, vcc, v7, v15
	v_addc_co_u32_e32 v3, vcc, 0, v8, vcc
	s_waitcnt lgkmcnt(0)
	v_add_co_u32_e32 v0, vcc, v2, v0
	v_addc_co_u32_e32 v1, vcc, v3, v1, vcc
	global_store_dwordx2 v9, v[0:1], s[46:47]
.LBB111_131:
	s_endpgm
	.section	.rodata,"a",@progbits
	.p2align	6, 0x0
	.amdhsa_kernel _ZN7rocprim17ROCPRIM_304000_NS6detail25onesweep_iteration_kernelINS1_34wrapped_radix_sort_onesweep_configINS0_14default_configElN2at4cuda3cub6detail10OpaqueTypeILi8EEEEELb1EPlSC_PSA_SD_mNS0_19identity_decomposerEEEvT1_T2_T3_T4_jPT5_SK_PNS1_23onesweep_lookback_stateET6_jjj
		.amdhsa_group_segment_fixed_size 26624
		.amdhsa_private_segment_fixed_size 0
		.amdhsa_kernarg_size 336
		.amdhsa_user_sgpr_count 6
		.amdhsa_user_sgpr_private_segment_buffer 1
		.amdhsa_user_sgpr_dispatch_ptr 0
		.amdhsa_user_sgpr_queue_ptr 0
		.amdhsa_user_sgpr_kernarg_segment_ptr 1
		.amdhsa_user_sgpr_dispatch_id 0
		.amdhsa_user_sgpr_flat_scratch_init 0
		.amdhsa_user_sgpr_private_segment_size 0
		.amdhsa_uses_dynamic_stack 0
		.amdhsa_system_sgpr_private_segment_wavefront_offset 0
		.amdhsa_system_sgpr_workgroup_id_x 1
		.amdhsa_system_sgpr_workgroup_id_y 0
		.amdhsa_system_sgpr_workgroup_id_z 0
		.amdhsa_system_sgpr_workgroup_info 0
		.amdhsa_system_vgpr_workitem_id 2
		.amdhsa_next_free_vgpr 49
		.amdhsa_next_free_sgpr 98
		.amdhsa_reserve_vcc 1
		.amdhsa_reserve_flat_scratch 0
		.amdhsa_float_round_mode_32 0
		.amdhsa_float_round_mode_16_64 0
		.amdhsa_float_denorm_mode_32 3
		.amdhsa_float_denorm_mode_16_64 3
		.amdhsa_dx10_clamp 1
		.amdhsa_ieee_mode 1
		.amdhsa_fp16_overflow 0
		.amdhsa_exception_fp_ieee_invalid_op 0
		.amdhsa_exception_fp_denorm_src 0
		.amdhsa_exception_fp_ieee_div_zero 0
		.amdhsa_exception_fp_ieee_overflow 0
		.amdhsa_exception_fp_ieee_underflow 0
		.amdhsa_exception_fp_ieee_inexact 0
		.amdhsa_exception_int_div_zero 0
	.end_amdhsa_kernel
	.section	.text._ZN7rocprim17ROCPRIM_304000_NS6detail25onesweep_iteration_kernelINS1_34wrapped_radix_sort_onesweep_configINS0_14default_configElN2at4cuda3cub6detail10OpaqueTypeILi8EEEEELb1EPlSC_PSA_SD_mNS0_19identity_decomposerEEEvT1_T2_T3_T4_jPT5_SK_PNS1_23onesweep_lookback_stateET6_jjj,"axG",@progbits,_ZN7rocprim17ROCPRIM_304000_NS6detail25onesweep_iteration_kernelINS1_34wrapped_radix_sort_onesweep_configINS0_14default_configElN2at4cuda3cub6detail10OpaqueTypeILi8EEEEELb1EPlSC_PSA_SD_mNS0_19identity_decomposerEEEvT1_T2_T3_T4_jPT5_SK_PNS1_23onesweep_lookback_stateET6_jjj,comdat
.Lfunc_end111:
	.size	_ZN7rocprim17ROCPRIM_304000_NS6detail25onesweep_iteration_kernelINS1_34wrapped_radix_sort_onesweep_configINS0_14default_configElN2at4cuda3cub6detail10OpaqueTypeILi8EEEEELb1EPlSC_PSA_SD_mNS0_19identity_decomposerEEEvT1_T2_T3_T4_jPT5_SK_PNS1_23onesweep_lookback_stateET6_jjj, .Lfunc_end111-_ZN7rocprim17ROCPRIM_304000_NS6detail25onesweep_iteration_kernelINS1_34wrapped_radix_sort_onesweep_configINS0_14default_configElN2at4cuda3cub6detail10OpaqueTypeILi8EEEEELb1EPlSC_PSA_SD_mNS0_19identity_decomposerEEEvT1_T2_T3_T4_jPT5_SK_PNS1_23onesweep_lookback_stateET6_jjj
                                        ; -- End function
	.set _ZN7rocprim17ROCPRIM_304000_NS6detail25onesweep_iteration_kernelINS1_34wrapped_radix_sort_onesweep_configINS0_14default_configElN2at4cuda3cub6detail10OpaqueTypeILi8EEEEELb1EPlSC_PSA_SD_mNS0_19identity_decomposerEEEvT1_T2_T3_T4_jPT5_SK_PNS1_23onesweep_lookback_stateET6_jjj.num_vgpr, 47
	.set _ZN7rocprim17ROCPRIM_304000_NS6detail25onesweep_iteration_kernelINS1_34wrapped_radix_sort_onesweep_configINS0_14default_configElN2at4cuda3cub6detail10OpaqueTypeILi8EEEEELb1EPlSC_PSA_SD_mNS0_19identity_decomposerEEEvT1_T2_T3_T4_jPT5_SK_PNS1_23onesweep_lookback_stateET6_jjj.num_agpr, 0
	.set _ZN7rocprim17ROCPRIM_304000_NS6detail25onesweep_iteration_kernelINS1_34wrapped_radix_sort_onesweep_configINS0_14default_configElN2at4cuda3cub6detail10OpaqueTypeILi8EEEEELb1EPlSC_PSA_SD_mNS0_19identity_decomposerEEEvT1_T2_T3_T4_jPT5_SK_PNS1_23onesweep_lookback_stateET6_jjj.numbered_sgpr, 54
	.set _ZN7rocprim17ROCPRIM_304000_NS6detail25onesweep_iteration_kernelINS1_34wrapped_radix_sort_onesweep_configINS0_14default_configElN2at4cuda3cub6detail10OpaqueTypeILi8EEEEELb1EPlSC_PSA_SD_mNS0_19identity_decomposerEEEvT1_T2_T3_T4_jPT5_SK_PNS1_23onesweep_lookback_stateET6_jjj.num_named_barrier, 0
	.set _ZN7rocprim17ROCPRIM_304000_NS6detail25onesweep_iteration_kernelINS1_34wrapped_radix_sort_onesweep_configINS0_14default_configElN2at4cuda3cub6detail10OpaqueTypeILi8EEEEELb1EPlSC_PSA_SD_mNS0_19identity_decomposerEEEvT1_T2_T3_T4_jPT5_SK_PNS1_23onesweep_lookback_stateET6_jjj.private_seg_size, 0
	.set _ZN7rocprim17ROCPRIM_304000_NS6detail25onesweep_iteration_kernelINS1_34wrapped_radix_sort_onesweep_configINS0_14default_configElN2at4cuda3cub6detail10OpaqueTypeILi8EEEEELb1EPlSC_PSA_SD_mNS0_19identity_decomposerEEEvT1_T2_T3_T4_jPT5_SK_PNS1_23onesweep_lookback_stateET6_jjj.uses_vcc, 1
	.set _ZN7rocprim17ROCPRIM_304000_NS6detail25onesweep_iteration_kernelINS1_34wrapped_radix_sort_onesweep_configINS0_14default_configElN2at4cuda3cub6detail10OpaqueTypeILi8EEEEELb1EPlSC_PSA_SD_mNS0_19identity_decomposerEEEvT1_T2_T3_T4_jPT5_SK_PNS1_23onesweep_lookback_stateET6_jjj.uses_flat_scratch, 0
	.set _ZN7rocprim17ROCPRIM_304000_NS6detail25onesweep_iteration_kernelINS1_34wrapped_radix_sort_onesweep_configINS0_14default_configElN2at4cuda3cub6detail10OpaqueTypeILi8EEEEELb1EPlSC_PSA_SD_mNS0_19identity_decomposerEEEvT1_T2_T3_T4_jPT5_SK_PNS1_23onesweep_lookback_stateET6_jjj.has_dyn_sized_stack, 0
	.set _ZN7rocprim17ROCPRIM_304000_NS6detail25onesweep_iteration_kernelINS1_34wrapped_radix_sort_onesweep_configINS0_14default_configElN2at4cuda3cub6detail10OpaqueTypeILi8EEEEELb1EPlSC_PSA_SD_mNS0_19identity_decomposerEEEvT1_T2_T3_T4_jPT5_SK_PNS1_23onesweep_lookback_stateET6_jjj.has_recursion, 0
	.set _ZN7rocprim17ROCPRIM_304000_NS6detail25onesweep_iteration_kernelINS1_34wrapped_radix_sort_onesweep_configINS0_14default_configElN2at4cuda3cub6detail10OpaqueTypeILi8EEEEELb1EPlSC_PSA_SD_mNS0_19identity_decomposerEEEvT1_T2_T3_T4_jPT5_SK_PNS1_23onesweep_lookback_stateET6_jjj.has_indirect_call, 0
	.section	.AMDGPU.csdata,"",@progbits
; Kernel info:
; codeLenInByte = 11304
; TotalNumSgprs: 58
; NumVgprs: 47
; ScratchSize: 0
; MemoryBound: 1
; FloatMode: 240
; IeeeMode: 1
; LDSByteSize: 26624 bytes/workgroup (compile time only)
; SGPRBlocks: 12
; VGPRBlocks: 12
; NumSGPRsForWavesPerEU: 102
; NumVGPRsForWavesPerEU: 49
; Occupancy: 4
; WaveLimiterHint : 1
; COMPUTE_PGM_RSRC2:SCRATCH_EN: 0
; COMPUTE_PGM_RSRC2:USER_SGPR: 6
; COMPUTE_PGM_RSRC2:TRAP_HANDLER: 0
; COMPUTE_PGM_RSRC2:TGID_X_EN: 1
; COMPUTE_PGM_RSRC2:TGID_Y_EN: 0
; COMPUTE_PGM_RSRC2:TGID_Z_EN: 0
; COMPUTE_PGM_RSRC2:TIDIG_COMP_CNT: 2
	.section	.text._ZN7rocprim17ROCPRIM_304000_NS6detail28radix_sort_block_sort_kernelINS1_36wrapped_radix_sort_block_sort_configINS0_13kernel_configILj256ELj4ELj4294967295EEElN2at4cuda3cub6detail10OpaqueTypeILi8EEEEELb0EPKlPlPKSB_PSB_NS0_19identity_decomposerEEEvT1_T2_T3_T4_jT5_jj,"axG",@progbits,_ZN7rocprim17ROCPRIM_304000_NS6detail28radix_sort_block_sort_kernelINS1_36wrapped_radix_sort_block_sort_configINS0_13kernel_configILj256ELj4ELj4294967295EEElN2at4cuda3cub6detail10OpaqueTypeILi8EEEEELb0EPKlPlPKSB_PSB_NS0_19identity_decomposerEEEvT1_T2_T3_T4_jT5_jj,comdat
	.protected	_ZN7rocprim17ROCPRIM_304000_NS6detail28radix_sort_block_sort_kernelINS1_36wrapped_radix_sort_block_sort_configINS0_13kernel_configILj256ELj4ELj4294967295EEElN2at4cuda3cub6detail10OpaqueTypeILi8EEEEELb0EPKlPlPKSB_PSB_NS0_19identity_decomposerEEEvT1_T2_T3_T4_jT5_jj ; -- Begin function _ZN7rocprim17ROCPRIM_304000_NS6detail28radix_sort_block_sort_kernelINS1_36wrapped_radix_sort_block_sort_configINS0_13kernel_configILj256ELj4ELj4294967295EEElN2at4cuda3cub6detail10OpaqueTypeILi8EEEEELb0EPKlPlPKSB_PSB_NS0_19identity_decomposerEEEvT1_T2_T3_T4_jT5_jj
	.globl	_ZN7rocprim17ROCPRIM_304000_NS6detail28radix_sort_block_sort_kernelINS1_36wrapped_radix_sort_block_sort_configINS0_13kernel_configILj256ELj4ELj4294967295EEElN2at4cuda3cub6detail10OpaqueTypeILi8EEEEELb0EPKlPlPKSB_PSB_NS0_19identity_decomposerEEEvT1_T2_T3_T4_jT5_jj
	.p2align	8
	.type	_ZN7rocprim17ROCPRIM_304000_NS6detail28radix_sort_block_sort_kernelINS1_36wrapped_radix_sort_block_sort_configINS0_13kernel_configILj256ELj4ELj4294967295EEElN2at4cuda3cub6detail10OpaqueTypeILi8EEEEELb0EPKlPlPKSB_PSB_NS0_19identity_decomposerEEEvT1_T2_T3_T4_jT5_jj,@function
_ZN7rocprim17ROCPRIM_304000_NS6detail28radix_sort_block_sort_kernelINS1_36wrapped_radix_sort_block_sort_configINS0_13kernel_configILj256ELj4ELj4294967295EEElN2at4cuda3cub6detail10OpaqueTypeILi8EEEEELb0EPKlPlPKSB_PSB_NS0_19identity_decomposerEEEvT1_T2_T3_T4_jT5_jj: ; @_ZN7rocprim17ROCPRIM_304000_NS6detail28radix_sort_block_sort_kernelINS1_36wrapped_radix_sort_block_sort_configINS0_13kernel_configILj256ELj4ELj4294967295EEElN2at4cuda3cub6detail10OpaqueTypeILi8EEEEELb0EPKlPlPKSB_PSB_NS0_19identity_decomposerEEEvT1_T2_T3_T4_jT5_jj
; %bb.0:
	s_load_dword s7, s[4:5], 0x20
	s_load_dwordx8 s[36:43], s[4:5], 0x0
	s_lshl_b32 s0, s6, 10
	s_mov_b32 s1, 0
	v_mbcnt_lo_u32_b32 v3, -1, 0
	s_waitcnt lgkmcnt(0)
	s_lshr_b32 s2, s7, 10
	s_cmp_lg_u32 s6, s2
	s_cselect_b64 s[30:31], -1, 0
	s_lshl_b64 s[28:29], s[0:1], 3
	s_add_u32 s1, s36, s28
	v_mbcnt_hi_u32_b32 v19, -1, v3
	s_addc_u32 s3, s37, s29
	v_lshlrev_b32_e32 v21, 2, v0
	v_lshlrev_b32_e32 v22, 3, v19
	v_and_b32_e32 v23, 0x300, v21
	v_mov_b32_e32 v3, s3
	v_add_co_u32_e32 v4, vcc, s1, v22
	v_addc_co_u32_e32 v3, vcc, 0, v3, vcc
	v_lshlrev_b32_e32 v20, 3, v23
	v_add_co_u32_e32 v17, vcc, v4, v20
	s_cmp_eq_u32 s6, s2
	v_addc_co_u32_e32 v18, vcc, 0, v3, vcc
	s_cbranch_scc1 .LBB112_2
; %bb.1:
	s_add_u32 s1, s40, s28
	s_addc_u32 s2, s41, s29
	v_mov_b32_e32 v11, s2
	v_add_co_u32_e32 v12, vcc, s1, v22
	v_addc_co_u32_e32 v11, vcc, 0, v11, vcc
	v_add_co_u32_e32 v24, vcc, v12, v20
	global_load_dwordx2 v[3:4], v[17:18], off
	global_load_dwordx2 v[5:6], v[17:18], off offset:512
	global_load_dwordx2 v[7:8], v[17:18], off offset:1024
	;; [unrolled: 1-line block ×3, first 2 shown]
	v_addc_co_u32_e32 v25, vcc, 0, v11, vcc
	global_load_dwordx2 v[11:12], v[24:25], off
	global_load_dwordx2 v[13:14], v[24:25], off offset:512
	global_load_dwordx2 v[15:16], v[24:25], off offset:1024
	s_mov_b64 s[8:9], -1
	s_sub_i32 s33, s7, s0
	s_cbranch_execz .LBB112_3
	s_branch .LBB112_16
.LBB112_2:
	s_mov_b64 s[8:9], 0
                                        ; implicit-def: $vgpr3_vgpr4_vgpr5_vgpr6_vgpr7_vgpr8_vgpr9_vgpr10
                                        ; implicit-def: $vgpr11_vgpr12
                                        ; implicit-def: $vgpr15_vgpr16
	s_sub_i32 s33, s7, s0
.LBB112_3:
	s_waitcnt vmcnt(2)
	v_add_u32_e32 v11, v19, v23
	v_mov_b32_e32 v3, -1
	v_bfrev_b32_e32 v4, -2
	v_cmp_gt_u32_e32 vcc, s33, v11
	v_mov_b32_e32 v5, v3
	v_mov_b32_e32 v6, v4
	;; [unrolled: 1-line block ×6, first 2 shown]
	s_and_saveexec_b64 s[0:1], vcc
	s_cbranch_execz .LBB112_5
; %bb.4:
	global_load_dwordx2 v[23:24], v[17:18], off
	v_mov_b32_e32 v25, v3
	v_mov_b32_e32 v26, v4
	;; [unrolled: 1-line block ×6, first 2 shown]
	s_waitcnt vmcnt(0)
	v_mov_b32_e32 v3, v23
	v_mov_b32_e32 v4, v24
	;; [unrolled: 1-line block ×8, first 2 shown]
.LBB112_5:
	s_or_b64 exec, exec, s[0:1]
	v_add_u32_e32 v12, 64, v11
	v_cmp_gt_u32_e64 s[0:1], s33, v12
	s_and_saveexec_b64 s[2:3], s[0:1]
	s_cbranch_execz .LBB112_7
; %bb.6:
	global_load_dwordx2 v[5:6], v[17:18], off offset:512
.LBB112_7:
	s_or_b64 exec, exec, s[2:3]
	v_add_u32_e32 v12, 0x80, v11
	v_cmp_gt_u32_e64 s[2:3], s33, v12
	s_and_saveexec_b64 s[6:7], s[2:3]
	s_cbranch_execz .LBB112_9
; %bb.8:
	global_load_dwordx2 v[7:8], v[17:18], off offset:1024
.LBB112_9:
	;; [unrolled: 8-line block ×3, first 2 shown]
	s_or_b64 exec, exec, s[6:7]
	s_add_u32 s6, s40, s28
	s_addc_u32 s7, s41, s29
	v_mov_b32_e32 v11, s7
	v_add_co_u32_e64 v12, s[6:7], s6, v22
	v_addc_co_u32_e64 v11, s[6:7], 0, v11, s[6:7]
	v_add_co_u32_e64 v17, s[6:7], v12, v20
	v_addc_co_u32_e64 v18, s[6:7], 0, v11, s[6:7]
                                        ; implicit-def: $vgpr11_vgpr12
	s_and_saveexec_b64 s[6:7], vcc
	s_cbranch_execnz .LBB112_55
; %bb.12:
	s_or_b64 exec, exec, s[6:7]
	s_and_saveexec_b64 s[6:7], s[0:1]
	s_cbranch_execnz .LBB112_56
.LBB112_13:
	s_or_b64 exec, exec, s[6:7]
                                        ; implicit-def: $vgpr15_vgpr16
	s_and_saveexec_b64 s[0:1], s[2:3]
	s_cbranch_execz .LBB112_15
.LBB112_14:
	global_load_dwordx2 v[15:16], v[17:18], off offset:1024
.LBB112_15:
	s_or_b64 exec, exec, s[0:1]
.LBB112_16:
	s_and_saveexec_b64 s[0:1], s[8:9]
	s_cbranch_execz .LBB112_18
; %bb.17:
	s_add_u32 s2, s40, s28
	s_addc_u32 s3, s41, s29
	v_mov_b32_e32 v17, s3
	v_add_co_u32_e32 v18, vcc, s2, v22
	v_addc_co_u32_e32 v22, vcc, 0, v17, vcc
	v_add_co_u32_e32 v17, vcc, v18, v20
	v_addc_co_u32_e32 v18, vcc, 0, v22, vcc
	global_load_dwordx2 v[17:18], v[17:18], off offset:1536
.LBB112_18:
	s_or_b64 exec, exec, s[0:1]
	s_load_dwordx2 s[34:35], s[4:5], 0x28
	s_load_dword s0, s[4:5], 0x3c
	s_mov_b32 s26, 0
	s_mov_b32 s27, s26
	;; [unrolled: 1-line block ×3, first 2 shown]
	v_lshlrev_b32_e32 v41, 2, v21
	s_waitcnt lgkmcnt(0)
	s_lshr_b32 s1, s0, 16
	s_and_b32 s0, s0, 0xffff
	v_mad_u32_u24 v1, v2, s1, v1
	v_mad_u64_u32 v[1:2], s[0:1], v1, s0, v[0:1]
	v_and_b32_e32 v2, 64, v19
	s_mov_b32 s41, s26
	v_lshrrev_b32_e32 v1, 4, v1
	v_and_b32_e32 v42, 0xffffffc, v1
	v_and_b32_e32 v1, 15, v19
	v_cmp_eq_u32_e64 s[0:1], 0, v1
	v_cmp_lt_u32_e64 s[2:3], 1, v1
	v_cmp_lt_u32_e64 s[4:5], 3, v1
	;; [unrolled: 1-line block ×3, first 2 shown]
	v_and_b32_e32 v1, 16, v19
	v_cmp_eq_u32_e64 s[8:9], 0, v1
	v_or_b32_e32 v1, 63, v0
	v_cmp_eq_u32_e64 s[12:13], v0, v1
	v_subrev_co_u32_e64 v1, s[18:19], 1, v19
	v_cmp_lt_i32_e32 vcc, v1, v2
	v_cndmask_b32_e32 v1, v1, v19, vcc
	v_lshlrev_b32_e32 v43, 2, v1
	v_lshrrev_b32_e32 v1, 4, v0
	v_and_b32_e32 v44, 12, v1
	v_mul_i32_i24_e32 v1, -12, v0
	v_and_b32_e32 v2, 3, v19
	v_mov_b32_e32 v28, s27
	v_mov_b32_e32 v29, s40
	s_waitcnt vmcnt(6)
	v_xor_b32_e32 v4, 0x80000000, v4
	s_waitcnt vmcnt(0)
	v_xor_b32_e32 v6, 0x80000000, v6
	s_add_i32 s36, s35, s34
	v_xor_b32_e32 v8, 0x80000000, v8
	v_xor_b32_e32 v10, 0x80000000, v10
	v_cmp_lt_u32_e64 s[10:11], 31, v19
	v_cmp_gt_u32_e64 s[14:15], 4, v0
	v_cmp_lt_u32_e64 s[16:17], 63, v0
	v_cmp_eq_u32_e64 s[20:21], 0, v0
	v_cmp_eq_u32_e64 s[22:23], 0, v2
	v_cmp_lt_u32_e64 s[24:25], 1, v2
	v_add_u32_e32 v45, -4, v44
	v_lshl_add_u32 v46, v19, 3, v20
	v_mov_b32_e32 v27, s26
	v_mov_b32_e32 v30, s41
	v_mov_b32_e32 v31, 0
	v_add_u32_e32 v47, v41, v1
	s_branch .LBB112_20
.LBB112_19:                             ;   in Loop: Header=BB112_20 Depth=1
	s_andn2_b64 vcc, exec, s[26:27]
	s_cbranch_vccz .LBB112_36
.LBB112_20:                             ; =>This Inner Loop Header: Depth=1
	v_mov_b32_e32 v40, v4
	v_mov_b32_e32 v39, v3
	s_min_u32 s26, s35, 8
	s_lshl_b32 s26, -1, s26
	v_lshrrev_b64 v[1:2], s34, v[39:40]
	s_not_b32 s37, s26
	v_and_b32_e32 v3, s37, v1
	v_and_b32_e32 v1, 1, v3
	v_add_co_u32_e32 v2, vcc, -1, v1
	v_addc_co_u32_e64 v4, s[26:27], 0, -1, vcc
	v_cmp_ne_u32_e32 vcc, 0, v1
	v_lshlrev_b32_e32 v32, 30, v3
	v_xor_b32_e32 v1, vcc_hi, v4
	v_cmp_gt_i64_e64 s[26:27], 0, v[31:32]
	v_not_b32_e32 v4, v32
	v_mov_b32_e32 v38, v6
	v_ashrrev_i32_e32 v4, 31, v4
	v_xor_b32_e32 v2, vcc_lo, v2
	v_mov_b32_e32 v37, v5
	v_xor_b32_e32 v5, s27, v4
	v_and_b32_e32 v2, exec_lo, v2
	v_xor_b32_e32 v4, s26, v4
	v_lshlrev_b32_e32 v32, 29, v3
	v_and_b32_e32 v2, v2, v4
	v_cmp_gt_i64_e32 vcc, 0, v[31:32]
	v_not_b32_e32 v4, v32
	v_and_b32_e32 v1, exec_hi, v1
	v_ashrrev_i32_e32 v4, 31, v4
	v_and_b32_e32 v1, v1, v5
	v_xor_b32_e32 v5, vcc_hi, v4
	v_xor_b32_e32 v4, vcc_lo, v4
	v_lshlrev_b32_e32 v32, 28, v3
	v_and_b32_e32 v2, v2, v4
	v_cmp_gt_i64_e32 vcc, 0, v[31:32]
	v_not_b32_e32 v4, v32
	v_ashrrev_i32_e32 v4, 31, v4
	v_and_b32_e32 v1, v1, v5
	v_xor_b32_e32 v5, vcc_hi, v4
	v_xor_b32_e32 v4, vcc_lo, v4
	v_lshlrev_b32_e32 v32, 27, v3
	v_and_b32_e32 v2, v2, v4
	v_cmp_gt_i64_e32 vcc, 0, v[31:32]
	v_not_b32_e32 v4, v32
	;; [unrolled: 8-line block ×5, first 2 shown]
	v_ashrrev_i32_e32 v2, 31, v2
	v_and_b32_e32 v1, v1, v5
	v_xor_b32_e32 v5, vcc_hi, v2
	v_xor_b32_e32 v6, vcc_lo, v2
	v_and_b32_e32 v2, v1, v5
	v_and_b32_e32 v1, v4, v6
	v_mbcnt_lo_u32_b32 v4, v1, 0
	v_mbcnt_hi_u32_b32 v5, v2, v4
	v_cmp_ne_u64_e32 vcc, 0, v[1:2]
	v_mov_b32_e32 v34, v10
	v_mov_b32_e32 v36, v8
	;; [unrolled: 1-line block ×6, first 2 shown]
	v_lshlrev_b32_e32 v3, 4, v3
	v_cmp_eq_u32_e64 s[26:27], 0, v5
	v_mov_b32_e32 v33, v9
	v_mov_b32_e32 v35, v7
	;; [unrolled: 1-line block ×6, first 2 shown]
	s_and_b64 s[40:41], vcc, s[26:27]
	v_add_u32_e32 v6, v42, v3
	ds_write2_b64 v41, v[27:28], v[29:30] offset0:2 offset1:3
	s_waitcnt lgkmcnt(0)
	s_barrier
	; wave barrier
	s_and_saveexec_b64 s[26:27], s[40:41]
; %bb.21:                               ;   in Loop: Header=BB112_20 Depth=1
	v_bcnt_u32_b32 v1, v1, 0
	v_bcnt_u32_b32 v1, v2, v1
	ds_write_b32 v6, v1 offset:16
; %bb.22:                               ;   in Loop: Header=BB112_20 Depth=1
	s_or_b64 exec, exec, s[26:27]
	v_lshrrev_b64 v[1:2], s34, v[37:38]
	v_and_b32_e32 v1, s37, v1
	v_lshlrev_b32_e32 v2, 4, v1
	v_add_u32_e32 v8, v42, v2
	v_and_b32_e32 v2, 1, v1
	v_add_co_u32_e32 v3, vcc, -1, v2
	v_addc_co_u32_e64 v4, s[26:27], 0, -1, vcc
	v_cmp_ne_u32_e32 vcc, 0, v2
	v_lshlrev_b32_e32 v32, 30, v1
	v_xor_b32_e32 v2, vcc_hi, v4
	v_xor_b32_e32 v3, vcc_lo, v3
	v_cmp_gt_i64_e32 vcc, 0, v[31:32]
	v_not_b32_e32 v4, v32
	v_ashrrev_i32_e32 v4, 31, v4
	v_and_b32_e32 v3, exec_lo, v3
	v_xor_b32_e32 v9, vcc_hi, v4
	v_xor_b32_e32 v4, vcc_lo, v4
	v_lshlrev_b32_e32 v32, 29, v1
	v_and_b32_e32 v3, v3, v4
	v_cmp_gt_i64_e32 vcc, 0, v[31:32]
	v_not_b32_e32 v4, v32
	v_and_b32_e32 v2, exec_hi, v2
	v_ashrrev_i32_e32 v4, 31, v4
	v_and_b32_e32 v2, v2, v9
	v_xor_b32_e32 v9, vcc_hi, v4
	v_xor_b32_e32 v4, vcc_lo, v4
	v_lshlrev_b32_e32 v32, 28, v1
	v_and_b32_e32 v3, v3, v4
	v_cmp_gt_i64_e32 vcc, 0, v[31:32]
	v_not_b32_e32 v4, v32
	v_ashrrev_i32_e32 v4, 31, v4
	v_and_b32_e32 v2, v2, v9
	v_xor_b32_e32 v9, vcc_hi, v4
	v_xor_b32_e32 v4, vcc_lo, v4
	v_lshlrev_b32_e32 v32, 27, v1
	v_and_b32_e32 v3, v3, v4
	v_cmp_gt_i64_e32 vcc, 0, v[31:32]
	v_not_b32_e32 v4, v32
	;; [unrolled: 8-line block ×4, first 2 shown]
	v_ashrrev_i32_e32 v4, 31, v4
	v_lshlrev_b32_e32 v32, 24, v1
	v_and_b32_e32 v2, v2, v9
	v_xor_b32_e32 v9, vcc_hi, v4
	v_xor_b32_e32 v4, vcc_lo, v4
	v_cmp_gt_i64_e32 vcc, 0, v[31:32]
	v_not_b32_e32 v1, v32
	v_ashrrev_i32_e32 v1, 31, v1
	v_and_b32_e32 v3, v3, v4
	v_xor_b32_e32 v4, vcc_hi, v1
	v_xor_b32_e32 v1, vcc_lo, v1
	; wave barrier
	ds_read_b32 v7, v8 offset:16
	v_and_b32_e32 v2, v2, v9
	v_and_b32_e32 v1, v3, v1
	;; [unrolled: 1-line block ×3, first 2 shown]
	v_mbcnt_lo_u32_b32 v3, v1, 0
	v_mbcnt_hi_u32_b32 v9, v2, v3
	v_cmp_ne_u64_e32 vcc, 0, v[1:2]
	v_cmp_eq_u32_e64 s[26:27], 0, v9
	s_and_b64 s[40:41], vcc, s[26:27]
	; wave barrier
	s_and_saveexec_b64 s[26:27], s[40:41]
	s_cbranch_execz .LBB112_24
; %bb.23:                               ;   in Loop: Header=BB112_20 Depth=1
	v_bcnt_u32_b32 v1, v1, 0
	v_bcnt_u32_b32 v1, v2, v1
	s_waitcnt lgkmcnt(0)
	v_add_u32_e32 v1, v7, v1
	ds_write_b32 v8, v1 offset:16
.LBB112_24:                             ;   in Loop: Header=BB112_20 Depth=1
	s_or_b64 exec, exec, s[26:27]
	v_lshrrev_b64 v[1:2], s34, v[35:36]
	v_and_b32_e32 v1, s37, v1
	v_lshlrev_b32_e32 v2, 4, v1
	v_add_u32_e32 v11, v42, v2
	v_and_b32_e32 v2, 1, v1
	v_add_co_u32_e32 v3, vcc, -1, v2
	v_addc_co_u32_e64 v4, s[26:27], 0, -1, vcc
	v_cmp_ne_u32_e32 vcc, 0, v2
	v_lshlrev_b32_e32 v32, 30, v1
	v_xor_b32_e32 v2, vcc_hi, v4
	v_xor_b32_e32 v3, vcc_lo, v3
	v_cmp_gt_i64_e32 vcc, 0, v[31:32]
	v_not_b32_e32 v4, v32
	v_ashrrev_i32_e32 v4, 31, v4
	v_and_b32_e32 v3, exec_lo, v3
	v_xor_b32_e32 v12, vcc_hi, v4
	v_xor_b32_e32 v4, vcc_lo, v4
	v_lshlrev_b32_e32 v32, 29, v1
	v_and_b32_e32 v3, v3, v4
	v_cmp_gt_i64_e32 vcc, 0, v[31:32]
	v_not_b32_e32 v4, v32
	v_and_b32_e32 v2, exec_hi, v2
	v_ashrrev_i32_e32 v4, 31, v4
	v_and_b32_e32 v2, v2, v12
	v_xor_b32_e32 v12, vcc_hi, v4
	v_xor_b32_e32 v4, vcc_lo, v4
	v_lshlrev_b32_e32 v32, 28, v1
	v_and_b32_e32 v3, v3, v4
	v_cmp_gt_i64_e32 vcc, 0, v[31:32]
	v_not_b32_e32 v4, v32
	v_ashrrev_i32_e32 v4, 31, v4
	v_and_b32_e32 v2, v2, v12
	v_xor_b32_e32 v12, vcc_hi, v4
	v_xor_b32_e32 v4, vcc_lo, v4
	v_lshlrev_b32_e32 v32, 27, v1
	v_and_b32_e32 v3, v3, v4
	v_cmp_gt_i64_e32 vcc, 0, v[31:32]
	v_not_b32_e32 v4, v32
	;; [unrolled: 8-line block ×4, first 2 shown]
	v_ashrrev_i32_e32 v4, 31, v4
	v_lshlrev_b32_e32 v32, 24, v1
	v_and_b32_e32 v2, v2, v12
	v_xor_b32_e32 v12, vcc_hi, v4
	v_xor_b32_e32 v4, vcc_lo, v4
	v_cmp_gt_i64_e32 vcc, 0, v[31:32]
	v_not_b32_e32 v1, v32
	v_ashrrev_i32_e32 v1, 31, v1
	v_and_b32_e32 v3, v3, v4
	v_xor_b32_e32 v4, vcc_hi, v1
	v_xor_b32_e32 v1, vcc_lo, v1
	; wave barrier
	ds_read_b32 v10, v11 offset:16
	v_and_b32_e32 v2, v2, v12
	v_and_b32_e32 v1, v3, v1
	;; [unrolled: 1-line block ×3, first 2 shown]
	v_mbcnt_lo_u32_b32 v3, v1, 0
	v_mbcnt_hi_u32_b32 v12, v2, v3
	v_cmp_ne_u64_e32 vcc, 0, v[1:2]
	v_cmp_eq_u32_e64 s[26:27], 0, v12
	s_and_b64 s[40:41], vcc, s[26:27]
	; wave barrier
	s_and_saveexec_b64 s[26:27], s[40:41]
	s_cbranch_execz .LBB112_26
; %bb.25:                               ;   in Loop: Header=BB112_20 Depth=1
	v_bcnt_u32_b32 v1, v1, 0
	v_bcnt_u32_b32 v1, v2, v1
	s_waitcnt lgkmcnt(0)
	v_add_u32_e32 v1, v10, v1
	ds_write_b32 v11, v1 offset:16
.LBB112_26:                             ;   in Loop: Header=BB112_20 Depth=1
	s_or_b64 exec, exec, s[26:27]
	v_lshrrev_b64 v[1:2], s34, v[33:34]
	v_and_b32_e32 v1, s37, v1
	v_lshlrev_b32_e32 v2, 4, v1
	v_add_u32_e32 v14, v42, v2
	v_and_b32_e32 v2, 1, v1
	v_add_co_u32_e32 v3, vcc, -1, v2
	v_addc_co_u32_e64 v4, s[26:27], 0, -1, vcc
	v_cmp_ne_u32_e32 vcc, 0, v2
	v_lshlrev_b32_e32 v32, 30, v1
	v_xor_b32_e32 v2, vcc_hi, v4
	v_xor_b32_e32 v3, vcc_lo, v3
	v_cmp_gt_i64_e32 vcc, 0, v[31:32]
	v_not_b32_e32 v4, v32
	v_ashrrev_i32_e32 v4, 31, v4
	v_and_b32_e32 v3, exec_lo, v3
	v_xor_b32_e32 v15, vcc_hi, v4
	v_xor_b32_e32 v4, vcc_lo, v4
	v_lshlrev_b32_e32 v32, 29, v1
	v_and_b32_e32 v3, v3, v4
	v_cmp_gt_i64_e32 vcc, 0, v[31:32]
	v_not_b32_e32 v4, v32
	v_and_b32_e32 v2, exec_hi, v2
	v_ashrrev_i32_e32 v4, 31, v4
	v_and_b32_e32 v2, v2, v15
	v_xor_b32_e32 v15, vcc_hi, v4
	v_xor_b32_e32 v4, vcc_lo, v4
	v_lshlrev_b32_e32 v32, 28, v1
	v_and_b32_e32 v3, v3, v4
	v_cmp_gt_i64_e32 vcc, 0, v[31:32]
	v_not_b32_e32 v4, v32
	v_ashrrev_i32_e32 v4, 31, v4
	v_and_b32_e32 v2, v2, v15
	v_xor_b32_e32 v15, vcc_hi, v4
	v_xor_b32_e32 v4, vcc_lo, v4
	v_lshlrev_b32_e32 v32, 27, v1
	v_and_b32_e32 v3, v3, v4
	v_cmp_gt_i64_e32 vcc, 0, v[31:32]
	v_not_b32_e32 v4, v32
	;; [unrolled: 8-line block ×4, first 2 shown]
	v_ashrrev_i32_e32 v4, 31, v4
	v_lshlrev_b32_e32 v32, 24, v1
	v_and_b32_e32 v2, v2, v15
	v_xor_b32_e32 v15, vcc_hi, v4
	v_xor_b32_e32 v4, vcc_lo, v4
	v_cmp_gt_i64_e32 vcc, 0, v[31:32]
	v_not_b32_e32 v1, v32
	v_ashrrev_i32_e32 v1, 31, v1
	v_and_b32_e32 v3, v3, v4
	v_xor_b32_e32 v4, vcc_hi, v1
	v_xor_b32_e32 v1, vcc_lo, v1
	; wave barrier
	ds_read_b32 v13, v14 offset:16
	v_and_b32_e32 v2, v2, v15
	v_and_b32_e32 v1, v3, v1
	;; [unrolled: 1-line block ×3, first 2 shown]
	v_mbcnt_lo_u32_b32 v3, v1, 0
	v_mbcnt_hi_u32_b32 v15, v2, v3
	v_cmp_ne_u64_e32 vcc, 0, v[1:2]
	v_cmp_eq_u32_e64 s[26:27], 0, v15
	s_and_b64 s[40:41], vcc, s[26:27]
	; wave barrier
	s_and_saveexec_b64 s[26:27], s[40:41]
	s_cbranch_execz .LBB112_28
; %bb.27:                               ;   in Loop: Header=BB112_20 Depth=1
	v_bcnt_u32_b32 v1, v1, 0
	v_bcnt_u32_b32 v1, v2, v1
	s_waitcnt lgkmcnt(0)
	v_add_u32_e32 v1, v13, v1
	ds_write_b32 v14, v1 offset:16
.LBB112_28:                             ;   in Loop: Header=BB112_20 Depth=1
	s_or_b64 exec, exec, s[26:27]
	; wave barrier
	s_waitcnt lgkmcnt(0)
	s_barrier
	ds_read2_b64 v[1:4], v41 offset0:2 offset1:3
	s_waitcnt lgkmcnt(0)
	v_add_u32_e32 v16, v2, v1
	v_add3_u32 v4, v16, v3, v4
	s_nop 1
	v_mov_b32_dpp v16, v4 row_shr:1 row_mask:0xf bank_mask:0xf
	v_cndmask_b32_e64 v16, v16, 0, s[0:1]
	v_add_u32_e32 v4, v16, v4
	s_nop 1
	v_mov_b32_dpp v16, v4 row_shr:2 row_mask:0xf bank_mask:0xf
	v_cndmask_b32_e64 v16, 0, v16, s[2:3]
	v_add_u32_e32 v4, v4, v16
	;; [unrolled: 4-line block ×4, first 2 shown]
	s_nop 1
	v_mov_b32_dpp v16, v4 row_bcast:15 row_mask:0xf bank_mask:0xf
	v_cndmask_b32_e64 v16, v16, 0, s[8:9]
	v_add_u32_e32 v4, v4, v16
	s_nop 1
	v_mov_b32_dpp v16, v4 row_bcast:31 row_mask:0xf bank_mask:0xf
	v_cndmask_b32_e64 v16, 0, v16, s[10:11]
	v_add_u32_e32 v4, v4, v16
	s_and_saveexec_b64 s[26:27], s[12:13]
; %bb.29:                               ;   in Loop: Header=BB112_20 Depth=1
	ds_write_b32 v44, v4
; %bb.30:                               ;   in Loop: Header=BB112_20 Depth=1
	s_or_b64 exec, exec, s[26:27]
	s_waitcnt lgkmcnt(0)
	s_barrier
	s_and_saveexec_b64 s[26:27], s[14:15]
	s_cbranch_execz .LBB112_32
; %bb.31:                               ;   in Loop: Header=BB112_20 Depth=1
	ds_read_b32 v16, v47
	s_waitcnt lgkmcnt(0)
	s_nop 0
	v_mov_b32_dpp v17, v16 row_shr:1 row_mask:0xf bank_mask:0xf
	v_cndmask_b32_e64 v17, v17, 0, s[22:23]
	v_add_u32_e32 v16, v17, v16
	s_nop 1
	v_mov_b32_dpp v17, v16 row_shr:2 row_mask:0xf bank_mask:0xf
	v_cndmask_b32_e64 v17, 0, v17, s[24:25]
	v_add_u32_e32 v16, v16, v17
	ds_write_b32 v47, v16
.LBB112_32:                             ;   in Loop: Header=BB112_20 Depth=1
	s_or_b64 exec, exec, s[26:27]
	v_mov_b32_e32 v16, 0
	s_waitcnt lgkmcnt(0)
	s_barrier
	s_and_saveexec_b64 s[26:27], s[16:17]
; %bb.33:                               ;   in Loop: Header=BB112_20 Depth=1
	ds_read_b32 v16, v45
; %bb.34:                               ;   in Loop: Header=BB112_20 Depth=1
	s_or_b64 exec, exec, s[26:27]
	s_waitcnt lgkmcnt(0)
	v_add_u32_e32 v4, v16, v4
	ds_bpermute_b32 v4, v43, v4
	v_lshlrev_b32_e32 v5, 3, v5
	s_add_i32 s34, s34, 8
	s_cmp_ge_u32 s34, s36
	s_mov_b64 s[26:27], -1
	s_waitcnt lgkmcnt(0)
	v_cndmask_b32_e64 v4, v4, v16, s[18:19]
	v_cndmask_b32_e64 v16, v4, 0, s[20:21]
	v_add_u32_e32 v17, v16, v1
	v_add_u32_e32 v1, v17, v2
	;; [unrolled: 1-line block ×3, first 2 shown]
	ds_write2_b64 v41, v[16:17], v[1:2] offset0:2 offset1:3
	s_waitcnt lgkmcnt(0)
	s_barrier
	ds_read_b32 v1, v6 offset:16
	ds_read_b32 v2, v8 offset:16
	;; [unrolled: 1-line block ×4, first 2 shown]
	v_lshlrev_b32_e32 v6, 3, v7
	s_waitcnt lgkmcnt(3)
	v_lshl_add_u32 v1, v1, 3, v5
	v_lshlrev_b32_e32 v5, 3, v9
	s_waitcnt lgkmcnt(2)
	v_lshlrev_b32_e32 v2, 3, v2
	v_add3_u32 v2, v5, v6, v2
	v_lshlrev_b32_e32 v5, 3, v12
	v_lshlrev_b32_e32 v6, 3, v10
	s_waitcnt lgkmcnt(1)
	v_lshlrev_b32_e32 v3, 3, v3
	v_add3_u32 v32, v5, v6, v3
	v_lshlrev_b32_e32 v3, 3, v15
	v_lshlrev_b32_e32 v5, 3, v13
	s_waitcnt lgkmcnt(0)
	v_lshlrev_b32_e32 v4, 3, v4
	v_add3_u32 v48, v3, v5, v4
                                        ; implicit-def: $vgpr9_vgpr10
                                        ; implicit-def: $vgpr11_vgpr12
                                        ; implicit-def: $vgpr15_vgpr16
	s_cbranch_scc1 .LBB112_19
; %bb.35:                               ;   in Loop: Header=BB112_20 Depth=1
	s_barrier
	ds_write_b64 v1, v[39:40]
	ds_write_b64 v2, v[37:38]
	;; [unrolled: 1-line block ×4, first 2 shown]
	s_waitcnt lgkmcnt(0)
	s_barrier
	ds_read2st64_b64 v[3:6], v46 offset1:1
	ds_read2st64_b64 v[7:10], v46 offset0:2 offset1:3
	s_waitcnt lgkmcnt(0)
	s_barrier
	ds_write_b64 v1, v[25:26]
	ds_write_b64 v2, v[23:24]
	;; [unrolled: 1-line block ×4, first 2 shown]
	s_waitcnt lgkmcnt(0)
	s_barrier
	ds_read2st64_b64 v[11:14], v46 offset1:1
	ds_read2st64_b64 v[15:18], v46 offset0:2 offset1:3
	s_add_i32 s35, s35, -8
	s_mov_b64 s[26:27], 0
	s_waitcnt lgkmcnt(0)
	s_barrier
	s_branch .LBB112_19
.LBB112_36:
	v_lshlrev_b32_e32 v27, 3, v0
	s_barrier
	ds_write_b64 v1, v[39:40]
	ds_write_b64 v2, v[37:38]
	;; [unrolled: 1-line block ×4, first 2 shown]
	s_waitcnt lgkmcnt(0)
	s_barrier
	ds_read2st64_b64 v[13:16], v27 offset1:4
	ds_read2st64_b64 v[9:12], v27 offset0:8 offset1:12
	s_waitcnt lgkmcnt(0)
	s_barrier
	ds_write_b64 v1, v[25:26]
	ds_write_b64 v2, v[23:24]
	;; [unrolled: 1-line block ×4, first 2 shown]
	s_waitcnt lgkmcnt(0)
	s_barrier
	ds_read2st64_b64 v[5:8], v27 offset1:4
	ds_read2st64_b64 v[1:4], v27 offset0:8 offset1:12
	s_add_u32 s0, s38, s28
	s_addc_u32 s1, s39, s29
	v_mov_b32_e32 v18, s1
	v_add_co_u32_e64 v17, s[0:1], s0, v27
	v_xor_b32_e32 v14, 0x80000000, v14
	v_xor_b32_e32 v16, 0x80000000, v16
	;; [unrolled: 1-line block ×4, first 2 shown]
	s_andn2_b64 vcc, exec, s[30:31]
	v_addc_co_u32_e64 v18, s[0:1], 0, v18, s[0:1]
	s_cbranch_vccnz .LBB112_38
; %bb.37:
	v_add_co_u32_e32 v19, vcc, 0x1000, v17
	s_add_u32 s0, s42, s28
	v_addc_co_u32_e32 v20, vcc, 0, v18, vcc
	s_addc_u32 s1, s43, s29
	global_store_dwordx2 v[17:18], v[13:14], off
	global_store_dwordx2 v[17:18], v[15:16], off offset:2048
	global_store_dwordx2 v[19:20], v[9:10], off
	global_store_dwordx2 v[19:20], v[11:12], off offset:2048
	v_mov_b32_e32 v19, s1
	v_add_co_u32_e32 v20, vcc, s0, v27
	v_addc_co_u32_e32 v21, vcc, 0, v19, vcc
	v_add_co_u32_e32 v19, vcc, 0x1000, v20
	s_waitcnt lgkmcnt(1)
	global_store_dwordx2 v27, v[5:6], s[0:1]
	global_store_dwordx2 v27, v[7:8], s[0:1] offset:2048
	v_addc_co_u32_e32 v20, vcc, 0, v21, vcc
	s_mov_b64 s[6:7], -1
	s_waitcnt lgkmcnt(0)
	global_store_dwordx2 v[19:20], v[1:2], off
	s_cbranch_execz .LBB112_39
	s_branch .LBB112_52
.LBB112_38:
	s_mov_b64 s[6:7], 0
.LBB112_39:
	v_cmp_gt_u32_e64 s[0:1], s33, v0
	s_and_saveexec_b64 s[2:3], s[0:1]
	s_cbranch_execz .LBB112_41
; %bb.40:
	global_store_dwordx2 v[17:18], v[13:14], off
.LBB112_41:
	s_or_b64 exec, exec, s[2:3]
	v_or_b32_e32 v13, 0x100, v0
	v_cmp_gt_u32_e64 s[2:3], s33, v13
	s_and_saveexec_b64 s[4:5], s[2:3]
	s_cbranch_execz .LBB112_43
; %bb.42:
	global_store_dwordx2 v[17:18], v[15:16], off offset:2048
.LBB112_43:
	s_or_b64 exec, exec, s[4:5]
	v_or_b32_e32 v13, 0x200, v0
	v_cmp_gt_u32_e64 s[4:5], s33, v13
	s_and_saveexec_b64 s[6:7], s[4:5]
	s_cbranch_execz .LBB112_45
; %bb.44:
	v_add_co_u32_e32 v13, vcc, 0x1000, v17
	v_addc_co_u32_e32 v14, vcc, 0, v18, vcc
	global_store_dwordx2 v[13:14], v[9:10], off
.LBB112_45:
	s_or_b64 exec, exec, s[6:7]
	v_or_b32_e32 v0, 0x300, v0
	v_cmp_gt_u32_e64 s[6:7], s33, v0
	s_and_saveexec_b64 s[8:9], s[6:7]
	s_cbranch_execz .LBB112_47
; %bb.46:
	v_add_co_u32_e32 v9, vcc, 0x1000, v17
	v_addc_co_u32_e32 v10, vcc, 0, v18, vcc
	global_store_dwordx2 v[9:10], v[11:12], off offset:2048
.LBB112_47:
	s_or_b64 exec, exec, s[8:9]
	s_add_u32 s8, s42, s28
	s_addc_u32 s9, s43, s29
	v_mov_b32_e32 v0, s9
	v_add_co_u32_e32 v9, vcc, s8, v27
	v_addc_co_u32_e32 v10, vcc, 0, v0, vcc
	s_and_saveexec_b64 s[8:9], s[0:1]
	s_cbranch_execnz .LBB112_57
; %bb.48:
	s_or_b64 exec, exec, s[8:9]
	s_and_saveexec_b64 s[0:1], s[2:3]
	s_cbranch_execnz .LBB112_58
.LBB112_49:
	s_or_b64 exec, exec, s[0:1]
	s_and_saveexec_b64 s[0:1], s[4:5]
	s_cbranch_execz .LBB112_51
.LBB112_50:
	s_waitcnt lgkmcnt(1)
	v_add_co_u32_e32 v5, vcc, 0x1000, v9
	v_addc_co_u32_e32 v6, vcc, 0, v10, vcc
	s_waitcnt lgkmcnt(0)
	global_store_dwordx2 v[5:6], v[1:2], off
.LBB112_51:
	s_or_b64 exec, exec, s[0:1]
.LBB112_52:
	s_and_saveexec_b64 s[0:1], s[6:7]
	s_cbranch_execnz .LBB112_54
; %bb.53:
	s_endpgm
.LBB112_54:
	s_add_u32 s0, s42, s28
	s_addc_u32 s1, s43, s29
	v_mov_b32_e32 v0, s1
	s_waitcnt lgkmcnt(0)
	v_add_co_u32_e32 v1, vcc, s0, v27
	v_addc_co_u32_e32 v2, vcc, 0, v0, vcc
	v_add_co_u32_e32 v0, vcc, 0x1000, v1
	v_addc_co_u32_e32 v1, vcc, 0, v2, vcc
	global_store_dwordx2 v[0:1], v[3:4], off offset:2048
	s_endpgm
.LBB112_55:
	global_load_dwordx2 v[11:12], v[17:18], off
	s_or_b64 exec, exec, s[6:7]
	s_and_saveexec_b64 s[6:7], s[0:1]
	s_cbranch_execz .LBB112_13
.LBB112_56:
	global_load_dwordx2 v[13:14], v[17:18], off offset:512
	s_or_b64 exec, exec, s[6:7]
                                        ; implicit-def: $vgpr15_vgpr16
	s_and_saveexec_b64 s[0:1], s[2:3]
	s_cbranch_execnz .LBB112_14
	s_branch .LBB112_15
.LBB112_57:
	s_waitcnt lgkmcnt(1)
	global_store_dwordx2 v[9:10], v[5:6], off
	s_or_b64 exec, exec, s[8:9]
	s_and_saveexec_b64 s[0:1], s[2:3]
	s_cbranch_execz .LBB112_49
.LBB112_58:
	s_waitcnt lgkmcnt(1)
	global_store_dwordx2 v[9:10], v[7:8], off offset:2048
	s_or_b64 exec, exec, s[0:1]
	s_and_saveexec_b64 s[0:1], s[4:5]
	s_cbranch_execnz .LBB112_50
	s_branch .LBB112_51
	.section	.rodata,"a",@progbits
	.p2align	6, 0x0
	.amdhsa_kernel _ZN7rocprim17ROCPRIM_304000_NS6detail28radix_sort_block_sort_kernelINS1_36wrapped_radix_sort_block_sort_configINS0_13kernel_configILj256ELj4ELj4294967295EEElN2at4cuda3cub6detail10OpaqueTypeILi8EEEEELb0EPKlPlPKSB_PSB_NS0_19identity_decomposerEEEvT1_T2_T3_T4_jT5_jj
		.amdhsa_group_segment_fixed_size 8192
		.amdhsa_private_segment_fixed_size 0
		.amdhsa_kernarg_size 304
		.amdhsa_user_sgpr_count 6
		.amdhsa_user_sgpr_private_segment_buffer 1
		.amdhsa_user_sgpr_dispatch_ptr 0
		.amdhsa_user_sgpr_queue_ptr 0
		.amdhsa_user_sgpr_kernarg_segment_ptr 1
		.amdhsa_user_sgpr_dispatch_id 0
		.amdhsa_user_sgpr_flat_scratch_init 0
		.amdhsa_user_sgpr_private_segment_size 0
		.amdhsa_uses_dynamic_stack 0
		.amdhsa_system_sgpr_private_segment_wavefront_offset 0
		.amdhsa_system_sgpr_workgroup_id_x 1
		.amdhsa_system_sgpr_workgroup_id_y 0
		.amdhsa_system_sgpr_workgroup_id_z 0
		.amdhsa_system_sgpr_workgroup_info 0
		.amdhsa_system_vgpr_workitem_id 2
		.amdhsa_next_free_vgpr 49
		.amdhsa_next_free_sgpr 61
		.amdhsa_reserve_vcc 1
		.amdhsa_reserve_flat_scratch 0
		.amdhsa_float_round_mode_32 0
		.amdhsa_float_round_mode_16_64 0
		.amdhsa_float_denorm_mode_32 3
		.amdhsa_float_denorm_mode_16_64 3
		.amdhsa_dx10_clamp 1
		.amdhsa_ieee_mode 1
		.amdhsa_fp16_overflow 0
		.amdhsa_exception_fp_ieee_invalid_op 0
		.amdhsa_exception_fp_denorm_src 0
		.amdhsa_exception_fp_ieee_div_zero 0
		.amdhsa_exception_fp_ieee_overflow 0
		.amdhsa_exception_fp_ieee_underflow 0
		.amdhsa_exception_fp_ieee_inexact 0
		.amdhsa_exception_int_div_zero 0
	.end_amdhsa_kernel
	.section	.text._ZN7rocprim17ROCPRIM_304000_NS6detail28radix_sort_block_sort_kernelINS1_36wrapped_radix_sort_block_sort_configINS0_13kernel_configILj256ELj4ELj4294967295EEElN2at4cuda3cub6detail10OpaqueTypeILi8EEEEELb0EPKlPlPKSB_PSB_NS0_19identity_decomposerEEEvT1_T2_T3_T4_jT5_jj,"axG",@progbits,_ZN7rocprim17ROCPRIM_304000_NS6detail28radix_sort_block_sort_kernelINS1_36wrapped_radix_sort_block_sort_configINS0_13kernel_configILj256ELj4ELj4294967295EEElN2at4cuda3cub6detail10OpaqueTypeILi8EEEEELb0EPKlPlPKSB_PSB_NS0_19identity_decomposerEEEvT1_T2_T3_T4_jT5_jj,comdat
.Lfunc_end112:
	.size	_ZN7rocprim17ROCPRIM_304000_NS6detail28radix_sort_block_sort_kernelINS1_36wrapped_radix_sort_block_sort_configINS0_13kernel_configILj256ELj4ELj4294967295EEElN2at4cuda3cub6detail10OpaqueTypeILi8EEEEELb0EPKlPlPKSB_PSB_NS0_19identity_decomposerEEEvT1_T2_T3_T4_jT5_jj, .Lfunc_end112-_ZN7rocprim17ROCPRIM_304000_NS6detail28radix_sort_block_sort_kernelINS1_36wrapped_radix_sort_block_sort_configINS0_13kernel_configILj256ELj4ELj4294967295EEElN2at4cuda3cub6detail10OpaqueTypeILi8EEEEELb0EPKlPlPKSB_PSB_NS0_19identity_decomposerEEEvT1_T2_T3_T4_jT5_jj
                                        ; -- End function
	.set _ZN7rocprim17ROCPRIM_304000_NS6detail28radix_sort_block_sort_kernelINS1_36wrapped_radix_sort_block_sort_configINS0_13kernel_configILj256ELj4ELj4294967295EEElN2at4cuda3cub6detail10OpaqueTypeILi8EEEEELb0EPKlPlPKSB_PSB_NS0_19identity_decomposerEEEvT1_T2_T3_T4_jT5_jj.num_vgpr, 49
	.set _ZN7rocprim17ROCPRIM_304000_NS6detail28radix_sort_block_sort_kernelINS1_36wrapped_radix_sort_block_sort_configINS0_13kernel_configILj256ELj4ELj4294967295EEElN2at4cuda3cub6detail10OpaqueTypeILi8EEEEELb0EPKlPlPKSB_PSB_NS0_19identity_decomposerEEEvT1_T2_T3_T4_jT5_jj.num_agpr, 0
	.set _ZN7rocprim17ROCPRIM_304000_NS6detail28radix_sort_block_sort_kernelINS1_36wrapped_radix_sort_block_sort_configINS0_13kernel_configILj256ELj4ELj4294967295EEElN2at4cuda3cub6detail10OpaqueTypeILi8EEEEELb0EPKlPlPKSB_PSB_NS0_19identity_decomposerEEEvT1_T2_T3_T4_jT5_jj.numbered_sgpr, 44
	.set _ZN7rocprim17ROCPRIM_304000_NS6detail28radix_sort_block_sort_kernelINS1_36wrapped_radix_sort_block_sort_configINS0_13kernel_configILj256ELj4ELj4294967295EEElN2at4cuda3cub6detail10OpaqueTypeILi8EEEEELb0EPKlPlPKSB_PSB_NS0_19identity_decomposerEEEvT1_T2_T3_T4_jT5_jj.num_named_barrier, 0
	.set _ZN7rocprim17ROCPRIM_304000_NS6detail28radix_sort_block_sort_kernelINS1_36wrapped_radix_sort_block_sort_configINS0_13kernel_configILj256ELj4ELj4294967295EEElN2at4cuda3cub6detail10OpaqueTypeILi8EEEEELb0EPKlPlPKSB_PSB_NS0_19identity_decomposerEEEvT1_T2_T3_T4_jT5_jj.private_seg_size, 0
	.set _ZN7rocprim17ROCPRIM_304000_NS6detail28radix_sort_block_sort_kernelINS1_36wrapped_radix_sort_block_sort_configINS0_13kernel_configILj256ELj4ELj4294967295EEElN2at4cuda3cub6detail10OpaqueTypeILi8EEEEELb0EPKlPlPKSB_PSB_NS0_19identity_decomposerEEEvT1_T2_T3_T4_jT5_jj.uses_vcc, 1
	.set _ZN7rocprim17ROCPRIM_304000_NS6detail28radix_sort_block_sort_kernelINS1_36wrapped_radix_sort_block_sort_configINS0_13kernel_configILj256ELj4ELj4294967295EEElN2at4cuda3cub6detail10OpaqueTypeILi8EEEEELb0EPKlPlPKSB_PSB_NS0_19identity_decomposerEEEvT1_T2_T3_T4_jT5_jj.uses_flat_scratch, 0
	.set _ZN7rocprim17ROCPRIM_304000_NS6detail28radix_sort_block_sort_kernelINS1_36wrapped_radix_sort_block_sort_configINS0_13kernel_configILj256ELj4ELj4294967295EEElN2at4cuda3cub6detail10OpaqueTypeILi8EEEEELb0EPKlPlPKSB_PSB_NS0_19identity_decomposerEEEvT1_T2_T3_T4_jT5_jj.has_dyn_sized_stack, 0
	.set _ZN7rocprim17ROCPRIM_304000_NS6detail28radix_sort_block_sort_kernelINS1_36wrapped_radix_sort_block_sort_configINS0_13kernel_configILj256ELj4ELj4294967295EEElN2at4cuda3cub6detail10OpaqueTypeILi8EEEEELb0EPKlPlPKSB_PSB_NS0_19identity_decomposerEEEvT1_T2_T3_T4_jT5_jj.has_recursion, 0
	.set _ZN7rocprim17ROCPRIM_304000_NS6detail28radix_sort_block_sort_kernelINS1_36wrapped_radix_sort_block_sort_configINS0_13kernel_configILj256ELj4ELj4294967295EEElN2at4cuda3cub6detail10OpaqueTypeILi8EEEEELb0EPKlPlPKSB_PSB_NS0_19identity_decomposerEEEvT1_T2_T3_T4_jT5_jj.has_indirect_call, 0
	.section	.AMDGPU.csdata,"",@progbits
; Kernel info:
; codeLenInByte = 3812
; TotalNumSgprs: 48
; NumVgprs: 49
; ScratchSize: 0
; MemoryBound: 1
; FloatMode: 240
; IeeeMode: 1
; LDSByteSize: 8192 bytes/workgroup (compile time only)
; SGPRBlocks: 8
; VGPRBlocks: 12
; NumSGPRsForWavesPerEU: 65
; NumVGPRsForWavesPerEU: 49
; Occupancy: 4
; WaveLimiterHint : 1
; COMPUTE_PGM_RSRC2:SCRATCH_EN: 0
; COMPUTE_PGM_RSRC2:USER_SGPR: 6
; COMPUTE_PGM_RSRC2:TRAP_HANDLER: 0
; COMPUTE_PGM_RSRC2:TGID_X_EN: 1
; COMPUTE_PGM_RSRC2:TGID_Y_EN: 0
; COMPUTE_PGM_RSRC2:TGID_Z_EN: 0
; COMPUTE_PGM_RSRC2:TIDIG_COMP_CNT: 2
	.section	.text._ZN7rocprim17ROCPRIM_304000_NS6detail45device_block_merge_mergepath_partition_kernelINS1_37wrapped_merge_sort_block_merge_configINS0_14default_configElN2at4cuda3cub6detail10OpaqueTypeILi8EEEEEPljNS1_19radix_merge_compareILb0ELb0ElNS0_19identity_decomposerEEEEEvT0_T1_jPSH_T2_SH_,"axG",@progbits,_ZN7rocprim17ROCPRIM_304000_NS6detail45device_block_merge_mergepath_partition_kernelINS1_37wrapped_merge_sort_block_merge_configINS0_14default_configElN2at4cuda3cub6detail10OpaqueTypeILi8EEEEEPljNS1_19radix_merge_compareILb0ELb0ElNS0_19identity_decomposerEEEEEvT0_T1_jPSH_T2_SH_,comdat
	.protected	_ZN7rocprim17ROCPRIM_304000_NS6detail45device_block_merge_mergepath_partition_kernelINS1_37wrapped_merge_sort_block_merge_configINS0_14default_configElN2at4cuda3cub6detail10OpaqueTypeILi8EEEEEPljNS1_19radix_merge_compareILb0ELb0ElNS0_19identity_decomposerEEEEEvT0_T1_jPSH_T2_SH_ ; -- Begin function _ZN7rocprim17ROCPRIM_304000_NS6detail45device_block_merge_mergepath_partition_kernelINS1_37wrapped_merge_sort_block_merge_configINS0_14default_configElN2at4cuda3cub6detail10OpaqueTypeILi8EEEEEPljNS1_19radix_merge_compareILb0ELb0ElNS0_19identity_decomposerEEEEEvT0_T1_jPSH_T2_SH_
	.globl	_ZN7rocprim17ROCPRIM_304000_NS6detail45device_block_merge_mergepath_partition_kernelINS1_37wrapped_merge_sort_block_merge_configINS0_14default_configElN2at4cuda3cub6detail10OpaqueTypeILi8EEEEEPljNS1_19radix_merge_compareILb0ELb0ElNS0_19identity_decomposerEEEEEvT0_T1_jPSH_T2_SH_
	.p2align	8
	.type	_ZN7rocprim17ROCPRIM_304000_NS6detail45device_block_merge_mergepath_partition_kernelINS1_37wrapped_merge_sort_block_merge_configINS0_14default_configElN2at4cuda3cub6detail10OpaqueTypeILi8EEEEEPljNS1_19radix_merge_compareILb0ELb0ElNS0_19identity_decomposerEEEEEvT0_T1_jPSH_T2_SH_,@function
_ZN7rocprim17ROCPRIM_304000_NS6detail45device_block_merge_mergepath_partition_kernelINS1_37wrapped_merge_sort_block_merge_configINS0_14default_configElN2at4cuda3cub6detail10OpaqueTypeILi8EEEEEPljNS1_19radix_merge_compareILb0ELb0ElNS0_19identity_decomposerEEEEEvT0_T1_jPSH_T2_SH_: ; @_ZN7rocprim17ROCPRIM_304000_NS6detail45device_block_merge_mergepath_partition_kernelINS1_37wrapped_merge_sort_block_merge_configINS0_14default_configElN2at4cuda3cub6detail10OpaqueTypeILi8EEEEEPljNS1_19radix_merge_compareILb0ELb0ElNS0_19identity_decomposerEEEEEvT0_T1_jPSH_T2_SH_
; %bb.0:
	s_load_dwordx2 s[0:1], s[4:5], 0x8
	v_lshl_or_b32 v0, s6, 7, v0
	s_waitcnt lgkmcnt(0)
	v_cmp_gt_u32_e32 vcc, s1, v0
	s_and_saveexec_b64 s[2:3], vcc
	s_cbranch_execz .LBB113_6
; %bb.1:
	s_load_dword s1, s[4:5], 0x1c
	s_waitcnt lgkmcnt(0)
	s_lshr_b32 s2, s1, 9
	s_and_b32 s2, s2, 0x7ffffe
	s_add_i32 s3, s2, -1
	s_sub_i32 s2, 0, s2
	v_and_b32_e32 v1, s2, v0
	v_lshlrev_b32_e32 v3, 10, v1
	v_min_u32_e32 v1, s0, v3
	v_add_u32_e32 v3, s1, v3
	v_min_u32_e32 v3, s0, v3
	v_add_u32_e32 v4, s1, v3
	v_and_b32_e32 v2, s3, v0
	v_min_u32_e32 v4, s0, v4
	v_lshlrev_b32_e32 v2, 10, v2
	v_sub_u32_e32 v5, v4, v1
	v_min_u32_e32 v6, v5, v2
	v_sub_u32_e32 v2, v3, v1
	v_sub_u32_e32 v4, v4, v3
	v_sub_u32_e64 v5, v6, v4 clamp
	v_min_u32_e32 v7, v6, v2
	v_cmp_lt_u32_e32 vcc, v5, v7
	s_and_saveexec_b64 s[0:1], vcc
	s_cbranch_execz .LBB113_5
; %bb.2:
	s_load_dwordx2 s[2:3], s[4:5], 0x0
	v_mov_b32_e32 v4, 0
	v_mov_b32_e32 v2, v4
	v_lshlrev_b64 v[8:9], 3, v[1:2]
	s_waitcnt lgkmcnt(0)
	v_mov_b32_e32 v11, s3
	v_add_co_u32_e32 v2, vcc, s2, v8
	v_addc_co_u32_e32 v8, vcc, v11, v9, vcc
	v_lshlrev_b64 v[9:10], 3, v[3:4]
	v_add_co_u32_e32 v9, vcc, s2, v9
	v_addc_co_u32_e32 v10, vcc, v11, v10, vcc
	s_mov_b64 s[2:3], 0
.LBB113_3:                              ; =>This Inner Loop Header: Depth=1
	v_add_u32_e32 v3, v7, v5
	v_lshrrev_b32_e32 v3, 1, v3
	v_lshlrev_b64 v[13:14], 3, v[3:4]
	v_mov_b32_e32 v12, v4
	v_xad_u32 v11, v3, -1, v6
	v_lshlrev_b64 v[11:12], 3, v[11:12]
	v_add_co_u32_e32 v13, vcc, v2, v13
	v_addc_co_u32_e32 v14, vcc, v8, v14, vcc
	v_add_co_u32_e32 v11, vcc, v9, v11
	v_addc_co_u32_e32 v12, vcc, v10, v12, vcc
	global_load_dwordx2 v[15:16], v[13:14], off
	global_load_dwordx2 v[17:18], v[11:12], off
	v_add_u32_e32 v11, 1, v3
	s_waitcnt vmcnt(0)
	v_cmp_gt_i64_e32 vcc, v[15:16], v[17:18]
	v_cndmask_b32_e32 v7, v7, v3, vcc
	v_cndmask_b32_e32 v5, v11, v5, vcc
	v_cmp_ge_u32_e32 vcc, v5, v7
	s_or_b64 s[2:3], vcc, s[2:3]
	s_andn2_b64 exec, exec, s[2:3]
	s_cbranch_execnz .LBB113_3
; %bb.4:
	s_or_b64 exec, exec, s[2:3]
.LBB113_5:
	s_or_b64 exec, exec, s[0:1]
	s_load_dwordx2 s[0:1], s[4:5], 0x10
	v_add_u32_e32 v2, v5, v1
	v_mov_b32_e32 v1, 0
	v_lshlrev_b64 v[0:1], 2, v[0:1]
	s_waitcnt lgkmcnt(0)
	v_mov_b32_e32 v3, s1
	v_add_co_u32_e32 v0, vcc, s0, v0
	v_addc_co_u32_e32 v1, vcc, v3, v1, vcc
	global_store_dword v[0:1], v2, off
.LBB113_6:
	s_endpgm
	.section	.rodata,"a",@progbits
	.p2align	6, 0x0
	.amdhsa_kernel _ZN7rocprim17ROCPRIM_304000_NS6detail45device_block_merge_mergepath_partition_kernelINS1_37wrapped_merge_sort_block_merge_configINS0_14default_configElN2at4cuda3cub6detail10OpaqueTypeILi8EEEEEPljNS1_19radix_merge_compareILb0ELb0ElNS0_19identity_decomposerEEEEEvT0_T1_jPSH_T2_SH_
		.amdhsa_group_segment_fixed_size 0
		.amdhsa_private_segment_fixed_size 0
		.amdhsa_kernarg_size 32
		.amdhsa_user_sgpr_count 6
		.amdhsa_user_sgpr_private_segment_buffer 1
		.amdhsa_user_sgpr_dispatch_ptr 0
		.amdhsa_user_sgpr_queue_ptr 0
		.amdhsa_user_sgpr_kernarg_segment_ptr 1
		.amdhsa_user_sgpr_dispatch_id 0
		.amdhsa_user_sgpr_flat_scratch_init 0
		.amdhsa_user_sgpr_private_segment_size 0
		.amdhsa_uses_dynamic_stack 0
		.amdhsa_system_sgpr_private_segment_wavefront_offset 0
		.amdhsa_system_sgpr_workgroup_id_x 1
		.amdhsa_system_sgpr_workgroup_id_y 0
		.amdhsa_system_sgpr_workgroup_id_z 0
		.amdhsa_system_sgpr_workgroup_info 0
		.amdhsa_system_vgpr_workitem_id 0
		.amdhsa_next_free_vgpr 19
		.amdhsa_next_free_sgpr 7
		.amdhsa_reserve_vcc 1
		.amdhsa_reserve_flat_scratch 0
		.amdhsa_float_round_mode_32 0
		.amdhsa_float_round_mode_16_64 0
		.amdhsa_float_denorm_mode_32 3
		.amdhsa_float_denorm_mode_16_64 3
		.amdhsa_dx10_clamp 1
		.amdhsa_ieee_mode 1
		.amdhsa_fp16_overflow 0
		.amdhsa_exception_fp_ieee_invalid_op 0
		.amdhsa_exception_fp_denorm_src 0
		.amdhsa_exception_fp_ieee_div_zero 0
		.amdhsa_exception_fp_ieee_overflow 0
		.amdhsa_exception_fp_ieee_underflow 0
		.amdhsa_exception_fp_ieee_inexact 0
		.amdhsa_exception_int_div_zero 0
	.end_amdhsa_kernel
	.section	.text._ZN7rocprim17ROCPRIM_304000_NS6detail45device_block_merge_mergepath_partition_kernelINS1_37wrapped_merge_sort_block_merge_configINS0_14default_configElN2at4cuda3cub6detail10OpaqueTypeILi8EEEEEPljNS1_19radix_merge_compareILb0ELb0ElNS0_19identity_decomposerEEEEEvT0_T1_jPSH_T2_SH_,"axG",@progbits,_ZN7rocprim17ROCPRIM_304000_NS6detail45device_block_merge_mergepath_partition_kernelINS1_37wrapped_merge_sort_block_merge_configINS0_14default_configElN2at4cuda3cub6detail10OpaqueTypeILi8EEEEEPljNS1_19radix_merge_compareILb0ELb0ElNS0_19identity_decomposerEEEEEvT0_T1_jPSH_T2_SH_,comdat
.Lfunc_end113:
	.size	_ZN7rocprim17ROCPRIM_304000_NS6detail45device_block_merge_mergepath_partition_kernelINS1_37wrapped_merge_sort_block_merge_configINS0_14default_configElN2at4cuda3cub6detail10OpaqueTypeILi8EEEEEPljNS1_19radix_merge_compareILb0ELb0ElNS0_19identity_decomposerEEEEEvT0_T1_jPSH_T2_SH_, .Lfunc_end113-_ZN7rocprim17ROCPRIM_304000_NS6detail45device_block_merge_mergepath_partition_kernelINS1_37wrapped_merge_sort_block_merge_configINS0_14default_configElN2at4cuda3cub6detail10OpaqueTypeILi8EEEEEPljNS1_19radix_merge_compareILb0ELb0ElNS0_19identity_decomposerEEEEEvT0_T1_jPSH_T2_SH_
                                        ; -- End function
	.set _ZN7rocprim17ROCPRIM_304000_NS6detail45device_block_merge_mergepath_partition_kernelINS1_37wrapped_merge_sort_block_merge_configINS0_14default_configElN2at4cuda3cub6detail10OpaqueTypeILi8EEEEEPljNS1_19radix_merge_compareILb0ELb0ElNS0_19identity_decomposerEEEEEvT0_T1_jPSH_T2_SH_.num_vgpr, 19
	.set _ZN7rocprim17ROCPRIM_304000_NS6detail45device_block_merge_mergepath_partition_kernelINS1_37wrapped_merge_sort_block_merge_configINS0_14default_configElN2at4cuda3cub6detail10OpaqueTypeILi8EEEEEPljNS1_19radix_merge_compareILb0ELb0ElNS0_19identity_decomposerEEEEEvT0_T1_jPSH_T2_SH_.num_agpr, 0
	.set _ZN7rocprim17ROCPRIM_304000_NS6detail45device_block_merge_mergepath_partition_kernelINS1_37wrapped_merge_sort_block_merge_configINS0_14default_configElN2at4cuda3cub6detail10OpaqueTypeILi8EEEEEPljNS1_19radix_merge_compareILb0ELb0ElNS0_19identity_decomposerEEEEEvT0_T1_jPSH_T2_SH_.numbered_sgpr, 7
	.set _ZN7rocprim17ROCPRIM_304000_NS6detail45device_block_merge_mergepath_partition_kernelINS1_37wrapped_merge_sort_block_merge_configINS0_14default_configElN2at4cuda3cub6detail10OpaqueTypeILi8EEEEEPljNS1_19radix_merge_compareILb0ELb0ElNS0_19identity_decomposerEEEEEvT0_T1_jPSH_T2_SH_.num_named_barrier, 0
	.set _ZN7rocprim17ROCPRIM_304000_NS6detail45device_block_merge_mergepath_partition_kernelINS1_37wrapped_merge_sort_block_merge_configINS0_14default_configElN2at4cuda3cub6detail10OpaqueTypeILi8EEEEEPljNS1_19radix_merge_compareILb0ELb0ElNS0_19identity_decomposerEEEEEvT0_T1_jPSH_T2_SH_.private_seg_size, 0
	.set _ZN7rocprim17ROCPRIM_304000_NS6detail45device_block_merge_mergepath_partition_kernelINS1_37wrapped_merge_sort_block_merge_configINS0_14default_configElN2at4cuda3cub6detail10OpaqueTypeILi8EEEEEPljNS1_19radix_merge_compareILb0ELb0ElNS0_19identity_decomposerEEEEEvT0_T1_jPSH_T2_SH_.uses_vcc, 1
	.set _ZN7rocprim17ROCPRIM_304000_NS6detail45device_block_merge_mergepath_partition_kernelINS1_37wrapped_merge_sort_block_merge_configINS0_14default_configElN2at4cuda3cub6detail10OpaqueTypeILi8EEEEEPljNS1_19radix_merge_compareILb0ELb0ElNS0_19identity_decomposerEEEEEvT0_T1_jPSH_T2_SH_.uses_flat_scratch, 0
	.set _ZN7rocprim17ROCPRIM_304000_NS6detail45device_block_merge_mergepath_partition_kernelINS1_37wrapped_merge_sort_block_merge_configINS0_14default_configElN2at4cuda3cub6detail10OpaqueTypeILi8EEEEEPljNS1_19radix_merge_compareILb0ELb0ElNS0_19identity_decomposerEEEEEvT0_T1_jPSH_T2_SH_.has_dyn_sized_stack, 0
	.set _ZN7rocprim17ROCPRIM_304000_NS6detail45device_block_merge_mergepath_partition_kernelINS1_37wrapped_merge_sort_block_merge_configINS0_14default_configElN2at4cuda3cub6detail10OpaqueTypeILi8EEEEEPljNS1_19radix_merge_compareILb0ELb0ElNS0_19identity_decomposerEEEEEvT0_T1_jPSH_T2_SH_.has_recursion, 0
	.set _ZN7rocprim17ROCPRIM_304000_NS6detail45device_block_merge_mergepath_partition_kernelINS1_37wrapped_merge_sort_block_merge_configINS0_14default_configElN2at4cuda3cub6detail10OpaqueTypeILi8EEEEEPljNS1_19radix_merge_compareILb0ELb0ElNS0_19identity_decomposerEEEEEvT0_T1_jPSH_T2_SH_.has_indirect_call, 0
	.section	.AMDGPU.csdata,"",@progbits
; Kernel info:
; codeLenInByte = 364
; TotalNumSgprs: 11
; NumVgprs: 19
; ScratchSize: 0
; MemoryBound: 0
; FloatMode: 240
; IeeeMode: 1
; LDSByteSize: 0 bytes/workgroup (compile time only)
; SGPRBlocks: 1
; VGPRBlocks: 4
; NumSGPRsForWavesPerEU: 11
; NumVGPRsForWavesPerEU: 19
; Occupancy: 10
; WaveLimiterHint : 0
; COMPUTE_PGM_RSRC2:SCRATCH_EN: 0
; COMPUTE_PGM_RSRC2:USER_SGPR: 6
; COMPUTE_PGM_RSRC2:TRAP_HANDLER: 0
; COMPUTE_PGM_RSRC2:TGID_X_EN: 1
; COMPUTE_PGM_RSRC2:TGID_Y_EN: 0
; COMPUTE_PGM_RSRC2:TGID_Z_EN: 0
; COMPUTE_PGM_RSRC2:TIDIG_COMP_CNT: 0
	.section	.text._ZN7rocprim17ROCPRIM_304000_NS6detail35device_block_merge_mergepath_kernelINS1_37wrapped_merge_sort_block_merge_configINS0_14default_configElN2at4cuda3cub6detail10OpaqueTypeILi8EEEEEPlSC_PSA_SD_jNS1_19radix_merge_compareILb0ELb0ElNS0_19identity_decomposerEEEEEvT0_T1_T2_T3_T4_SL_jT5_PKSL_NS1_7vsmem_tE,"axG",@progbits,_ZN7rocprim17ROCPRIM_304000_NS6detail35device_block_merge_mergepath_kernelINS1_37wrapped_merge_sort_block_merge_configINS0_14default_configElN2at4cuda3cub6detail10OpaqueTypeILi8EEEEEPlSC_PSA_SD_jNS1_19radix_merge_compareILb0ELb0ElNS0_19identity_decomposerEEEEEvT0_T1_T2_T3_T4_SL_jT5_PKSL_NS1_7vsmem_tE,comdat
	.protected	_ZN7rocprim17ROCPRIM_304000_NS6detail35device_block_merge_mergepath_kernelINS1_37wrapped_merge_sort_block_merge_configINS0_14default_configElN2at4cuda3cub6detail10OpaqueTypeILi8EEEEEPlSC_PSA_SD_jNS1_19radix_merge_compareILb0ELb0ElNS0_19identity_decomposerEEEEEvT0_T1_T2_T3_T4_SL_jT5_PKSL_NS1_7vsmem_tE ; -- Begin function _ZN7rocprim17ROCPRIM_304000_NS6detail35device_block_merge_mergepath_kernelINS1_37wrapped_merge_sort_block_merge_configINS0_14default_configElN2at4cuda3cub6detail10OpaqueTypeILi8EEEEEPlSC_PSA_SD_jNS1_19radix_merge_compareILb0ELb0ElNS0_19identity_decomposerEEEEEvT0_T1_T2_T3_T4_SL_jT5_PKSL_NS1_7vsmem_tE
	.globl	_ZN7rocprim17ROCPRIM_304000_NS6detail35device_block_merge_mergepath_kernelINS1_37wrapped_merge_sort_block_merge_configINS0_14default_configElN2at4cuda3cub6detail10OpaqueTypeILi8EEEEEPlSC_PSA_SD_jNS1_19radix_merge_compareILb0ELb0ElNS0_19identity_decomposerEEEEEvT0_T1_T2_T3_T4_SL_jT5_PKSL_NS1_7vsmem_tE
	.p2align	8
	.type	_ZN7rocprim17ROCPRIM_304000_NS6detail35device_block_merge_mergepath_kernelINS1_37wrapped_merge_sort_block_merge_configINS0_14default_configElN2at4cuda3cub6detail10OpaqueTypeILi8EEEEEPlSC_PSA_SD_jNS1_19radix_merge_compareILb0ELb0ElNS0_19identity_decomposerEEEEEvT0_T1_T2_T3_T4_SL_jT5_PKSL_NS1_7vsmem_tE,@function
_ZN7rocprim17ROCPRIM_304000_NS6detail35device_block_merge_mergepath_kernelINS1_37wrapped_merge_sort_block_merge_configINS0_14default_configElN2at4cuda3cub6detail10OpaqueTypeILi8EEEEEPlSC_PSA_SD_jNS1_19radix_merge_compareILb0ELb0ElNS0_19identity_decomposerEEEEEvT0_T1_T2_T3_T4_SL_jT5_PKSL_NS1_7vsmem_tE: ; @_ZN7rocprim17ROCPRIM_304000_NS6detail35device_block_merge_mergepath_kernelINS1_37wrapped_merge_sort_block_merge_configINS0_14default_configElN2at4cuda3cub6detail10OpaqueTypeILi8EEEEEPlSC_PSA_SD_jNS1_19radix_merge_compareILb0ELb0ElNS0_19identity_decomposerEEEEEvT0_T1_T2_T3_T4_SL_jT5_PKSL_NS1_7vsmem_tE
; %bb.0:
	s_load_dwordx2 s[30:31], s[4:5], 0x40
	s_load_dwordx4 s[16:19], s[4:5], 0x20
	s_add_u32 s2, s4, 64
	s_addc_u32 s3, s5, 0
	s_waitcnt lgkmcnt(0)
	s_mul_i32 s0, s31, s8
	s_add_i32 s0, s0, s7
	s_mul_i32 s0, s0, s30
	s_add_i32 s0, s0, s6
	s_cmp_ge_u32 s0, s18
	s_cbranch_scc1 .LBB114_103
; %bb.1:
	s_load_dwordx8 s[8:15], s[4:5], 0x0
	s_load_dwordx2 s[18:19], s[4:5], 0x30
	s_lshr_b32 s31, s16, 10
	s_cmp_lg_u32 s0, s31
	s_mov_b32 s1, 0
	s_cselect_b64 s[20:21], -1, 0
	s_lshl_b64 s[4:5], s[0:1], 2
	s_waitcnt lgkmcnt(0)
	s_add_u32 s4, s18, s4
	s_addc_u32 s5, s19, s5
	s_load_dwordx2 s[22:23], s[4:5], 0x0
	s_lshr_b32 s4, s17, 9
	s_and_b32 s4, s4, 0x7ffffe
	s_sub_i32 s4, 0, s4
	s_and_b32 s5, s0, s4
	s_lshl_b32 s7, s5, 10
	s_lshl_b32 s18, s0, 10
	;; [unrolled: 1-line block ×3, first 2 shown]
	s_sub_i32 s19, s18, s7
	s_add_i32 s5, s5, s17
	s_add_i32 s19, s5, s19
	s_waitcnt lgkmcnt(0)
	s_sub_i32 s24, s19, s22
	s_sub_i32 s19, s19, s23
	;; [unrolled: 1-line block ×3, first 2 shown]
	s_min_u32 s24, s16, s24
	s_addk_i32 s19, 0x400
	s_or_b32 s4, s0, s4
	s_min_u32 s7, s16, s5
	s_add_i32 s5, s5, s17
	s_cmp_eq_u32 s4, -1
	s_cselect_b32 s4, s5, s19
	s_cselect_b32 s5, s7, s23
	s_min_u32 s4, s4, s16
	s_mov_b32 s23, s1
	s_sub_i32 s19, s5, s22
	s_sub_i32 s33, s4, s24
	s_lshl_b64 s[26:27], s[22:23], 3
	s_add_u32 s5, s8, s26
	s_mov_b32 s25, s1
	s_addc_u32 s7, s9, s27
	s_lshl_b64 s[28:29], s[24:25], 3
	s_add_u32 s4, s8, s28
	v_mov_b32_e32 v19, 0
	global_load_dword v1, v19, s[2:3] offset:14
	s_addc_u32 s8, s9, s29
	s_cmp_lt_u32 s6, s30
	s_cselect_b32 s1, 12, 18
	s_add_u32 s2, s2, s1
	s_addc_u32 s3, s3, 0
	global_load_ushort v2, v19, s[2:3]
	s_cmp_eq_u32 s0, s31
	v_cmp_gt_u32_e32 vcc, s19, v0
	v_lshlrev_b32_e32 v21, 3, v0
	s_waitcnt vmcnt(1)
	v_lshrrev_b32_e32 v3, 16, v1
	v_and_b32_e32 v1, 0xffff, v1
	v_mul_lo_u32 v1, v1, v3
	s_waitcnt vmcnt(0)
	v_mul_lo_u32 v20, v1, v2
	v_add_u32_e32 v18, v20, v0
	s_cbranch_scc1 .LBB114_3
; %bb.2:
	v_mov_b32_e32 v1, s7
	v_add_co_u32_e64 v3, s[0:1], s5, v21
	v_subrev_u32_e32 v2, s19, v0
	v_addc_co_u32_e64 v1, s[0:1], 0, v1, s[0:1]
	v_lshlrev_b32_e32 v2, 3, v2
	v_mov_b32_e32 v4, s8
	v_add_co_u32_e64 v5, s[0:1], s4, v2
	v_addc_co_u32_e64 v2, s[0:1], 0, v4, s[0:1]
	v_cndmask_b32_e32 v2, v2, v1, vcc
	v_cndmask_b32_e32 v1, v5, v3, vcc
	v_lshlrev_b64 v[3:4], 3, v[18:19]
	v_mov_b32_e32 v5, s7
	v_add_co_u32_e32 v6, vcc, s5, v3
	v_addc_co_u32_e32 v5, vcc, v5, v4, vcc
	v_subrev_co_u32_e32 v3, vcc, s19, v18
	v_mov_b32_e32 v4, v19
	v_lshlrev_b64 v[3:4], 3, v[3:4]
	v_mov_b32_e32 v7, s8
	v_add_co_u32_e64 v3, s[0:1], s4, v3
	v_addc_co_u32_e64 v4, s[0:1], v7, v4, s[0:1]
	v_add_u32_e32 v7, v18, v20
	v_mov_b32_e32 v8, v19
	v_cndmask_b32_e32 v4, v4, v5, vcc
	v_cndmask_b32_e32 v3, v3, v6, vcc
	v_lshlrev_b64 v[5:6], 3, v[7:8]
	v_mov_b32_e32 v8, s7
	v_add_co_u32_e32 v9, vcc, s5, v5
	v_addc_co_u32_e32 v8, vcc, v8, v6, vcc
	v_subrev_co_u32_e32 v5, vcc, s19, v7
	v_mov_b32_e32 v6, v19
	v_lshlrev_b64 v[5:6], 3, v[5:6]
	v_mov_b32_e32 v10, s8
	v_add_co_u32_e64 v5, s[0:1], s4, v5
	v_addc_co_u32_e64 v6, s[0:1], v10, v6, s[0:1]
	v_cndmask_b32_e32 v5, v5, v9, vcc
	v_add_u32_e32 v9, v7, v20
	v_mov_b32_e32 v10, v19
	v_cndmask_b32_e32 v6, v6, v8, vcc
	v_lshlrev_b64 v[7:8], 3, v[9:10]
	v_mov_b32_e32 v10, s7
	v_add_co_u32_e32 v11, vcc, s5, v7
	v_addc_co_u32_e32 v10, vcc, v10, v8, vcc
	v_subrev_co_u32_e32 v7, vcc, s19, v9
	v_mov_b32_e32 v8, v19
	v_lshlrev_b64 v[7:8], 3, v[7:8]
	v_mov_b32_e32 v12, s8
	v_add_co_u32_e64 v7, s[0:1], s4, v7
	v_addc_co_u32_e64 v8, s[0:1], v12, v8, s[0:1]
	v_cndmask_b32_e32 v7, v7, v11, vcc
	v_add_u32_e32 v11, v9, v20
	v_mov_b32_e32 v12, v19
	;; [unrolled: 14-line block ×5, first 2 shown]
	v_cndmask_b32_e32 v13, v13, v17, vcc
	v_lshlrev_b64 v[16:17], 3, v[15:16]
	v_mov_b32_e32 v22, s7
	v_add_co_u32_e32 v23, vcc, s5, v16
	v_addc_co_u32_e32 v17, vcc, v22, v17, vcc
	v_subrev_co_u32_e32 v15, vcc, s19, v15
	v_mov_b32_e32 v16, v19
	v_lshlrev_b64 v[15:16], 3, v[15:16]
	v_mov_b32_e32 v19, s8
	v_add_co_u32_e64 v15, s[0:1], s4, v15
	v_addc_co_u32_e64 v16, s[0:1], v19, v16, s[0:1]
	v_cndmask_b32_e32 v16, v16, v17, vcc
	v_cndmask_b32_e32 v15, v15, v23, vcc
	global_load_dwordx2 v[1:2], v[1:2], off
	s_add_i32 s17, s33, s19
	global_load_dwordx2 v[3:4], v[3:4], off
	s_nop 0
	global_load_dwordx2 v[5:6], v[5:6], off
	s_nop 0
	;; [unrolled: 2-line block ×6, first 2 shown]
	global_load_dwordx2 v[15:16], v[15:16], off
	s_cbranch_execz .LBB114_4
	s_branch .LBB114_21
.LBB114_3:
                                        ; implicit-def: $vgpr1_vgpr2_vgpr3_vgpr4_vgpr5_vgpr6_vgpr7_vgpr8_vgpr9_vgpr10_vgpr11_vgpr12_vgpr13_vgpr14_vgpr15_vgpr16
                                        ; implicit-def: $sgpr17
.LBB114_4:
	s_add_i32 s17, s33, s19
	s_waitcnt vmcnt(7)
	v_mov_b32_e32 v1, 0
	v_cmp_gt_u32_e32 vcc, s17, v0
	v_mov_b32_e32 v2, v1
	s_waitcnt vmcnt(6)
	v_mov_b32_e32 v3, v1
	v_mov_b32_e32 v4, v1
	s_waitcnt vmcnt(5)
	v_mov_b32_e32 v5, v1
	;; [unrolled: 3-line block ×7, first 2 shown]
	v_mov_b32_e32 v16, v1
	s_and_saveexec_b64 s[0:1], vcc
	s_cbranch_execz .LBB114_6
; %bb.5:
	v_mov_b32_e32 v2, s7
	v_add_co_u32_e32 v4, vcc, s5, v21
	v_subrev_u32_e32 v3, s19, v0
	v_addc_co_u32_e32 v2, vcc, 0, v2, vcc
	v_lshlrev_b32_e32 v3, 3, v3
	v_mov_b32_e32 v5, s8
	v_add_co_u32_e32 v6, vcc, s4, v3
	v_addc_co_u32_e32 v3, vcc, 0, v5, vcc
	v_cmp_gt_u32_e32 vcc, s19, v0
	v_cndmask_b32_e32 v3, v3, v2, vcc
	v_cndmask_b32_e32 v2, v6, v4, vcc
	global_load_dwordx2 v[2:3], v[2:3], off
	v_mov_b32_e32 v4, v1
	v_mov_b32_e32 v5, v1
	;; [unrolled: 1-line block ×14, first 2 shown]
	s_waitcnt vmcnt(0)
	v_mov_b32_e32 v1, v2
	v_mov_b32_e32 v2, v3
	v_mov_b32_e32 v3, v4
	v_mov_b32_e32 v4, v5
	v_mov_b32_e32 v5, v6
	v_mov_b32_e32 v6, v7
	v_mov_b32_e32 v7, v8
	v_mov_b32_e32 v8, v9
	v_mov_b32_e32 v9, v10
	v_mov_b32_e32 v10, v11
	v_mov_b32_e32 v11, v12
	v_mov_b32_e32 v12, v13
	v_mov_b32_e32 v13, v14
	v_mov_b32_e32 v14, v15
	v_mov_b32_e32 v15, v16
	v_mov_b32_e32 v16, v17
.LBB114_6:
	s_or_b64 exec, exec, s[0:1]
	v_cmp_gt_u32_e32 vcc, s17, v18
	s_and_saveexec_b64 s[2:3], vcc
	s_cbranch_execz .LBB114_8
; %bb.7:
	v_mov_b32_e32 v19, 0
	v_lshlrev_b64 v[3:4], 3, v[18:19]
	v_mov_b32_e32 v17, s7
	v_add_co_u32_e32 v22, vcc, s5, v3
	v_addc_co_u32_e32 v17, vcc, v17, v4, vcc
	v_subrev_co_u32_e32 v3, vcc, s19, v18
	v_mov_b32_e32 v4, v19
	v_lshlrev_b64 v[3:4], 3, v[3:4]
	v_mov_b32_e32 v19, s8
	v_add_co_u32_e64 v3, s[0:1], s4, v3
	v_addc_co_u32_e64 v4, s[0:1], v19, v4, s[0:1]
	v_cndmask_b32_e32 v4, v4, v17, vcc
	v_cndmask_b32_e32 v3, v3, v22, vcc
	global_load_dwordx2 v[3:4], v[3:4], off
.LBB114_8:
	s_or_b64 exec, exec, s[2:3]
	v_add_u32_e32 v17, v18, v20
	v_cmp_gt_u32_e32 vcc, s17, v17
	s_and_saveexec_b64 s[2:3], vcc
	s_cbranch_execz .LBB114_10
; %bb.9:
	v_mov_b32_e32 v18, 0
	v_lshlrev_b64 v[5:6], 3, v[17:18]
	v_mov_b32_e32 v19, s7
	v_add_co_u32_e32 v22, vcc, s5, v5
	v_addc_co_u32_e32 v19, vcc, v19, v6, vcc
	v_subrev_co_u32_e32 v5, vcc, s19, v17
	v_mov_b32_e32 v6, v18
	v_lshlrev_b64 v[5:6], 3, v[5:6]
	v_mov_b32_e32 v18, s8
	v_add_co_u32_e64 v5, s[0:1], s4, v5
	v_addc_co_u32_e64 v6, s[0:1], v18, v6, s[0:1]
	v_cndmask_b32_e32 v6, v6, v19, vcc
	v_cndmask_b32_e32 v5, v5, v22, vcc
	global_load_dwordx2 v[5:6], v[5:6], off
.LBB114_10:
	s_or_b64 exec, exec, s[2:3]
	v_add_u32_e32 v17, v17, v20
	;; [unrolled: 21-line block ×6, first 2 shown]
	v_cmp_gt_u32_e32 vcc, s17, v17
	s_and_saveexec_b64 s[2:3], vcc
	s_cbranch_execz .LBB114_20
; %bb.19:
	v_mov_b32_e32 v18, 0
	v_lshlrev_b64 v[15:16], 3, v[17:18]
	v_mov_b32_e32 v19, s7
	v_add_co_u32_e32 v20, vcc, s5, v15
	v_addc_co_u32_e32 v19, vcc, v19, v16, vcc
	v_subrev_co_u32_e32 v17, vcc, s19, v17
	v_lshlrev_b64 v[15:16], 3, v[17:18]
	v_mov_b32_e32 v17, s8
	v_add_co_u32_e64 v15, s[0:1], s4, v15
	v_addc_co_u32_e64 v16, s[0:1], v17, v16, s[0:1]
	v_cndmask_b32_e32 v16, v16, v19, vcc
	v_cndmask_b32_e32 v15, v15, v20, vcc
	global_load_dwordx2 v[15:16], v[15:16], off
.LBB114_20:
	s_or_b64 exec, exec, s[2:3]
.LBB114_21:
	v_min_u32_e32 v18, s17, v21
	v_sub_u32_e64 v17, v18, s33 clamp
	v_min_u32_e32 v19, s19, v18
	v_cmp_lt_u32_e32 vcc, v17, v19
	s_waitcnt vmcnt(0)
	ds_write2st64_b64 v21, v[1:2], v[3:4] offset1:2
	ds_write2st64_b64 v21, v[5:6], v[7:8] offset0:4 offset1:6
	ds_write2st64_b64 v21, v[9:10], v[11:12] offset0:8 offset1:10
	;; [unrolled: 1-line block ×3, first 2 shown]
	s_waitcnt lgkmcnt(0)
	s_barrier
	s_and_saveexec_b64 s[0:1], vcc
	s_cbranch_execz .LBB114_25
; %bb.22:
	v_lshlrev_b32_e32 v20, 3, v18
	v_lshl_add_u32 v20, s19, 3, v20
	s_mov_b64 s[2:3], 0
.LBB114_23:                             ; =>This Inner Loop Header: Depth=1
	v_add_u32_e32 v22, v19, v17
	v_lshrrev_b32_e32 v26, 1, v22
	v_not_b32_e32 v22, v26
	v_lshlrev_b32_e32 v23, 3, v26
	v_lshl_add_u32 v24, v22, 3, v20
	ds_read_b64 v[22:23], v23
	ds_read_b64 v[24:25], v24
	v_add_u32_e32 v27, 1, v26
	s_waitcnt lgkmcnt(0)
	v_cmp_gt_i64_e32 vcc, v[22:23], v[24:25]
	v_cndmask_b32_e32 v19, v19, v26, vcc
	v_cndmask_b32_e32 v17, v27, v17, vcc
	v_cmp_ge_u32_e32 vcc, v17, v19
	s_or_b64 s[2:3], vcc, s[2:3]
	s_andn2_b64 exec, exec, s[2:3]
	s_cbranch_execnz .LBB114_23
; %bb.24:
	s_or_b64 exec, exec, s[2:3]
.LBB114_25:
	s_or_b64 exec, exec, s[0:1]
	v_sub_u32_e32 v18, v18, v17
	v_add_u32_e32 v18, s19, v18
	v_cmp_ge_u32_e32 vcc, s19, v17
	v_cmp_ge_u32_e64 s[0:1], s17, v18
	s_or_b64 s[0:1], vcc, s[0:1]
	v_mov_b32_e32 v22, 0
	v_mov_b32_e32 v23, 0
	;; [unrolled: 1-line block ×8, first 2 shown]
	s_and_saveexec_b64 s[30:31], s[0:1]
	s_cbranch_execz .LBB114_31
; %bb.26:
	v_cmp_gt_u32_e32 vcc, s19, v17
                                        ; implicit-def: $vgpr1_vgpr2
	s_and_saveexec_b64 s[0:1], vcc
; %bb.27:
	v_lshlrev_b32_e32 v1, 3, v17
	ds_read_b64 v[1:2], v1
; %bb.28:
	s_or_b64 exec, exec, s[0:1]
	v_cmp_le_u32_e64 s[0:1], s17, v18
	v_cmp_gt_u32_e64 s[2:3], s17, v18
                                        ; implicit-def: $vgpr3_vgpr4
	s_and_saveexec_b64 s[4:5], s[2:3]
; %bb.29:
	v_lshlrev_b32_e32 v3, 3, v18
	ds_read_b64 v[3:4], v3
; %bb.30:
	s_or_b64 exec, exec, s[4:5]
	s_waitcnt lgkmcnt(0)
	v_cmp_le_i64_e64 s[2:3], v[1:2], v[3:4]
	v_mov_b32_e32 v26, s17
	s_and_b64 s[2:3], vcc, s[2:3]
	s_or_b64 vcc, s[0:1], s[2:3]
	v_mov_b32_e32 v34, s19
	v_cndmask_b32_e32 v22, v18, v17, vcc
	v_cndmask_b32_e32 v5, v26, v34, vcc
	v_add_u32_e32 v9, 1, v22
	v_add_u32_e32 v5, -1, v5
	v_min_u32_e32 v5, v9, v5
	v_lshlrev_b32_e32 v5, 3, v5
	ds_read_b64 v[5:6], v5
	v_cndmask_b32_e32 v14, v17, v9, vcc
	v_cndmask_b32_e32 v13, v9, v18, vcc
	v_cmp_gt_u32_e64 s[4:5], s19, v14
	v_cmp_le_u32_e64 s[0:1], s17, v13
	s_waitcnt lgkmcnt(0)
	v_cndmask_b32_e32 v8, v6, v4, vcc
	v_cndmask_b32_e32 v7, v5, v3, vcc
	;; [unrolled: 1-line block ×4, first 2 shown]
	v_cmp_le_i64_e64 s[2:3], v[5:6], v[7:8]
	v_cndmask_b32_e32 v2, v4, v2, vcc
	s_and_b64 s[2:3], s[4:5], s[2:3]
	s_or_b64 s[0:1], s[0:1], s[2:3]
	v_cndmask_b32_e64 v23, v13, v14, s[0:1]
	v_cndmask_b32_e64 v9, v26, v34, s[0:1]
	v_add_u32_e32 v15, 1, v23
	v_add_u32_e32 v9, -1, v9
	v_min_u32_e32 v9, v15, v9
	v_lshlrev_b32_e32 v9, 3, v9
	ds_read_b64 v[9:10], v9
	v_cndmask_b32_e64 v18, v14, v15, s[0:1]
	v_cndmask_b32_e64 v17, v15, v13, s[0:1]
	v_cmp_gt_u32_e64 s[6:7], s19, v18
	v_cmp_le_u32_e64 s[2:3], s17, v17
	s_waitcnt lgkmcnt(0)
	v_cndmask_b32_e64 v12, v10, v8, s[0:1]
	v_cndmask_b32_e64 v11, v9, v7, s[0:1]
	;; [unrolled: 1-line block ×4, first 2 shown]
	v_cmp_le_i64_e64 s[4:5], v[9:10], v[11:12]
	v_cndmask_b32_e32 v1, v3, v1, vcc
	s_and_b64 s[4:5], s[6:7], s[4:5]
	s_or_b64 s[2:3], s[2:3], s[4:5]
	v_cndmask_b32_e64 v24, v17, v18, s[2:3]
	v_cndmask_b32_e64 v13, v26, v34, s[2:3]
	v_add_u32_e32 v19, 1, v24
	v_add_u32_e32 v13, -1, v13
	v_min_u32_e32 v13, v19, v13
	v_lshlrev_b32_e32 v13, 3, v13
	ds_read_b64 v[13:14], v13
	v_cndmask_b32_e64 v28, v18, v19, s[2:3]
	v_cndmask_b32_e64 v27, v19, v17, s[2:3]
	v_cmp_gt_u32_e64 s[8:9], s19, v28
	v_cmp_le_u32_e64 s[4:5], s17, v27
	s_waitcnt lgkmcnt(0)
	v_cndmask_b32_e64 v16, v14, v12, s[2:3]
	v_cndmask_b32_e64 v15, v13, v11, s[2:3]
	;; [unrolled: 1-line block ×4, first 2 shown]
	v_cmp_le_i64_e64 s[6:7], v[13:14], v[15:16]
	v_cndmask_b32_e64 v4, v8, v6, s[0:1]
	s_and_b64 s[6:7], s[8:9], s[6:7]
	s_or_b64 s[4:5], s[4:5], s[6:7]
	v_cndmask_b32_e64 v25, v27, v28, s[4:5]
	v_cndmask_b32_e64 v17, v26, v34, s[4:5]
	v_add_u32_e32 v29, 1, v25
	v_add_u32_e32 v17, -1, v17
	v_min_u32_e32 v17, v29, v17
	v_lshlrev_b32_e32 v17, 3, v17
	ds_read_b64 v[17:18], v17
	v_cndmask_b32_e64 v33, v28, v29, s[4:5]
	v_cndmask_b32_e64 v32, v29, v27, s[4:5]
	v_cmp_gt_u32_e64 s[8:9], s19, v33
	v_cmp_le_u32_e32 vcc, s17, v32
	s_waitcnt lgkmcnt(0)
	v_cndmask_b32_e64 v20, v18, v16, s[4:5]
	v_cndmask_b32_e64 v19, v17, v15, s[4:5]
	;; [unrolled: 1-line block ×4, first 2 shown]
	v_cmp_le_i64_e64 s[6:7], v[17:18], v[19:20]
	v_cndmask_b32_e64 v6, v12, v10, s[2:3]
	s_and_b64 s[6:7], s[8:9], s[6:7]
	s_or_b64 vcc, vcc, s[6:7]
	v_cndmask_b32_e32 v27, v32, v33, vcc
	v_cndmask_b32_e32 v3, v26, v34, vcc
	v_add_u32_e32 v35, 1, v27
	v_add_u32_e32 v3, -1, v3
	v_min_u32_e32 v3, v35, v3
	v_lshlrev_b32_e32 v3, 3, v3
	ds_read_b64 v[28:29], v3
	v_cndmask_b32_e64 v3, v7, v5, s[0:1]
	v_cndmask_b32_e64 v5, v11, v9, s[2:3]
	v_cndmask_b32_e64 v8, v16, v14, s[4:5]
	v_cndmask_b32_e32 v10, v20, v18, vcc
	s_waitcnt lgkmcnt(0)
	v_cndmask_b32_e32 v12, v29, v20, vcc
	v_cndmask_b32_e32 v11, v28, v19, vcc
	;; [unrolled: 1-line block ×6, first 2 shown]
	v_cmp_le_i64_e64 s[2:3], v[30:31], v[11:12]
	v_cmp_gt_u32_e64 s[6:7], s19, v35
	v_cmp_le_u32_e64 s[0:1], s17, v29
	s_and_b64 s[2:3], s[6:7], s[2:3]
	s_or_b64 s[0:1], s[0:1], s[2:3]
	v_cndmask_b32_e64 v28, v29, v35, s[0:1]
	v_cndmask_b32_e64 v7, v26, v34, s[0:1]
	v_add_u32_e32 v36, 1, v28
	v_add_u32_e32 v7, -1, v7
	v_min_u32_e32 v7, v36, v7
	v_lshlrev_b32_e32 v7, 3, v7
	ds_read_b64 v[32:33], v7
	v_cndmask_b32_e64 v7, v15, v13, s[4:5]
	v_cndmask_b32_e32 v9, v19, v17, vcc
	s_waitcnt lgkmcnt(0)
	v_cndmask_b32_e64 v16, v33, v12, s[0:1]
	v_cndmask_b32_e64 v15, v32, v11, s[0:1]
	;; [unrolled: 1-line block ×5, first 2 shown]
	v_cmp_le_i64_e64 s[2:3], v[17:18], v[15:16]
	v_cndmask_b32_e64 v32, v36, v29, s[0:1]
	v_cmp_gt_u32_e64 s[4:5], s19, v33
	v_cmp_le_u32_e32 vcc, s17, v32
	s_and_b64 s[2:3], s[4:5], s[2:3]
	s_or_b64 vcc, vcc, s[2:3]
	v_cndmask_b32_e32 v29, v32, v33, vcc
	v_cndmask_b32_e32 v13, v26, v34, vcc
	v_add_u32_e32 v26, 1, v29
	v_add_u32_e32 v13, -1, v13
	v_min_u32_e32 v13, v26, v13
	v_lshlrev_b32_e32 v13, 3, v13
	ds_read_b64 v[19:20], v13
	v_cndmask_b32_e32 v14, v16, v18, vcc
	v_cndmask_b32_e32 v13, v15, v17, vcc
	v_cndmask_b32_e64 v12, v12, v31, s[0:1]
	v_cndmask_b32_e64 v11, v11, v30, s[0:1]
	s_waitcnt lgkmcnt(0)
	v_cndmask_b32_e32 v16, v20, v16, vcc
	v_cndmask_b32_e32 v15, v19, v15, vcc
	;; [unrolled: 1-line block ×5, first 2 shown]
	v_cmp_le_i64_e64 s[0:1], v[17:18], v[15:16]
	v_cndmask_b32_e32 v19, v26, v32, vcc
	v_cmp_gt_u32_e64 s[2:3], s19, v20
	v_cmp_le_u32_e32 vcc, s17, v19
	s_and_b64 s[0:1], s[2:3], s[0:1]
	s_or_b64 vcc, vcc, s[0:1]
	v_cndmask_b32_e32 v26, v19, v20, vcc
	v_cndmask_b32_e32 v16, v16, v18, vcc
	;; [unrolled: 1-line block ×3, first 2 shown]
.LBB114_31:
	s_or_b64 exec, exec, s[30:31]
	s_add_u32 s8, s12, s26
	s_addc_u32 s9, s13, s27
	s_add_u32 s6, s12, s28
	v_cndmask_b32_e64 v17, 0, 1, s[20:21]
	s_addc_u32 s7, s13, s29
	v_cmp_gt_u32_e64 s[4:5], s19, v0
	v_cmp_ne_u32_e64 s[0:1], 1, v17
	s_andn2_b64 vcc, exec, s[20:21]
	v_cmp_le_u32_e64 s[2:3], s19, v0
	s_barrier
	s_cbranch_vccnz .LBB114_33
; %bb.32:
	v_subrev_u32_e32 v17, s19, v0
	v_lshlrev_b32_e32 v17, 3, v17
	v_mov_b32_e32 v18, s7
	v_add_co_u32_e32 v17, vcc, s6, v17
	v_addc_co_u32_e32 v18, vcc, 0, v18, vcc
	v_mov_b32_e32 v19, s9
	v_add_co_u32_e32 v20, vcc, s8, v21
	v_addc_co_u32_e32 v19, vcc, 0, v19, vcc
	v_cndmask_b32_e64 v18, v18, v19, s[4:5]
	v_or_b32_e32 v19, 0x80, v0
	v_cndmask_b32_e64 v17, v17, v20, s[4:5]
	v_subrev_u32_e32 v20, s19, v19
	v_min_u32_e32 v20, v19, v20
	v_cmp_gt_u32_e32 vcc, s19, v19
	v_mov_b32_e32 v42, s6
	v_mov_b32_e32 v43, s8
	;; [unrolled: 1-line block ×4, first 2 shown]
	v_cndmask_b32_e32 v19, v42, v43, vcc
	v_lshlrev_b32_e32 v20, 3, v20
	v_cndmask_b32_e32 v30, v40, v41, vcc
	v_add_co_u32_e32 v19, vcc, v19, v20
	v_addc_co_u32_e32 v20, vcc, 0, v30, vcc
	v_or_b32_e32 v30, 0x100, v0
	v_subrev_u32_e32 v31, s19, v30
	v_min_u32_e32 v31, v30, v31
	v_cmp_gt_u32_e32 vcc, s19, v30
	v_cndmask_b32_e32 v30, v42, v43, vcc
	v_lshlrev_b32_e32 v31, 3, v31
	v_cndmask_b32_e32 v32, v40, v41, vcc
	v_add_co_u32_e32 v30, vcc, v30, v31
	v_addc_co_u32_e32 v31, vcc, 0, v32, vcc
	v_or_b32_e32 v32, 0x180, v0
	v_subrev_u32_e32 v33, s19, v32
	v_min_u32_e32 v33, v32, v33
	v_cmp_gt_u32_e32 vcc, s19, v32
	;; [unrolled: 9-line block ×5, first 2 shown]
	global_load_dwordx2 v[17:18], v[17:18], off
	v_cndmask_b32_e32 v38, v42, v43, vcc
	global_load_dwordx2 v[19:20], v[19:20], off
	v_lshlrev_b32_e32 v39, 3, v39
	global_load_dwordx2 v[30:31], v[30:31], off
	v_cndmask_b32_e32 v44, v40, v41, vcc
	global_load_dwordx2 v[32:33], v[32:33], off
	v_add_co_u32_e32 v38, vcc, v38, v39
	global_load_dwordx2 v[34:35], v[34:35], off
	v_addc_co_u32_e32 v39, vcc, 0, v44, vcc
	global_load_dwordx2 v[36:37], v[36:37], off
	s_nop 0
	global_load_dwordx2 v[38:39], v[38:39], off
	s_mov_b64 s[4:5], -1
	s_waitcnt vmcnt(5)
	ds_write2st64_b64 v21, v[17:18], v[19:20] offset1:2
	s_waitcnt vmcnt(3)
	ds_write2st64_b64 v21, v[30:31], v[32:33] offset0:4 offset1:6
	s_waitcnt vmcnt(1)
	ds_write2st64_b64 v21, v[34:35], v[36:37] offset0:8 offset1:10
	s_waitcnt vmcnt(0)
	ds_write_b64 v21, v[38:39] offset:6144
	v_or_b32_e32 v30, 0x380, v0
	v_subrev_u32_e32 v17, s19, v30
	v_cmp_gt_u32_e32 vcc, s19, v30
	v_min_u32_e32 v19, v30, v17
	v_cndmask_b32_e32 v18, v40, v41, vcc
	v_cndmask_b32_e32 v17, v42, v43, vcc
	s_cbranch_execz .LBB114_34
	s_branch .LBB114_65
.LBB114_33:
	s_mov_b64 s[4:5], 0
                                        ; implicit-def: $vgpr30
                                        ; implicit-def: $vgpr17_vgpr18
                                        ; implicit-def: $vgpr19
.LBB114_34:
	s_mov_b64 s[4:5], 0
                                        ; implicit-def: $vgpr17_vgpr18
	s_and_saveexec_b64 s[26:27], s[2:3]
	s_xor_b64 s[2:3], exec, s[26:27]
	s_cbranch_execnz .LBB114_104
; %bb.35:
	s_andn2_saveexec_b64 s[2:3], s[2:3]
	s_cbranch_execnz .LBB114_107
.LBB114_36:
	s_or_b64 exec, exec, s[2:3]
	s_and_saveexec_b64 s[2:3], s[4:5]
	s_cbranch_execz .LBB114_38
.LBB114_37:
	global_load_dwordx2 v[17:18], v[17:18], off
	s_waitcnt vmcnt(0)
	ds_write_b64 v21, v[17:18]
.LBB114_38:
	s_or_b64 exec, exec, s[2:3]
	v_or_b32_e32 v19, 0x80, v0
	v_mov_b32_e32 v17, s22
	v_cmp_le_u32_e32 vcc, s19, v19
	s_mov_b64 s[2:3], -1
	v_mov_b32_e32 v18, s23
	s_and_saveexec_b64 s[4:5], vcc
; %bb.39:
	v_subrev_u32_e32 v19, s19, v19
	v_cmp_gt_u32_e32 vcc, s33, v19
	v_mov_b32_e32 v17, s24
	v_mov_b32_e32 v18, s25
	s_orn2_b64 s[2:3], vcc, exec
; %bb.40:
	s_or_b64 exec, exec, s[4:5]
	s_and_saveexec_b64 s[4:5], s[2:3]
	s_cbranch_execz .LBB114_42
; %bb.41:
	v_lshlrev_b64 v[17:18], 3, v[17:18]
	v_mov_b32_e32 v20, s13
	v_add_co_u32_e32 v17, vcc, s12, v17
	v_addc_co_u32_e32 v18, vcc, v20, v18, vcc
	v_lshlrev_b32_e32 v19, 3, v19
	v_add_co_u32_e32 v17, vcc, v17, v19
	v_addc_co_u32_e32 v18, vcc, 0, v18, vcc
	global_load_dwordx2 v[17:18], v[17:18], off
	s_waitcnt vmcnt(0)
	ds_write_b64 v21, v[17:18] offset:1024
.LBB114_42:
	s_or_b64 exec, exec, s[4:5]
	v_or_b32_e32 v19, 0x100, v0
	v_mov_b32_e32 v17, s22
	v_cmp_le_u32_e32 vcc, s19, v19
	s_mov_b64 s[2:3], -1
	v_mov_b32_e32 v18, s23
	s_and_saveexec_b64 s[4:5], vcc
; %bb.43:
	v_subrev_u32_e32 v19, s19, v19
	v_cmp_gt_u32_e32 vcc, s33, v19
	v_mov_b32_e32 v17, s24
	v_mov_b32_e32 v18, s25
	s_orn2_b64 s[2:3], vcc, exec
; %bb.44:
	s_or_b64 exec, exec, s[4:5]
	s_and_saveexec_b64 s[4:5], s[2:3]
	s_cbranch_execz .LBB114_46
; %bb.45:
	v_lshlrev_b64 v[17:18], 3, v[17:18]
	v_mov_b32_e32 v20, s13
	v_add_co_u32_e32 v17, vcc, s12, v17
	v_addc_co_u32_e32 v18, vcc, v20, v18, vcc
	v_lshlrev_b32_e32 v19, 3, v19
	v_add_co_u32_e32 v17, vcc, v17, v19
	v_addc_co_u32_e32 v18, vcc, 0, v18, vcc
	global_load_dwordx2 v[17:18], v[17:18], off
	s_waitcnt vmcnt(0)
	ds_write_b64 v21, v[17:18] offset:2048
.LBB114_46:
	;; [unrolled: 29-line block ×6, first 2 shown]
	s_or_b64 exec, exec, s[4:5]
	v_or_b32_e32 v30, 0x380, v0
	v_mov_b32_e32 v18, s9
	v_cmp_le_u32_e32 vcc, s19, v30
	s_mov_b64 s[4:5], -1
	v_mov_b32_e32 v17, s8
	v_mov_b32_e32 v19, v30
	s_and_saveexec_b64 s[2:3], vcc
; %bb.63:
	v_subrev_u32_e32 v19, s19, v30
	v_cmp_gt_u32_e32 vcc, s33, v19
	v_mov_b32_e32 v18, s7
	v_mov_b32_e32 v17, s6
	s_orn2_b64 s[4:5], vcc, exec
; %bb.64:
	s_or_b64 exec, exec, s[2:3]
.LBB114_65:
	s_and_saveexec_b64 s[2:3], s[4:5]
	s_cbranch_execz .LBB114_67
; %bb.66:
	v_mov_b32_e32 v20, 0
	v_lshlrev_b64 v[19:20], 3, v[19:20]
	v_add_co_u32_e32 v17, vcc, v17, v19
	v_addc_co_u32_e32 v18, vcc, v18, v20, vcc
	global_load_dwordx2 v[17:18], v[17:18], off
	v_lshlrev_b32_e32 v19, 3, v30
	s_waitcnt vmcnt(0)
	ds_write_b64 v19, v[17:18]
.LBB114_67:
	s_or_b64 exec, exec, s[2:3]
	s_and_b64 vcc, exec, s[0:1]
	v_add_u32_e32 v17, s18, v21
	s_waitcnt lgkmcnt(0)
	s_barrier
	s_cbranch_vccnz .LBB114_69
; %bb.68:
	v_lshlrev_b32_e32 v30, 3, v22
	v_lshlrev_b32_e32 v32, 3, v23
	;; [unrolled: 1-line block ×7, first 2 shown]
	v_mov_b32_e32 v18, 0
	ds_read_b64 v[30:31], v30
	ds_read_b64 v[32:33], v32
	;; [unrolled: 1-line block ×7, first 2 shown]
	v_lshlrev_b64 v[19:20], 3, v[17:18]
	v_mov_b32_e32 v44, s15
	v_add_co_u32_e32 v19, vcc, s14, v19
	v_addc_co_u32_e32 v20, vcc, v44, v20, vcc
	s_mov_b64 s[0:1], -1
	s_waitcnt lgkmcnt(5)
	global_store_dwordx4 v[19:20], v[30:33], off
	s_waitcnt lgkmcnt(3)
	global_store_dwordx4 v[19:20], v[34:37], off offset:16
	s_waitcnt lgkmcnt(1)
	global_store_dwordx4 v[19:20], v[38:41], off offset:32
	s_waitcnt lgkmcnt(0)
	global_store_dwordx2 v[19:20], v[42:43], off offset:48
	s_cbranch_execz .LBB114_70
	s_branch .LBB114_87
.LBB114_69:
	s_mov_b64 s[0:1], 0
.LBB114_70:
	v_cmp_gt_u32_e32 vcc, s17, v21
	s_and_saveexec_b64 s[2:3], vcc
	s_cbranch_execz .LBB114_72
; %bb.71:
	v_lshlrev_b32_e32 v22, 3, v22
	v_mov_b32_e32 v18, 0
	ds_read_b64 v[30:31], v22
	v_lshlrev_b64 v[18:19], 3, v[17:18]
	v_mov_b32_e32 v20, s15
	v_add_co_u32_e32 v18, vcc, s14, v18
	v_addc_co_u32_e32 v19, vcc, v20, v19, vcc
	s_waitcnt lgkmcnt(0)
	global_store_dwordx2 v[18:19], v[30:31], off
.LBB114_72:
	s_or_b64 exec, exec, s[2:3]
	v_or_b32_e32 v18, 1, v21
	v_cmp_gt_u32_e32 vcc, s17, v18
	s_and_saveexec_b64 s[2:3], vcc
	s_cbranch_execz .LBB114_74
; %bb.73:
	v_lshlrev_b32_e32 v22, 3, v23
	v_mov_b32_e32 v18, 0
	ds_read_b64 v[22:23], v22
	v_lshlrev_b64 v[18:19], 3, v[17:18]
	v_mov_b32_e32 v20, s15
	v_add_co_u32_e32 v18, vcc, s14, v18
	v_addc_co_u32_e32 v19, vcc, v20, v19, vcc
	s_waitcnt lgkmcnt(0)
	global_store_dwordx2 v[18:19], v[22:23], off offset:8
.LBB114_74:
	s_or_b64 exec, exec, s[2:3]
	v_or_b32_e32 v18, 2, v21
	v_cmp_gt_u32_e32 vcc, s17, v18
	s_and_saveexec_b64 s[2:3], vcc
	s_cbranch_execz .LBB114_76
; %bb.75:
	v_lshlrev_b32_e32 v22, 3, v24
	v_mov_b32_e32 v18, 0
	ds_read_b64 v[22:23], v22
	v_lshlrev_b64 v[18:19], 3, v[17:18]
	v_mov_b32_e32 v20, s15
	v_add_co_u32_e32 v18, vcc, s14, v18
	v_addc_co_u32_e32 v19, vcc, v20, v19, vcc
	s_waitcnt lgkmcnt(0)
	global_store_dwordx2 v[18:19], v[22:23], off offset:16
.LBB114_76:
	;; [unrolled: 16-line block ×6, first 2 shown]
	s_or_b64 exec, exec, s[2:3]
	v_or_b32_e32 v18, 7, v21
	v_cmp_gt_u32_e32 vcc, s17, v18
	s_and_saveexec_b64 s[2:3], vcc
; %bb.85:
	v_mov_b32_e32 v18, 0
	s_or_b64 s[0:1], s[0:1], exec
; %bb.86:
	s_or_b64 exec, exec, s[2:3]
.LBB114_87:
	s_and_saveexec_b64 s[2:3], s[0:1]
	s_cbranch_execz .LBB114_89
; %bb.88:
	v_lshlrev_b32_e32 v19, 3, v26
	ds_read_b64 v[19:20], v19
	v_lshlrev_b64 v[17:18], 3, v[17:18]
	v_mov_b32_e32 v22, s15
	v_add_co_u32_e32 v17, vcc, s14, v17
	v_addc_co_u32_e32 v18, vcc, v22, v18, vcc
	s_waitcnt lgkmcnt(0)
	global_store_dwordx2 v[17:18], v[19:20], off offset:56
.LBB114_89:
	s_or_b64 exec, exec, s[2:3]
	v_lshrrev_b32_e32 v17, 2, v0
	v_lshlrev_b32_e32 v18, 3, v21
	v_lshl_add_u32 v18, v17, 3, v18
	s_waitcnt vmcnt(0)
	s_barrier
	s_barrier
	ds_write2_b64 v18, v[1:2], v[3:4] offset1:1
	ds_write2_b64 v18, v[5:6], v[7:8] offset0:2 offset1:3
	ds_write2_b64 v18, v[9:10], v[11:12] offset0:4 offset1:5
	ds_write2_b64 v18, v[13:14], v[15:16] offset0:6 offset1:7
	v_and_b32_e32 v1, 24, v17
	v_or_b32_e32 v24, 0x80, v0
	v_add_u32_e32 v25, v1, v21
	v_lshrrev_b32_e32 v1, 2, v24
	v_and_b32_e32 v1, 56, v1
	v_or_b32_e32 v23, 0x100, v0
	v_add_u32_e32 v5, v1, v21
	v_lshrrev_b32_e32 v1, 2, v23
	;; [unrolled: 4-line block ×5, first 2 shown]
	v_and_b32_e32 v1, 0xb8, v1
	v_or_b32_e32 v18, 0x300, v0
	s_mov_b32 s19, 0
	v_add_u32_e32 v26, v1, v21
	v_lshrrev_b32_e32 v1, 2, v18
	s_lshl_b64 s[0:1], s[18:19], 3
	v_and_b32_e32 v1, 0xd8, v1
	v_or_b32_e32 v17, 0x380, v0
	s_add_u32 s0, s10, s0
	v_add_u32_e32 v27, v1, v21
	v_lshrrev_b32_e32 v1, 2, v17
	s_addc_u32 s1, s11, s1
	v_and_b32_e32 v1, 0xf8, v1
	v_add_u32_e32 v28, v1, v21
	v_mov_b32_e32 v2, s1
	v_add_co_u32_e32 v1, vcc, s0, v21
	v_addc_co_u32_e32 v2, vcc, 0, v2, vcc
	s_and_b64 vcc, exec, s[20:21]
	s_waitcnt lgkmcnt(0)
	s_cbranch_vccz .LBB114_91
; %bb.90:
	s_barrier
	ds_read_b64 v[9:10], v25
	ds_read_b64 v[11:12], v5 offset:1024
	ds_read_b64 v[13:14], v6 offset:2048
	ds_read_b64 v[15:16], v7 offset:3072
	ds_read_b64 v[29:30], v8 offset:4096
	ds_read_b64 v[31:32], v26 offset:5120
	ds_read_b64 v[33:34], v27 offset:6144
	ds_read_b64 v[3:4], v28 offset:7168
	s_waitcnt lgkmcnt(7)
	global_store_dwordx2 v[1:2], v[9:10], off
	s_waitcnt lgkmcnt(6)
	global_store_dwordx2 v[1:2], v[11:12], off offset:1024
	s_waitcnt lgkmcnt(5)
	global_store_dwordx2 v[1:2], v[13:14], off offset:2048
	;; [unrolled: 2-line block ×3, first 2 shown]
	v_add_co_u32_e32 v9, vcc, 0x1000, v1
	v_addc_co_u32_e32 v10, vcc, 0, v2, vcc
	s_waitcnt lgkmcnt(3)
	global_store_dwordx2 v[9:10], v[29:30], off
	s_waitcnt lgkmcnt(2)
	global_store_dwordx2 v[9:10], v[31:32], off offset:1024
	s_waitcnt lgkmcnt(1)
	global_store_dwordx2 v[9:10], v[33:34], off offset:2048
	s_mov_b64 s[0:1], -1
	s_cbranch_execz .LBB114_92
	s_branch .LBB114_101
.LBB114_91:
	s_mov_b64 s[0:1], 0
                                        ; implicit-def: $vgpr3_vgpr4
.LBB114_92:
	s_waitcnt vmcnt(0) lgkmcnt(0)
	s_barrier
	ds_read_b64 v[15:16], v5 offset:1024
	ds_read_b64 v[13:14], v6 offset:2048
	;; [unrolled: 1-line block ×7, first 2 shown]
	s_sub_i32 s2, s16, s18
	v_cmp_gt_u32_e32 vcc, s2, v0
	s_and_saveexec_b64 s[0:1], vcc
	s_cbranch_execnz .LBB114_108
; %bb.93:
	s_or_b64 exec, exec, s[0:1]
	v_cmp_gt_u32_e32 vcc, s2, v24
	s_and_saveexec_b64 s[0:1], vcc
	s_cbranch_execnz .LBB114_109
.LBB114_94:
	s_or_b64 exec, exec, s[0:1]
	v_cmp_gt_u32_e32 vcc, s2, v23
	s_and_saveexec_b64 s[0:1], vcc
	s_cbranch_execnz .LBB114_110
.LBB114_95:
	s_or_b64 exec, exec, s[0:1]
	v_cmp_gt_u32_e32 vcc, s2, v22
	s_and_saveexec_b64 s[0:1], vcc
	s_cbranch_execnz .LBB114_111
.LBB114_96:
	s_or_b64 exec, exec, s[0:1]
	v_cmp_gt_u32_e32 vcc, s2, v20
	s_and_saveexec_b64 s[0:1], vcc
	s_cbranch_execnz .LBB114_112
.LBB114_97:
	s_or_b64 exec, exec, s[0:1]
	v_cmp_gt_u32_e32 vcc, s2, v19
	s_and_saveexec_b64 s[0:1], vcc
	s_cbranch_execnz .LBB114_113
.LBB114_98:
	s_or_b64 exec, exec, s[0:1]
	v_cmp_gt_u32_e32 vcc, s2, v18
	s_and_saveexec_b64 s[0:1], vcc
	s_cbranch_execz .LBB114_100
.LBB114_99:
	s_waitcnt lgkmcnt(2)
	v_add_co_u32_e32 v7, vcc, 0x1000, v1
	v_addc_co_u32_e32 v8, vcc, 0, v2, vcc
	s_waitcnt lgkmcnt(1)
	global_store_dwordx2 v[7:8], v[5:6], off offset:2048
.LBB114_100:
	s_or_b64 exec, exec, s[0:1]
	v_cmp_gt_u32_e64 s[0:1], s2, v17
.LBB114_101:
	s_and_saveexec_b64 s[2:3], s[0:1]
	s_cbranch_execz .LBB114_103
; %bb.102:
	v_add_co_u32_e32 v0, vcc, 0x1000, v1
	v_addc_co_u32_e32 v1, vcc, 0, v2, vcc
	s_waitcnt lgkmcnt(0)
	global_store_dwordx2 v[0:1], v[3:4], off offset:3072
.LBB114_103:
	s_endpgm
.LBB114_104:
	v_subrev_u32_e32 v19, s19, v0
	v_cmp_gt_u32_e32 vcc, s33, v19
                                        ; implicit-def: $vgpr17_vgpr18
	s_and_saveexec_b64 s[26:27], vcc
	s_xor_b64 s[26:27], exec, s[26:27]
; %bb.105:
	v_lshlrev_b32_e32 v17, 3, v19
	v_mov_b32_e32 v18, s7
	v_add_co_u32_e32 v17, vcc, s6, v17
	s_mov_b64 s[4:5], exec
	v_addc_co_u32_e32 v18, vcc, 0, v18, vcc
; %bb.106:
	s_or_b64 exec, exec, s[26:27]
	s_and_b64 s[4:5], s[4:5], exec
	s_andn2_saveexec_b64 s[2:3], s[2:3]
	s_cbranch_execz .LBB114_36
.LBB114_107:
	v_mov_b32_e32 v18, s9
	v_add_co_u32_e32 v17, vcc, s8, v21
	v_addc_co_u32_e32 v18, vcc, 0, v18, vcc
	s_or_b64 s[4:5], s[4:5], exec
	s_or_b64 exec, exec, s[2:3]
	s_and_saveexec_b64 s[2:3], s[4:5]
	s_cbranch_execnz .LBB114_37
	s_branch .LBB114_38
.LBB114_108:
	ds_read_b64 v[25:26], v25
	s_waitcnt lgkmcnt(0)
	global_store_dwordx2 v[1:2], v[25:26], off
	s_or_b64 exec, exec, s[0:1]
	v_cmp_gt_u32_e32 vcc, s2, v24
	s_and_saveexec_b64 s[0:1], vcc
	s_cbranch_execz .LBB114_94
.LBB114_109:
	s_waitcnt lgkmcnt(6)
	global_store_dwordx2 v[1:2], v[15:16], off offset:1024
	s_or_b64 exec, exec, s[0:1]
	v_cmp_gt_u32_e32 vcc, s2, v23
	s_and_saveexec_b64 s[0:1], vcc
	s_cbranch_execz .LBB114_95
.LBB114_110:
	s_waitcnt lgkmcnt(5)
	global_store_dwordx2 v[1:2], v[13:14], off offset:2048
	s_or_b64 exec, exec, s[0:1]
	v_cmp_gt_u32_e32 vcc, s2, v22
	s_and_saveexec_b64 s[0:1], vcc
	s_cbranch_execz .LBB114_96
.LBB114_111:
	s_waitcnt lgkmcnt(4)
	global_store_dwordx2 v[1:2], v[11:12], off offset:3072
	s_or_b64 exec, exec, s[0:1]
	v_cmp_gt_u32_e32 vcc, s2, v20
	s_and_saveexec_b64 s[0:1], vcc
	s_cbranch_execz .LBB114_97
.LBB114_112:
	s_waitcnt lgkmcnt(4)
	v_add_co_u32_e32 v11, vcc, 0x1000, v1
	v_addc_co_u32_e32 v12, vcc, 0, v2, vcc
	s_waitcnt lgkmcnt(3)
	global_store_dwordx2 v[11:12], v[9:10], off
	s_or_b64 exec, exec, s[0:1]
	v_cmp_gt_u32_e32 vcc, s2, v19
	s_and_saveexec_b64 s[0:1], vcc
	s_cbranch_execz .LBB114_98
.LBB114_113:
	s_waitcnt lgkmcnt(3)
	v_add_co_u32_e32 v9, vcc, 0x1000, v1
	v_addc_co_u32_e32 v10, vcc, 0, v2, vcc
	s_waitcnt lgkmcnt(2)
	global_store_dwordx2 v[9:10], v[7:8], off offset:1024
	s_or_b64 exec, exec, s[0:1]
	v_cmp_gt_u32_e32 vcc, s2, v18
	s_and_saveexec_b64 s[0:1], vcc
	s_cbranch_execnz .LBB114_99
	s_branch .LBB114_100
	.section	.rodata,"a",@progbits
	.p2align	6, 0x0
	.amdhsa_kernel _ZN7rocprim17ROCPRIM_304000_NS6detail35device_block_merge_mergepath_kernelINS1_37wrapped_merge_sort_block_merge_configINS0_14default_configElN2at4cuda3cub6detail10OpaqueTypeILi8EEEEEPlSC_PSA_SD_jNS1_19radix_merge_compareILb0ELb0ElNS0_19identity_decomposerEEEEEvT0_T1_T2_T3_T4_SL_jT5_PKSL_NS1_7vsmem_tE
		.amdhsa_group_segment_fixed_size 8448
		.amdhsa_private_segment_fixed_size 0
		.amdhsa_kernarg_size 320
		.amdhsa_user_sgpr_count 6
		.amdhsa_user_sgpr_private_segment_buffer 1
		.amdhsa_user_sgpr_dispatch_ptr 0
		.amdhsa_user_sgpr_queue_ptr 0
		.amdhsa_user_sgpr_kernarg_segment_ptr 1
		.amdhsa_user_sgpr_dispatch_id 0
		.amdhsa_user_sgpr_flat_scratch_init 0
		.amdhsa_user_sgpr_private_segment_size 0
		.amdhsa_uses_dynamic_stack 0
		.amdhsa_system_sgpr_private_segment_wavefront_offset 0
		.amdhsa_system_sgpr_workgroup_id_x 1
		.amdhsa_system_sgpr_workgroup_id_y 1
		.amdhsa_system_sgpr_workgroup_id_z 1
		.amdhsa_system_sgpr_workgroup_info 0
		.amdhsa_system_vgpr_workitem_id 0
		.amdhsa_next_free_vgpr 49
		.amdhsa_next_free_sgpr 98
		.amdhsa_reserve_vcc 1
		.amdhsa_reserve_flat_scratch 0
		.amdhsa_float_round_mode_32 0
		.amdhsa_float_round_mode_16_64 0
		.amdhsa_float_denorm_mode_32 3
		.amdhsa_float_denorm_mode_16_64 3
		.amdhsa_dx10_clamp 1
		.amdhsa_ieee_mode 1
		.amdhsa_fp16_overflow 0
		.amdhsa_exception_fp_ieee_invalid_op 0
		.amdhsa_exception_fp_denorm_src 0
		.amdhsa_exception_fp_ieee_div_zero 0
		.amdhsa_exception_fp_ieee_overflow 0
		.amdhsa_exception_fp_ieee_underflow 0
		.amdhsa_exception_fp_ieee_inexact 0
		.amdhsa_exception_int_div_zero 0
	.end_amdhsa_kernel
	.section	.text._ZN7rocprim17ROCPRIM_304000_NS6detail35device_block_merge_mergepath_kernelINS1_37wrapped_merge_sort_block_merge_configINS0_14default_configElN2at4cuda3cub6detail10OpaqueTypeILi8EEEEEPlSC_PSA_SD_jNS1_19radix_merge_compareILb0ELb0ElNS0_19identity_decomposerEEEEEvT0_T1_T2_T3_T4_SL_jT5_PKSL_NS1_7vsmem_tE,"axG",@progbits,_ZN7rocprim17ROCPRIM_304000_NS6detail35device_block_merge_mergepath_kernelINS1_37wrapped_merge_sort_block_merge_configINS0_14default_configElN2at4cuda3cub6detail10OpaqueTypeILi8EEEEEPlSC_PSA_SD_jNS1_19radix_merge_compareILb0ELb0ElNS0_19identity_decomposerEEEEEvT0_T1_T2_T3_T4_SL_jT5_PKSL_NS1_7vsmem_tE,comdat
.Lfunc_end114:
	.size	_ZN7rocprim17ROCPRIM_304000_NS6detail35device_block_merge_mergepath_kernelINS1_37wrapped_merge_sort_block_merge_configINS0_14default_configElN2at4cuda3cub6detail10OpaqueTypeILi8EEEEEPlSC_PSA_SD_jNS1_19radix_merge_compareILb0ELb0ElNS0_19identity_decomposerEEEEEvT0_T1_T2_T3_T4_SL_jT5_PKSL_NS1_7vsmem_tE, .Lfunc_end114-_ZN7rocprim17ROCPRIM_304000_NS6detail35device_block_merge_mergepath_kernelINS1_37wrapped_merge_sort_block_merge_configINS0_14default_configElN2at4cuda3cub6detail10OpaqueTypeILi8EEEEEPlSC_PSA_SD_jNS1_19radix_merge_compareILb0ELb0ElNS0_19identity_decomposerEEEEEvT0_T1_T2_T3_T4_SL_jT5_PKSL_NS1_7vsmem_tE
                                        ; -- End function
	.set _ZN7rocprim17ROCPRIM_304000_NS6detail35device_block_merge_mergepath_kernelINS1_37wrapped_merge_sort_block_merge_configINS0_14default_configElN2at4cuda3cub6detail10OpaqueTypeILi8EEEEEPlSC_PSA_SD_jNS1_19radix_merge_compareILb0ELb0ElNS0_19identity_decomposerEEEEEvT0_T1_T2_T3_T4_SL_jT5_PKSL_NS1_7vsmem_tE.num_vgpr, 45
	.set _ZN7rocprim17ROCPRIM_304000_NS6detail35device_block_merge_mergepath_kernelINS1_37wrapped_merge_sort_block_merge_configINS0_14default_configElN2at4cuda3cub6detail10OpaqueTypeILi8EEEEEPlSC_PSA_SD_jNS1_19radix_merge_compareILb0ELb0ElNS0_19identity_decomposerEEEEEvT0_T1_T2_T3_T4_SL_jT5_PKSL_NS1_7vsmem_tE.num_agpr, 0
	.set _ZN7rocprim17ROCPRIM_304000_NS6detail35device_block_merge_mergepath_kernelINS1_37wrapped_merge_sort_block_merge_configINS0_14default_configElN2at4cuda3cub6detail10OpaqueTypeILi8EEEEEPlSC_PSA_SD_jNS1_19radix_merge_compareILb0ELb0ElNS0_19identity_decomposerEEEEEvT0_T1_T2_T3_T4_SL_jT5_PKSL_NS1_7vsmem_tE.numbered_sgpr, 34
	.set _ZN7rocprim17ROCPRIM_304000_NS6detail35device_block_merge_mergepath_kernelINS1_37wrapped_merge_sort_block_merge_configINS0_14default_configElN2at4cuda3cub6detail10OpaqueTypeILi8EEEEEPlSC_PSA_SD_jNS1_19radix_merge_compareILb0ELb0ElNS0_19identity_decomposerEEEEEvT0_T1_T2_T3_T4_SL_jT5_PKSL_NS1_7vsmem_tE.num_named_barrier, 0
	.set _ZN7rocprim17ROCPRIM_304000_NS6detail35device_block_merge_mergepath_kernelINS1_37wrapped_merge_sort_block_merge_configINS0_14default_configElN2at4cuda3cub6detail10OpaqueTypeILi8EEEEEPlSC_PSA_SD_jNS1_19radix_merge_compareILb0ELb0ElNS0_19identity_decomposerEEEEEvT0_T1_T2_T3_T4_SL_jT5_PKSL_NS1_7vsmem_tE.private_seg_size, 0
	.set _ZN7rocprim17ROCPRIM_304000_NS6detail35device_block_merge_mergepath_kernelINS1_37wrapped_merge_sort_block_merge_configINS0_14default_configElN2at4cuda3cub6detail10OpaqueTypeILi8EEEEEPlSC_PSA_SD_jNS1_19radix_merge_compareILb0ELb0ElNS0_19identity_decomposerEEEEEvT0_T1_T2_T3_T4_SL_jT5_PKSL_NS1_7vsmem_tE.uses_vcc, 1
	.set _ZN7rocprim17ROCPRIM_304000_NS6detail35device_block_merge_mergepath_kernelINS1_37wrapped_merge_sort_block_merge_configINS0_14default_configElN2at4cuda3cub6detail10OpaqueTypeILi8EEEEEPlSC_PSA_SD_jNS1_19radix_merge_compareILb0ELb0ElNS0_19identity_decomposerEEEEEvT0_T1_T2_T3_T4_SL_jT5_PKSL_NS1_7vsmem_tE.uses_flat_scratch, 0
	.set _ZN7rocprim17ROCPRIM_304000_NS6detail35device_block_merge_mergepath_kernelINS1_37wrapped_merge_sort_block_merge_configINS0_14default_configElN2at4cuda3cub6detail10OpaqueTypeILi8EEEEEPlSC_PSA_SD_jNS1_19radix_merge_compareILb0ELb0ElNS0_19identity_decomposerEEEEEvT0_T1_T2_T3_T4_SL_jT5_PKSL_NS1_7vsmem_tE.has_dyn_sized_stack, 0
	.set _ZN7rocprim17ROCPRIM_304000_NS6detail35device_block_merge_mergepath_kernelINS1_37wrapped_merge_sort_block_merge_configINS0_14default_configElN2at4cuda3cub6detail10OpaqueTypeILi8EEEEEPlSC_PSA_SD_jNS1_19radix_merge_compareILb0ELb0ElNS0_19identity_decomposerEEEEEvT0_T1_T2_T3_T4_SL_jT5_PKSL_NS1_7vsmem_tE.has_recursion, 0
	.set _ZN7rocprim17ROCPRIM_304000_NS6detail35device_block_merge_mergepath_kernelINS1_37wrapped_merge_sort_block_merge_configINS0_14default_configElN2at4cuda3cub6detail10OpaqueTypeILi8EEEEEPlSC_PSA_SD_jNS1_19radix_merge_compareILb0ELb0ElNS0_19identity_decomposerEEEEEvT0_T1_T2_T3_T4_SL_jT5_PKSL_NS1_7vsmem_tE.has_indirect_call, 0
	.section	.AMDGPU.csdata,"",@progbits
; Kernel info:
; codeLenInByte = 6260
; TotalNumSgprs: 38
; NumVgprs: 45
; ScratchSize: 0
; MemoryBound: 1
; FloatMode: 240
; IeeeMode: 1
; LDSByteSize: 8448 bytes/workgroup (compile time only)
; SGPRBlocks: 12
; VGPRBlocks: 12
; NumSGPRsForWavesPerEU: 102
; NumVGPRsForWavesPerEU: 49
; Occupancy: 4
; WaveLimiterHint : 1
; COMPUTE_PGM_RSRC2:SCRATCH_EN: 0
; COMPUTE_PGM_RSRC2:USER_SGPR: 6
; COMPUTE_PGM_RSRC2:TRAP_HANDLER: 0
; COMPUTE_PGM_RSRC2:TGID_X_EN: 1
; COMPUTE_PGM_RSRC2:TGID_Y_EN: 1
; COMPUTE_PGM_RSRC2:TGID_Z_EN: 1
; COMPUTE_PGM_RSRC2:TIDIG_COMP_CNT: 0
	.section	.text._ZN7rocprim17ROCPRIM_304000_NS6detail33device_block_merge_oddeven_kernelINS1_37wrapped_merge_sort_block_merge_configINS0_14default_configElN2at4cuda3cub6detail10OpaqueTypeILi8EEEEEPlSC_PSA_SD_jNS1_19radix_merge_compareILb0ELb0ElNS0_19identity_decomposerEEEEEvT0_T1_T2_T3_T4_SL_T5_,"axG",@progbits,_ZN7rocprim17ROCPRIM_304000_NS6detail33device_block_merge_oddeven_kernelINS1_37wrapped_merge_sort_block_merge_configINS0_14default_configElN2at4cuda3cub6detail10OpaqueTypeILi8EEEEEPlSC_PSA_SD_jNS1_19radix_merge_compareILb0ELb0ElNS0_19identity_decomposerEEEEEvT0_T1_T2_T3_T4_SL_T5_,comdat
	.protected	_ZN7rocprim17ROCPRIM_304000_NS6detail33device_block_merge_oddeven_kernelINS1_37wrapped_merge_sort_block_merge_configINS0_14default_configElN2at4cuda3cub6detail10OpaqueTypeILi8EEEEEPlSC_PSA_SD_jNS1_19radix_merge_compareILb0ELb0ElNS0_19identity_decomposerEEEEEvT0_T1_T2_T3_T4_SL_T5_ ; -- Begin function _ZN7rocprim17ROCPRIM_304000_NS6detail33device_block_merge_oddeven_kernelINS1_37wrapped_merge_sort_block_merge_configINS0_14default_configElN2at4cuda3cub6detail10OpaqueTypeILi8EEEEEPlSC_PSA_SD_jNS1_19radix_merge_compareILb0ELb0ElNS0_19identity_decomposerEEEEEvT0_T1_T2_T3_T4_SL_T5_
	.globl	_ZN7rocprim17ROCPRIM_304000_NS6detail33device_block_merge_oddeven_kernelINS1_37wrapped_merge_sort_block_merge_configINS0_14default_configElN2at4cuda3cub6detail10OpaqueTypeILi8EEEEEPlSC_PSA_SD_jNS1_19radix_merge_compareILb0ELb0ElNS0_19identity_decomposerEEEEEvT0_T1_T2_T3_T4_SL_T5_
	.p2align	8
	.type	_ZN7rocprim17ROCPRIM_304000_NS6detail33device_block_merge_oddeven_kernelINS1_37wrapped_merge_sort_block_merge_configINS0_14default_configElN2at4cuda3cub6detail10OpaqueTypeILi8EEEEEPlSC_PSA_SD_jNS1_19radix_merge_compareILb0ELb0ElNS0_19identity_decomposerEEEEEvT0_T1_T2_T3_T4_SL_T5_,@function
_ZN7rocprim17ROCPRIM_304000_NS6detail33device_block_merge_oddeven_kernelINS1_37wrapped_merge_sort_block_merge_configINS0_14default_configElN2at4cuda3cub6detail10OpaqueTypeILi8EEEEEPlSC_PSA_SD_jNS1_19radix_merge_compareILb0ELb0ElNS0_19identity_decomposerEEEEEvT0_T1_T2_T3_T4_SL_T5_: ; @_ZN7rocprim17ROCPRIM_304000_NS6detail33device_block_merge_oddeven_kernelINS1_37wrapped_merge_sort_block_merge_configINS0_14default_configElN2at4cuda3cub6detail10OpaqueTypeILi8EEEEEPlSC_PSA_SD_jNS1_19radix_merge_compareILb0ELb0ElNS0_19identity_decomposerEEEEEvT0_T1_T2_T3_T4_SL_T5_
; %bb.0:
	s_load_dwordx2 s[18:19], s[4:5], 0x20
	s_waitcnt lgkmcnt(0)
	s_lshr_b32 s0, s18, 8
	s_cmp_eq_u32 s6, s0
	s_cselect_b64 s[16:17], -1, 0
	s_cmp_lg_u32 s6, s0
	s_cselect_b64 s[0:1], -1, 0
	s_lshl_b32 s20, s6, 8
	s_sub_i32 s2, s18, s20
	v_cmp_gt_u32_e64 s[2:3], s2, v0
	s_or_b64 s[0:1], s[0:1], s[2:3]
	s_and_saveexec_b64 s[8:9], s[0:1]
	s_cbranch_execz .LBB115_24
; %bb.1:
	s_load_dwordx8 s[8:15], s[4:5], 0x0
	s_mov_b32 s21, 0
	s_lshl_b64 s[0:1], s[20:21], 3
	v_lshlrev_b32_e32 v5, 3, v0
	s_waitcnt lgkmcnt(0)
	s_add_u32 s4, s8, s0
	s_addc_u32 s5, s9, s1
	s_add_u32 s0, s12, s0
	s_addc_u32 s1, s13, s1
	global_load_dwordx2 v[1:2], v5, s[0:1]
	global_load_dwordx2 v[3:4], v5, s[4:5]
	s_lshr_b32 s0, s19, 8
	s_sub_i32 s1, 0, s0
	s_and_b32 s1, s6, s1
	s_and_b32 s0, s1, s0
	s_lshl_b32 s13, s1, 8
	s_sub_i32 s6, 0, s19
	s_cmp_eq_u32 s0, 0
	s_cselect_b64 s[0:1], -1, 0
	s_and_b64 s[4:5], s[0:1], exec
	s_cselect_b32 s6, s19, s6
	s_add_i32 s6, s6, s13
	s_mov_b64 s[4:5], -1
	s_cmp_gt_u32 s18, s6
	v_add_u32_e32 v5, s20, v0
	s_cbranch_scc1 .LBB115_9
; %bb.2:
	s_and_b64 vcc, exec, s[16:17]
	s_cbranch_vccz .LBB115_6
; %bb.3:
	v_cmp_gt_u32_e32 vcc, s18, v5
	s_and_saveexec_b64 s[4:5], vcc
	s_cbranch_execz .LBB115_5
; %bb.4:
	v_mov_b32_e32 v6, 0
	v_lshlrev_b64 v[6:7], 3, v[5:6]
	v_mov_b32_e32 v0, s15
	v_add_co_u32_e32 v8, vcc, s14, v6
	v_addc_co_u32_e32 v9, vcc, v0, v7, vcc
	v_mov_b32_e32 v0, s11
	v_add_co_u32_e32 v6, vcc, s10, v6
	v_addc_co_u32_e32 v7, vcc, v0, v7, vcc
	s_waitcnt vmcnt(0)
	global_store_dwordx2 v[6:7], v[3:4], off
	global_store_dwordx2 v[8:9], v[1:2], off
.LBB115_5:
	s_or_b64 exec, exec, s[4:5]
	s_mov_b64 s[4:5], 0
.LBB115_6:
	s_andn2_b64 vcc, exec, s[4:5]
	s_cbranch_vccnz .LBB115_8
; %bb.7:
	v_mov_b32_e32 v6, 0
	v_lshlrev_b64 v[6:7], 3, v[5:6]
	v_mov_b32_e32 v0, s11
	v_add_co_u32_e32 v8, vcc, s10, v6
	v_addc_co_u32_e32 v9, vcc, v0, v7, vcc
	v_mov_b32_e32 v0, s15
	v_add_co_u32_e32 v6, vcc, s14, v6
	v_addc_co_u32_e32 v7, vcc, v0, v7, vcc
	s_waitcnt vmcnt(0)
	global_store_dwordx2 v[8:9], v[3:4], off
	global_store_dwordx2 v[6:7], v[1:2], off
.LBB115_8:
	s_mov_b64 s[4:5], 0
.LBB115_9:
	s_andn2_b64 vcc, exec, s[4:5]
	s_cbranch_vccnz .LBB115_24
; %bb.10:
	s_min_u32 s7, s6, s18
	s_add_i32 s4, s7, s19
	s_min_u32 s12, s4, s18
	s_min_u32 s4, s13, s7
	s_add_i32 s13, s13, s7
	v_subrev_u32_e32 v0, s13, v5
	v_add_u32_e32 v0, s4, v0
	s_andn2_b64 vcc, exec, s[16:17]
	s_mov_b64 s[4:5], -1
	s_cbranch_vccnz .LBB115_18
; %bb.11:
	s_and_saveexec_b64 s[4:5], s[2:3]
	s_cbranch_execz .LBB115_17
; %bb.12:
	s_cmp_ge_u32 s6, s12
	v_mov_b32_e32 v7, s7
	s_cbranch_scc1 .LBB115_16
; %bb.13:
	s_mov_b64 s[2:3], 0
	v_mov_b32_e32 v8, s12
	v_mov_b32_e32 v7, s7
	;; [unrolled: 1-line block ×4, first 2 shown]
.LBB115_14:                             ; =>This Inner Loop Header: Depth=1
	v_add_u32_e32 v5, v7, v8
	v_lshrrev_b32_e32 v5, 1, v5
	v_lshlrev_b64 v[10:11], 3, v[5:6]
	v_add_u32_e32 v12, 1, v5
	v_add_co_u32_e32 v10, vcc, s8, v10
	v_addc_co_u32_e32 v11, vcc, v9, v11, vcc
	global_load_dwordx2 v[10:11], v[10:11], off
	s_waitcnt vmcnt(0)
	v_cmp_gt_i64_e32 vcc, v[3:4], v[10:11]
	v_cndmask_b32_e64 v13, 0, 1, vcc
	v_cmp_le_i64_e32 vcc, v[10:11], v[3:4]
	v_cndmask_b32_e64 v10, 0, 1, vcc
	v_cndmask_b32_e64 v10, v10, v13, s[0:1]
	v_and_b32_e32 v10, 1, v10
	v_cmp_eq_u32_e32 vcc, 1, v10
	v_cndmask_b32_e32 v8, v5, v8, vcc
	v_cndmask_b32_e32 v7, v7, v12, vcc
	v_cmp_ge_u32_e32 vcc, v7, v8
	s_or_b64 s[2:3], vcc, s[2:3]
	s_andn2_b64 exec, exec, s[2:3]
	s_cbranch_execnz .LBB115_14
; %bb.15:
	s_or_b64 exec, exec, s[2:3]
.LBB115_16:
	v_add_u32_e32 v5, v7, v0
	v_mov_b32_e32 v6, 0
	v_lshlrev_b64 v[5:6], 3, v[5:6]
	v_mov_b32_e32 v8, s11
	v_add_co_u32_e32 v7, vcc, s10, v5
	v_addc_co_u32_e32 v8, vcc, v8, v6, vcc
	s_waitcnt vmcnt(0)
	global_store_dwordx2 v[7:8], v[3:4], off
	v_mov_b32_e32 v7, s15
	v_add_co_u32_e32 v5, vcc, s14, v5
	v_addc_co_u32_e32 v6, vcc, v7, v6, vcc
	global_store_dwordx2 v[5:6], v[1:2], off
.LBB115_17:
	s_or_b64 exec, exec, s[4:5]
	s_mov_b64 s[4:5], 0
.LBB115_18:
	s_andn2_b64 vcc, exec, s[4:5]
	s_cbranch_vccnz .LBB115_24
; %bb.19:
	s_cmp_ge_u32 s6, s12
	v_mov_b32_e32 v7, s7
	s_cbranch_scc1 .LBB115_23
; %bb.20:
	s_mov_b64 s[2:3], 0
	v_mov_b32_e32 v8, s12
	v_mov_b32_e32 v7, s7
	;; [unrolled: 1-line block ×4, first 2 shown]
.LBB115_21:                             ; =>This Inner Loop Header: Depth=1
	v_add_u32_e32 v5, v7, v8
	v_lshrrev_b32_e32 v5, 1, v5
	v_lshlrev_b64 v[10:11], 3, v[5:6]
	v_add_u32_e32 v12, 1, v5
	v_add_co_u32_e32 v10, vcc, s8, v10
	v_addc_co_u32_e32 v11, vcc, v9, v11, vcc
	global_load_dwordx2 v[10:11], v[10:11], off
	s_waitcnt vmcnt(0)
	v_cmp_gt_i64_e32 vcc, v[3:4], v[10:11]
	v_cndmask_b32_e64 v13, 0, 1, vcc
	v_cmp_le_i64_e32 vcc, v[10:11], v[3:4]
	v_cndmask_b32_e64 v10, 0, 1, vcc
	v_cndmask_b32_e64 v10, v10, v13, s[0:1]
	v_and_b32_e32 v10, 1, v10
	v_cmp_eq_u32_e32 vcc, 1, v10
	v_cndmask_b32_e32 v8, v5, v8, vcc
	v_cndmask_b32_e32 v7, v7, v12, vcc
	v_cmp_ge_u32_e32 vcc, v7, v8
	s_or_b64 s[2:3], vcc, s[2:3]
	s_andn2_b64 exec, exec, s[2:3]
	s_cbranch_execnz .LBB115_21
; %bb.22:
	s_or_b64 exec, exec, s[2:3]
.LBB115_23:
	v_add_u32_e32 v5, v7, v0
	v_mov_b32_e32 v6, 0
	v_lshlrev_b64 v[5:6], 3, v[5:6]
	v_mov_b32_e32 v0, s11
	v_add_co_u32_e32 v7, vcc, s10, v5
	v_addc_co_u32_e32 v8, vcc, v0, v6, vcc
	s_waitcnt vmcnt(0)
	global_store_dwordx2 v[7:8], v[3:4], off
	v_mov_b32_e32 v0, s15
	v_add_co_u32_e32 v3, vcc, s14, v5
	v_addc_co_u32_e32 v4, vcc, v0, v6, vcc
	global_store_dwordx2 v[3:4], v[1:2], off
.LBB115_24:
	s_endpgm
	.section	.rodata,"a",@progbits
	.p2align	6, 0x0
	.amdhsa_kernel _ZN7rocprim17ROCPRIM_304000_NS6detail33device_block_merge_oddeven_kernelINS1_37wrapped_merge_sort_block_merge_configINS0_14default_configElN2at4cuda3cub6detail10OpaqueTypeILi8EEEEEPlSC_PSA_SD_jNS1_19radix_merge_compareILb0ELb0ElNS0_19identity_decomposerEEEEEvT0_T1_T2_T3_T4_SL_T5_
		.amdhsa_group_segment_fixed_size 0
		.amdhsa_private_segment_fixed_size 0
		.amdhsa_kernarg_size 44
		.amdhsa_user_sgpr_count 6
		.amdhsa_user_sgpr_private_segment_buffer 1
		.amdhsa_user_sgpr_dispatch_ptr 0
		.amdhsa_user_sgpr_queue_ptr 0
		.amdhsa_user_sgpr_kernarg_segment_ptr 1
		.amdhsa_user_sgpr_dispatch_id 0
		.amdhsa_user_sgpr_flat_scratch_init 0
		.amdhsa_user_sgpr_private_segment_size 0
		.amdhsa_uses_dynamic_stack 0
		.amdhsa_system_sgpr_private_segment_wavefront_offset 0
		.amdhsa_system_sgpr_workgroup_id_x 1
		.amdhsa_system_sgpr_workgroup_id_y 0
		.amdhsa_system_sgpr_workgroup_id_z 0
		.amdhsa_system_sgpr_workgroup_info 0
		.amdhsa_system_vgpr_workitem_id 0
		.amdhsa_next_free_vgpr 14
		.amdhsa_next_free_sgpr 22
		.amdhsa_reserve_vcc 1
		.amdhsa_reserve_flat_scratch 0
		.amdhsa_float_round_mode_32 0
		.amdhsa_float_round_mode_16_64 0
		.amdhsa_float_denorm_mode_32 3
		.amdhsa_float_denorm_mode_16_64 3
		.amdhsa_dx10_clamp 1
		.amdhsa_ieee_mode 1
		.amdhsa_fp16_overflow 0
		.amdhsa_exception_fp_ieee_invalid_op 0
		.amdhsa_exception_fp_denorm_src 0
		.amdhsa_exception_fp_ieee_div_zero 0
		.amdhsa_exception_fp_ieee_overflow 0
		.amdhsa_exception_fp_ieee_underflow 0
		.amdhsa_exception_fp_ieee_inexact 0
		.amdhsa_exception_int_div_zero 0
	.end_amdhsa_kernel
	.section	.text._ZN7rocprim17ROCPRIM_304000_NS6detail33device_block_merge_oddeven_kernelINS1_37wrapped_merge_sort_block_merge_configINS0_14default_configElN2at4cuda3cub6detail10OpaqueTypeILi8EEEEEPlSC_PSA_SD_jNS1_19radix_merge_compareILb0ELb0ElNS0_19identity_decomposerEEEEEvT0_T1_T2_T3_T4_SL_T5_,"axG",@progbits,_ZN7rocprim17ROCPRIM_304000_NS6detail33device_block_merge_oddeven_kernelINS1_37wrapped_merge_sort_block_merge_configINS0_14default_configElN2at4cuda3cub6detail10OpaqueTypeILi8EEEEEPlSC_PSA_SD_jNS1_19radix_merge_compareILb0ELb0ElNS0_19identity_decomposerEEEEEvT0_T1_T2_T3_T4_SL_T5_,comdat
.Lfunc_end115:
	.size	_ZN7rocprim17ROCPRIM_304000_NS6detail33device_block_merge_oddeven_kernelINS1_37wrapped_merge_sort_block_merge_configINS0_14default_configElN2at4cuda3cub6detail10OpaqueTypeILi8EEEEEPlSC_PSA_SD_jNS1_19radix_merge_compareILb0ELb0ElNS0_19identity_decomposerEEEEEvT0_T1_T2_T3_T4_SL_T5_, .Lfunc_end115-_ZN7rocprim17ROCPRIM_304000_NS6detail33device_block_merge_oddeven_kernelINS1_37wrapped_merge_sort_block_merge_configINS0_14default_configElN2at4cuda3cub6detail10OpaqueTypeILi8EEEEEPlSC_PSA_SD_jNS1_19radix_merge_compareILb0ELb0ElNS0_19identity_decomposerEEEEEvT0_T1_T2_T3_T4_SL_T5_
                                        ; -- End function
	.set _ZN7rocprim17ROCPRIM_304000_NS6detail33device_block_merge_oddeven_kernelINS1_37wrapped_merge_sort_block_merge_configINS0_14default_configElN2at4cuda3cub6detail10OpaqueTypeILi8EEEEEPlSC_PSA_SD_jNS1_19radix_merge_compareILb0ELb0ElNS0_19identity_decomposerEEEEEvT0_T1_T2_T3_T4_SL_T5_.num_vgpr, 14
	.set _ZN7rocprim17ROCPRIM_304000_NS6detail33device_block_merge_oddeven_kernelINS1_37wrapped_merge_sort_block_merge_configINS0_14default_configElN2at4cuda3cub6detail10OpaqueTypeILi8EEEEEPlSC_PSA_SD_jNS1_19radix_merge_compareILb0ELb0ElNS0_19identity_decomposerEEEEEvT0_T1_T2_T3_T4_SL_T5_.num_agpr, 0
	.set _ZN7rocprim17ROCPRIM_304000_NS6detail33device_block_merge_oddeven_kernelINS1_37wrapped_merge_sort_block_merge_configINS0_14default_configElN2at4cuda3cub6detail10OpaqueTypeILi8EEEEEPlSC_PSA_SD_jNS1_19radix_merge_compareILb0ELb0ElNS0_19identity_decomposerEEEEEvT0_T1_T2_T3_T4_SL_T5_.numbered_sgpr, 22
	.set _ZN7rocprim17ROCPRIM_304000_NS6detail33device_block_merge_oddeven_kernelINS1_37wrapped_merge_sort_block_merge_configINS0_14default_configElN2at4cuda3cub6detail10OpaqueTypeILi8EEEEEPlSC_PSA_SD_jNS1_19radix_merge_compareILb0ELb0ElNS0_19identity_decomposerEEEEEvT0_T1_T2_T3_T4_SL_T5_.num_named_barrier, 0
	.set _ZN7rocprim17ROCPRIM_304000_NS6detail33device_block_merge_oddeven_kernelINS1_37wrapped_merge_sort_block_merge_configINS0_14default_configElN2at4cuda3cub6detail10OpaqueTypeILi8EEEEEPlSC_PSA_SD_jNS1_19radix_merge_compareILb0ELb0ElNS0_19identity_decomposerEEEEEvT0_T1_T2_T3_T4_SL_T5_.private_seg_size, 0
	.set _ZN7rocprim17ROCPRIM_304000_NS6detail33device_block_merge_oddeven_kernelINS1_37wrapped_merge_sort_block_merge_configINS0_14default_configElN2at4cuda3cub6detail10OpaqueTypeILi8EEEEEPlSC_PSA_SD_jNS1_19radix_merge_compareILb0ELb0ElNS0_19identity_decomposerEEEEEvT0_T1_T2_T3_T4_SL_T5_.uses_vcc, 1
	.set _ZN7rocprim17ROCPRIM_304000_NS6detail33device_block_merge_oddeven_kernelINS1_37wrapped_merge_sort_block_merge_configINS0_14default_configElN2at4cuda3cub6detail10OpaqueTypeILi8EEEEEPlSC_PSA_SD_jNS1_19radix_merge_compareILb0ELb0ElNS0_19identity_decomposerEEEEEvT0_T1_T2_T3_T4_SL_T5_.uses_flat_scratch, 0
	.set _ZN7rocprim17ROCPRIM_304000_NS6detail33device_block_merge_oddeven_kernelINS1_37wrapped_merge_sort_block_merge_configINS0_14default_configElN2at4cuda3cub6detail10OpaqueTypeILi8EEEEEPlSC_PSA_SD_jNS1_19radix_merge_compareILb0ELb0ElNS0_19identity_decomposerEEEEEvT0_T1_T2_T3_T4_SL_T5_.has_dyn_sized_stack, 0
	.set _ZN7rocprim17ROCPRIM_304000_NS6detail33device_block_merge_oddeven_kernelINS1_37wrapped_merge_sort_block_merge_configINS0_14default_configElN2at4cuda3cub6detail10OpaqueTypeILi8EEEEEPlSC_PSA_SD_jNS1_19radix_merge_compareILb0ELb0ElNS0_19identity_decomposerEEEEEvT0_T1_T2_T3_T4_SL_T5_.has_recursion, 0
	.set _ZN7rocprim17ROCPRIM_304000_NS6detail33device_block_merge_oddeven_kernelINS1_37wrapped_merge_sort_block_merge_configINS0_14default_configElN2at4cuda3cub6detail10OpaqueTypeILi8EEEEEPlSC_PSA_SD_jNS1_19radix_merge_compareILb0ELb0ElNS0_19identity_decomposerEEEEEvT0_T1_T2_T3_T4_SL_T5_.has_indirect_call, 0
	.section	.AMDGPU.csdata,"",@progbits
; Kernel info:
; codeLenInByte = 804
; TotalNumSgprs: 26
; NumVgprs: 14
; ScratchSize: 0
; MemoryBound: 0
; FloatMode: 240
; IeeeMode: 1
; LDSByteSize: 0 bytes/workgroup (compile time only)
; SGPRBlocks: 3
; VGPRBlocks: 3
; NumSGPRsForWavesPerEU: 26
; NumVGPRsForWavesPerEU: 14
; Occupancy: 10
; WaveLimiterHint : 0
; COMPUTE_PGM_RSRC2:SCRATCH_EN: 0
; COMPUTE_PGM_RSRC2:USER_SGPR: 6
; COMPUTE_PGM_RSRC2:TRAP_HANDLER: 0
; COMPUTE_PGM_RSRC2:TGID_X_EN: 1
; COMPUTE_PGM_RSRC2:TGID_Y_EN: 0
; COMPUTE_PGM_RSRC2:TGID_Z_EN: 0
; COMPUTE_PGM_RSRC2:TIDIG_COMP_CNT: 0
	.section	.text._ZN7rocprim17ROCPRIM_304000_NS6detail45device_block_merge_mergepath_partition_kernelINS1_37wrapped_merge_sort_block_merge_configINS0_14default_configElN2at4cuda3cub6detail10OpaqueTypeILi8EEEEEPljNS1_19radix_merge_compareILb0ELb1ElNS0_19identity_decomposerEEEEEvT0_T1_jPSH_T2_SH_,"axG",@progbits,_ZN7rocprim17ROCPRIM_304000_NS6detail45device_block_merge_mergepath_partition_kernelINS1_37wrapped_merge_sort_block_merge_configINS0_14default_configElN2at4cuda3cub6detail10OpaqueTypeILi8EEEEEPljNS1_19radix_merge_compareILb0ELb1ElNS0_19identity_decomposerEEEEEvT0_T1_jPSH_T2_SH_,comdat
	.protected	_ZN7rocprim17ROCPRIM_304000_NS6detail45device_block_merge_mergepath_partition_kernelINS1_37wrapped_merge_sort_block_merge_configINS0_14default_configElN2at4cuda3cub6detail10OpaqueTypeILi8EEEEEPljNS1_19radix_merge_compareILb0ELb1ElNS0_19identity_decomposerEEEEEvT0_T1_jPSH_T2_SH_ ; -- Begin function _ZN7rocprim17ROCPRIM_304000_NS6detail45device_block_merge_mergepath_partition_kernelINS1_37wrapped_merge_sort_block_merge_configINS0_14default_configElN2at4cuda3cub6detail10OpaqueTypeILi8EEEEEPljNS1_19radix_merge_compareILb0ELb1ElNS0_19identity_decomposerEEEEEvT0_T1_jPSH_T2_SH_
	.globl	_ZN7rocprim17ROCPRIM_304000_NS6detail45device_block_merge_mergepath_partition_kernelINS1_37wrapped_merge_sort_block_merge_configINS0_14default_configElN2at4cuda3cub6detail10OpaqueTypeILi8EEEEEPljNS1_19radix_merge_compareILb0ELb1ElNS0_19identity_decomposerEEEEEvT0_T1_jPSH_T2_SH_
	.p2align	8
	.type	_ZN7rocprim17ROCPRIM_304000_NS6detail45device_block_merge_mergepath_partition_kernelINS1_37wrapped_merge_sort_block_merge_configINS0_14default_configElN2at4cuda3cub6detail10OpaqueTypeILi8EEEEEPljNS1_19radix_merge_compareILb0ELb1ElNS0_19identity_decomposerEEEEEvT0_T1_jPSH_T2_SH_,@function
_ZN7rocprim17ROCPRIM_304000_NS6detail45device_block_merge_mergepath_partition_kernelINS1_37wrapped_merge_sort_block_merge_configINS0_14default_configElN2at4cuda3cub6detail10OpaqueTypeILi8EEEEEPljNS1_19radix_merge_compareILb0ELb1ElNS0_19identity_decomposerEEEEEvT0_T1_jPSH_T2_SH_: ; @_ZN7rocprim17ROCPRIM_304000_NS6detail45device_block_merge_mergepath_partition_kernelINS1_37wrapped_merge_sort_block_merge_configINS0_14default_configElN2at4cuda3cub6detail10OpaqueTypeILi8EEEEEPljNS1_19radix_merge_compareILb0ELb1ElNS0_19identity_decomposerEEEEEvT0_T1_jPSH_T2_SH_
; %bb.0:
	s_load_dwordx2 s[8:9], s[4:5], 0x8
	v_lshl_or_b32 v0, s6, 7, v0
	s_waitcnt lgkmcnt(0)
	v_cmp_gt_u32_e32 vcc, s9, v0
	s_and_saveexec_b64 s[0:1], vcc
	s_cbranch_execz .LBB116_6
; %bb.1:
	s_load_dword s6, s[4:5], 0x20
	s_load_dwordx4 s[0:3], s[4:5], 0x10
	s_waitcnt lgkmcnt(0)
	s_lshr_b32 s7, s6, 9
	s_and_b32 s7, s7, 0x7ffffe
	s_add_i32 s9, s7, -1
	s_sub_i32 s7, 0, s7
	v_and_b32_e32 v1, s7, v0
	v_lshlrev_b32_e32 v3, 10, v1
	v_min_u32_e32 v1, s8, v3
	v_add_u32_e32 v3, s6, v3
	v_min_u32_e32 v3, s8, v3
	v_add_u32_e32 v4, s6, v3
	v_and_b32_e32 v2, s9, v0
	v_min_u32_e32 v4, s8, v4
	v_sub_u32_e32 v5, v4, v1
	v_lshlrev_b32_e32 v2, 10, v2
	v_min_u32_e32 v6, v5, v2
	v_sub_u32_e32 v2, v3, v1
	v_sub_u32_e32 v4, v4, v3
	v_sub_u32_e64 v5, v6, v4 clamp
	v_min_u32_e32 v7, v6, v2
	v_cmp_lt_u32_e32 vcc, v5, v7
	s_and_saveexec_b64 s[6:7], vcc
	s_cbranch_execz .LBB116_5
; %bb.2:
	s_load_dwordx2 s[4:5], s[4:5], 0x0
	v_mov_b32_e32 v4, 0
	v_mov_b32_e32 v2, v4
	v_lshlrev_b64 v[8:9], 3, v[1:2]
	s_waitcnt lgkmcnt(0)
	v_mov_b32_e32 v11, s5
	v_add_co_u32_e32 v2, vcc, s4, v8
	v_addc_co_u32_e32 v8, vcc, v11, v9, vcc
	v_lshlrev_b64 v[9:10], 3, v[3:4]
	v_add_co_u32_e32 v9, vcc, s4, v9
	v_addc_co_u32_e32 v10, vcc, v11, v10, vcc
	s_mov_b64 s[4:5], 0
.LBB116_3:                              ; =>This Inner Loop Header: Depth=1
	v_add_u32_e32 v3, v7, v5
	v_lshrrev_b32_e32 v3, 1, v3
	v_lshlrev_b64 v[13:14], 3, v[3:4]
	v_mov_b32_e32 v12, v4
	v_xad_u32 v11, v3, -1, v6
	v_lshlrev_b64 v[11:12], 3, v[11:12]
	v_add_co_u32_e32 v13, vcc, v2, v13
	v_addc_co_u32_e32 v14, vcc, v8, v14, vcc
	v_add_co_u32_e32 v11, vcc, v9, v11
	v_addc_co_u32_e32 v12, vcc, v10, v12, vcc
	global_load_dwordx2 v[13:14], v[13:14], off
	v_add_u32_e32 v15, 1, v3
	global_load_dwordx2 v[11:12], v[11:12], off
	s_waitcnt vmcnt(1)
	v_and_b32_e32 v14, s3, v14
	v_and_b32_e32 v13, s2, v13
	s_waitcnt vmcnt(0)
	v_and_b32_e32 v12, s3, v12
	v_and_b32_e32 v11, s2, v11
	v_cmp_gt_i64_e32 vcc, v[13:14], v[11:12]
	v_cndmask_b32_e32 v7, v7, v3, vcc
	v_cndmask_b32_e32 v5, v15, v5, vcc
	v_cmp_ge_u32_e32 vcc, v5, v7
	s_or_b64 s[4:5], vcc, s[4:5]
	s_andn2_b64 exec, exec, s[4:5]
	s_cbranch_execnz .LBB116_3
; %bb.4:
	s_or_b64 exec, exec, s[4:5]
.LBB116_5:
	s_or_b64 exec, exec, s[6:7]
	v_add_u32_e32 v2, v5, v1
	v_mov_b32_e32 v1, 0
	v_lshlrev_b64 v[0:1], 2, v[0:1]
	v_mov_b32_e32 v3, s1
	v_add_co_u32_e32 v0, vcc, s0, v0
	v_addc_co_u32_e32 v1, vcc, v3, v1, vcc
	global_store_dword v[0:1], v2, off
.LBB116_6:
	s_endpgm
	.section	.rodata,"a",@progbits
	.p2align	6, 0x0
	.amdhsa_kernel _ZN7rocprim17ROCPRIM_304000_NS6detail45device_block_merge_mergepath_partition_kernelINS1_37wrapped_merge_sort_block_merge_configINS0_14default_configElN2at4cuda3cub6detail10OpaqueTypeILi8EEEEEPljNS1_19radix_merge_compareILb0ELb1ElNS0_19identity_decomposerEEEEEvT0_T1_jPSH_T2_SH_
		.amdhsa_group_segment_fixed_size 0
		.amdhsa_private_segment_fixed_size 0
		.amdhsa_kernarg_size 36
		.amdhsa_user_sgpr_count 6
		.amdhsa_user_sgpr_private_segment_buffer 1
		.amdhsa_user_sgpr_dispatch_ptr 0
		.amdhsa_user_sgpr_queue_ptr 0
		.amdhsa_user_sgpr_kernarg_segment_ptr 1
		.amdhsa_user_sgpr_dispatch_id 0
		.amdhsa_user_sgpr_flat_scratch_init 0
		.amdhsa_user_sgpr_private_segment_size 0
		.amdhsa_uses_dynamic_stack 0
		.amdhsa_system_sgpr_private_segment_wavefront_offset 0
		.amdhsa_system_sgpr_workgroup_id_x 1
		.amdhsa_system_sgpr_workgroup_id_y 0
		.amdhsa_system_sgpr_workgroup_id_z 0
		.amdhsa_system_sgpr_workgroup_info 0
		.amdhsa_system_vgpr_workitem_id 0
		.amdhsa_next_free_vgpr 16
		.amdhsa_next_free_sgpr 10
		.amdhsa_reserve_vcc 1
		.amdhsa_reserve_flat_scratch 0
		.amdhsa_float_round_mode_32 0
		.amdhsa_float_round_mode_16_64 0
		.amdhsa_float_denorm_mode_32 3
		.amdhsa_float_denorm_mode_16_64 3
		.amdhsa_dx10_clamp 1
		.amdhsa_ieee_mode 1
		.amdhsa_fp16_overflow 0
		.amdhsa_exception_fp_ieee_invalid_op 0
		.amdhsa_exception_fp_denorm_src 0
		.amdhsa_exception_fp_ieee_div_zero 0
		.amdhsa_exception_fp_ieee_overflow 0
		.amdhsa_exception_fp_ieee_underflow 0
		.amdhsa_exception_fp_ieee_inexact 0
		.amdhsa_exception_int_div_zero 0
	.end_amdhsa_kernel
	.section	.text._ZN7rocprim17ROCPRIM_304000_NS6detail45device_block_merge_mergepath_partition_kernelINS1_37wrapped_merge_sort_block_merge_configINS0_14default_configElN2at4cuda3cub6detail10OpaqueTypeILi8EEEEEPljNS1_19radix_merge_compareILb0ELb1ElNS0_19identity_decomposerEEEEEvT0_T1_jPSH_T2_SH_,"axG",@progbits,_ZN7rocprim17ROCPRIM_304000_NS6detail45device_block_merge_mergepath_partition_kernelINS1_37wrapped_merge_sort_block_merge_configINS0_14default_configElN2at4cuda3cub6detail10OpaqueTypeILi8EEEEEPljNS1_19radix_merge_compareILb0ELb1ElNS0_19identity_decomposerEEEEEvT0_T1_jPSH_T2_SH_,comdat
.Lfunc_end116:
	.size	_ZN7rocprim17ROCPRIM_304000_NS6detail45device_block_merge_mergepath_partition_kernelINS1_37wrapped_merge_sort_block_merge_configINS0_14default_configElN2at4cuda3cub6detail10OpaqueTypeILi8EEEEEPljNS1_19radix_merge_compareILb0ELb1ElNS0_19identity_decomposerEEEEEvT0_T1_jPSH_T2_SH_, .Lfunc_end116-_ZN7rocprim17ROCPRIM_304000_NS6detail45device_block_merge_mergepath_partition_kernelINS1_37wrapped_merge_sort_block_merge_configINS0_14default_configElN2at4cuda3cub6detail10OpaqueTypeILi8EEEEEPljNS1_19radix_merge_compareILb0ELb1ElNS0_19identity_decomposerEEEEEvT0_T1_jPSH_T2_SH_
                                        ; -- End function
	.set _ZN7rocprim17ROCPRIM_304000_NS6detail45device_block_merge_mergepath_partition_kernelINS1_37wrapped_merge_sort_block_merge_configINS0_14default_configElN2at4cuda3cub6detail10OpaqueTypeILi8EEEEEPljNS1_19radix_merge_compareILb0ELb1ElNS0_19identity_decomposerEEEEEvT0_T1_jPSH_T2_SH_.num_vgpr, 16
	.set _ZN7rocprim17ROCPRIM_304000_NS6detail45device_block_merge_mergepath_partition_kernelINS1_37wrapped_merge_sort_block_merge_configINS0_14default_configElN2at4cuda3cub6detail10OpaqueTypeILi8EEEEEPljNS1_19radix_merge_compareILb0ELb1ElNS0_19identity_decomposerEEEEEvT0_T1_jPSH_T2_SH_.num_agpr, 0
	.set _ZN7rocprim17ROCPRIM_304000_NS6detail45device_block_merge_mergepath_partition_kernelINS1_37wrapped_merge_sort_block_merge_configINS0_14default_configElN2at4cuda3cub6detail10OpaqueTypeILi8EEEEEPljNS1_19radix_merge_compareILb0ELb1ElNS0_19identity_decomposerEEEEEvT0_T1_jPSH_T2_SH_.numbered_sgpr, 10
	.set _ZN7rocprim17ROCPRIM_304000_NS6detail45device_block_merge_mergepath_partition_kernelINS1_37wrapped_merge_sort_block_merge_configINS0_14default_configElN2at4cuda3cub6detail10OpaqueTypeILi8EEEEEPljNS1_19radix_merge_compareILb0ELb1ElNS0_19identity_decomposerEEEEEvT0_T1_jPSH_T2_SH_.num_named_barrier, 0
	.set _ZN7rocprim17ROCPRIM_304000_NS6detail45device_block_merge_mergepath_partition_kernelINS1_37wrapped_merge_sort_block_merge_configINS0_14default_configElN2at4cuda3cub6detail10OpaqueTypeILi8EEEEEPljNS1_19radix_merge_compareILb0ELb1ElNS0_19identity_decomposerEEEEEvT0_T1_jPSH_T2_SH_.private_seg_size, 0
	.set _ZN7rocprim17ROCPRIM_304000_NS6detail45device_block_merge_mergepath_partition_kernelINS1_37wrapped_merge_sort_block_merge_configINS0_14default_configElN2at4cuda3cub6detail10OpaqueTypeILi8EEEEEPljNS1_19radix_merge_compareILb0ELb1ElNS0_19identity_decomposerEEEEEvT0_T1_jPSH_T2_SH_.uses_vcc, 1
	.set _ZN7rocprim17ROCPRIM_304000_NS6detail45device_block_merge_mergepath_partition_kernelINS1_37wrapped_merge_sort_block_merge_configINS0_14default_configElN2at4cuda3cub6detail10OpaqueTypeILi8EEEEEPljNS1_19radix_merge_compareILb0ELb1ElNS0_19identity_decomposerEEEEEvT0_T1_jPSH_T2_SH_.uses_flat_scratch, 0
	.set _ZN7rocprim17ROCPRIM_304000_NS6detail45device_block_merge_mergepath_partition_kernelINS1_37wrapped_merge_sort_block_merge_configINS0_14default_configElN2at4cuda3cub6detail10OpaqueTypeILi8EEEEEPljNS1_19radix_merge_compareILb0ELb1ElNS0_19identity_decomposerEEEEEvT0_T1_jPSH_T2_SH_.has_dyn_sized_stack, 0
	.set _ZN7rocprim17ROCPRIM_304000_NS6detail45device_block_merge_mergepath_partition_kernelINS1_37wrapped_merge_sort_block_merge_configINS0_14default_configElN2at4cuda3cub6detail10OpaqueTypeILi8EEEEEPljNS1_19radix_merge_compareILb0ELb1ElNS0_19identity_decomposerEEEEEvT0_T1_jPSH_T2_SH_.has_recursion, 0
	.set _ZN7rocprim17ROCPRIM_304000_NS6detail45device_block_merge_mergepath_partition_kernelINS1_37wrapped_merge_sort_block_merge_configINS0_14default_configElN2at4cuda3cub6detail10OpaqueTypeILi8EEEEEPljNS1_19radix_merge_compareILb0ELb1ElNS0_19identity_decomposerEEEEEvT0_T1_jPSH_T2_SH_.has_indirect_call, 0
	.section	.AMDGPU.csdata,"",@progbits
; Kernel info:
; codeLenInByte = 380
; TotalNumSgprs: 14
; NumVgprs: 16
; ScratchSize: 0
; MemoryBound: 0
; FloatMode: 240
; IeeeMode: 1
; LDSByteSize: 0 bytes/workgroup (compile time only)
; SGPRBlocks: 1
; VGPRBlocks: 3
; NumSGPRsForWavesPerEU: 14
; NumVGPRsForWavesPerEU: 16
; Occupancy: 10
; WaveLimiterHint : 0
; COMPUTE_PGM_RSRC2:SCRATCH_EN: 0
; COMPUTE_PGM_RSRC2:USER_SGPR: 6
; COMPUTE_PGM_RSRC2:TRAP_HANDLER: 0
; COMPUTE_PGM_RSRC2:TGID_X_EN: 1
; COMPUTE_PGM_RSRC2:TGID_Y_EN: 0
; COMPUTE_PGM_RSRC2:TGID_Z_EN: 0
; COMPUTE_PGM_RSRC2:TIDIG_COMP_CNT: 0
	.section	.text._ZN7rocprim17ROCPRIM_304000_NS6detail35device_block_merge_mergepath_kernelINS1_37wrapped_merge_sort_block_merge_configINS0_14default_configElN2at4cuda3cub6detail10OpaqueTypeILi8EEEEEPlSC_PSA_SD_jNS1_19radix_merge_compareILb0ELb1ElNS0_19identity_decomposerEEEEEvT0_T1_T2_T3_T4_SL_jT5_PKSL_NS1_7vsmem_tE,"axG",@progbits,_ZN7rocprim17ROCPRIM_304000_NS6detail35device_block_merge_mergepath_kernelINS1_37wrapped_merge_sort_block_merge_configINS0_14default_configElN2at4cuda3cub6detail10OpaqueTypeILi8EEEEEPlSC_PSA_SD_jNS1_19radix_merge_compareILb0ELb1ElNS0_19identity_decomposerEEEEEvT0_T1_T2_T3_T4_SL_jT5_PKSL_NS1_7vsmem_tE,comdat
	.protected	_ZN7rocprim17ROCPRIM_304000_NS6detail35device_block_merge_mergepath_kernelINS1_37wrapped_merge_sort_block_merge_configINS0_14default_configElN2at4cuda3cub6detail10OpaqueTypeILi8EEEEEPlSC_PSA_SD_jNS1_19radix_merge_compareILb0ELb1ElNS0_19identity_decomposerEEEEEvT0_T1_T2_T3_T4_SL_jT5_PKSL_NS1_7vsmem_tE ; -- Begin function _ZN7rocprim17ROCPRIM_304000_NS6detail35device_block_merge_mergepath_kernelINS1_37wrapped_merge_sort_block_merge_configINS0_14default_configElN2at4cuda3cub6detail10OpaqueTypeILi8EEEEEPlSC_PSA_SD_jNS1_19radix_merge_compareILb0ELb1ElNS0_19identity_decomposerEEEEEvT0_T1_T2_T3_T4_SL_jT5_PKSL_NS1_7vsmem_tE
	.globl	_ZN7rocprim17ROCPRIM_304000_NS6detail35device_block_merge_mergepath_kernelINS1_37wrapped_merge_sort_block_merge_configINS0_14default_configElN2at4cuda3cub6detail10OpaqueTypeILi8EEEEEPlSC_PSA_SD_jNS1_19radix_merge_compareILb0ELb1ElNS0_19identity_decomposerEEEEEvT0_T1_T2_T3_T4_SL_jT5_PKSL_NS1_7vsmem_tE
	.p2align	8
	.type	_ZN7rocprim17ROCPRIM_304000_NS6detail35device_block_merge_mergepath_kernelINS1_37wrapped_merge_sort_block_merge_configINS0_14default_configElN2at4cuda3cub6detail10OpaqueTypeILi8EEEEEPlSC_PSA_SD_jNS1_19radix_merge_compareILb0ELb1ElNS0_19identity_decomposerEEEEEvT0_T1_T2_T3_T4_SL_jT5_PKSL_NS1_7vsmem_tE,@function
_ZN7rocprim17ROCPRIM_304000_NS6detail35device_block_merge_mergepath_kernelINS1_37wrapped_merge_sort_block_merge_configINS0_14default_configElN2at4cuda3cub6detail10OpaqueTypeILi8EEEEEPlSC_PSA_SD_jNS1_19radix_merge_compareILb0ELb1ElNS0_19identity_decomposerEEEEEvT0_T1_T2_T3_T4_SL_jT5_PKSL_NS1_7vsmem_tE: ; @_ZN7rocprim17ROCPRIM_304000_NS6detail35device_block_merge_mergepath_kernelINS1_37wrapped_merge_sort_block_merge_configINS0_14default_configElN2at4cuda3cub6detail10OpaqueTypeILi8EEEEEPlSC_PSA_SD_jNS1_19radix_merge_compareILb0ELb1ElNS0_19identity_decomposerEEEEEvT0_T1_T2_T3_T4_SL_jT5_PKSL_NS1_7vsmem_tE
; %bb.0:
	s_load_dwordx2 s[34:35], s[4:5], 0x48
	s_load_dwordx4 s[16:19], s[4:5], 0x20
	s_add_u32 s2, s4, 0x48
	s_addc_u32 s3, s5, 0
	s_waitcnt lgkmcnt(0)
	s_mul_i32 s0, s35, s8
	s_add_i32 s0, s0, s7
	s_mul_i32 s0, s0, s34
	s_add_i32 s0, s0, s6
	s_cmp_ge_u32 s0, s18
	s_cbranch_scc1 .LBB117_103
; %bb.1:
	s_load_dwordx8 s[8:15], s[4:5], 0x0
	s_load_dwordx4 s[20:23], s[4:5], 0x30
	s_lshr_b32 s35, s16, 10
	s_cmp_lg_u32 s0, s35
	s_mov_b32 s1, 0
	s_cselect_b64 s[24:25], -1, 0
	s_lshl_b64 s[4:5], s[0:1], 2
	s_waitcnt lgkmcnt(0)
	s_add_u32 s4, s22, s4
	s_addc_u32 s5, s23, s5
	s_load_dwordx2 s[22:23], s[4:5], 0x0
	s_lshr_b32 s4, s17, 9
	s_and_b32 s4, s4, 0x7ffffe
	s_sub_i32 s4, 0, s4
	s_and_b32 s5, s0, s4
	s_lshl_b32 s7, s5, 10
	s_lshl_b32 s18, s0, 10
	;; [unrolled: 1-line block ×3, first 2 shown]
	s_sub_i32 s19, s18, s7
	s_add_i32 s5, s5, s17
	s_add_i32 s19, s5, s19
	s_waitcnt lgkmcnt(0)
	s_sub_i32 s26, s19, s22
	s_sub_i32 s19, s19, s23
	;; [unrolled: 1-line block ×3, first 2 shown]
	s_min_u32 s26, s16, s26
	s_addk_i32 s19, 0x400
	s_or_b32 s4, s0, s4
	s_min_u32 s7, s16, s5
	s_add_i32 s5, s5, s17
	s_cmp_eq_u32 s4, -1
	s_cselect_b32 s4, s5, s19
	s_cselect_b32 s5, s7, s23
	s_min_u32 s4, s4, s16
	s_mov_b32 s23, s1
	s_sub_i32 s19, s5, s22
	s_sub_i32 s33, s4, s26
	s_lshl_b64 s[28:29], s[22:23], 3
	s_add_u32 s5, s8, s28
	s_mov_b32 s27, s1
	s_addc_u32 s7, s9, s29
	s_lshl_b64 s[30:31], s[26:27], 3
	s_add_u32 s4, s8, s30
	v_mov_b32_e32 v19, 0
	global_load_dword v1, v19, s[2:3] offset:14
	s_addc_u32 s8, s9, s31
	s_cmp_lt_u32 s6, s34
	s_cselect_b32 s1, 12, 18
	s_add_u32 s2, s2, s1
	s_addc_u32 s3, s3, 0
	global_load_ushort v2, v19, s[2:3]
	s_cmp_eq_u32 s0, s35
	v_cmp_gt_u32_e32 vcc, s19, v0
	v_lshlrev_b32_e32 v21, 3, v0
	s_waitcnt vmcnt(1)
	v_lshrrev_b32_e32 v3, 16, v1
	v_and_b32_e32 v1, 0xffff, v1
	v_mul_lo_u32 v1, v1, v3
	s_waitcnt vmcnt(0)
	v_mul_lo_u32 v20, v1, v2
	v_add_u32_e32 v18, v20, v0
	s_cbranch_scc1 .LBB117_3
; %bb.2:
	v_mov_b32_e32 v1, s7
	v_add_co_u32_e64 v3, s[0:1], s5, v21
	v_subrev_u32_e32 v2, s19, v0
	v_addc_co_u32_e64 v1, s[0:1], 0, v1, s[0:1]
	v_lshlrev_b32_e32 v2, 3, v2
	v_mov_b32_e32 v4, s8
	v_add_co_u32_e64 v5, s[0:1], s4, v2
	v_addc_co_u32_e64 v2, s[0:1], 0, v4, s[0:1]
	v_cndmask_b32_e32 v2, v2, v1, vcc
	v_cndmask_b32_e32 v1, v5, v3, vcc
	v_lshlrev_b64 v[3:4], 3, v[18:19]
	v_mov_b32_e32 v5, s7
	v_add_co_u32_e32 v6, vcc, s5, v3
	v_addc_co_u32_e32 v5, vcc, v5, v4, vcc
	v_subrev_co_u32_e32 v3, vcc, s19, v18
	v_mov_b32_e32 v4, v19
	v_lshlrev_b64 v[3:4], 3, v[3:4]
	v_mov_b32_e32 v7, s8
	v_add_co_u32_e64 v3, s[0:1], s4, v3
	v_addc_co_u32_e64 v4, s[0:1], v7, v4, s[0:1]
	v_add_u32_e32 v7, v18, v20
	v_mov_b32_e32 v8, v19
	v_cndmask_b32_e32 v4, v4, v5, vcc
	v_cndmask_b32_e32 v3, v3, v6, vcc
	v_lshlrev_b64 v[5:6], 3, v[7:8]
	v_mov_b32_e32 v8, s7
	v_add_co_u32_e32 v9, vcc, s5, v5
	v_addc_co_u32_e32 v8, vcc, v8, v6, vcc
	v_subrev_co_u32_e32 v5, vcc, s19, v7
	v_mov_b32_e32 v6, v19
	v_lshlrev_b64 v[5:6], 3, v[5:6]
	v_mov_b32_e32 v10, s8
	v_add_co_u32_e64 v5, s[0:1], s4, v5
	v_addc_co_u32_e64 v6, s[0:1], v10, v6, s[0:1]
	v_cndmask_b32_e32 v5, v5, v9, vcc
	v_add_u32_e32 v9, v7, v20
	v_mov_b32_e32 v10, v19
	v_cndmask_b32_e32 v6, v6, v8, vcc
	v_lshlrev_b64 v[7:8], 3, v[9:10]
	v_mov_b32_e32 v10, s7
	v_add_co_u32_e32 v11, vcc, s5, v7
	v_addc_co_u32_e32 v10, vcc, v10, v8, vcc
	v_subrev_co_u32_e32 v7, vcc, s19, v9
	v_mov_b32_e32 v8, v19
	v_lshlrev_b64 v[7:8], 3, v[7:8]
	v_mov_b32_e32 v12, s8
	v_add_co_u32_e64 v7, s[0:1], s4, v7
	v_addc_co_u32_e64 v8, s[0:1], v12, v8, s[0:1]
	v_cndmask_b32_e32 v7, v7, v11, vcc
	v_add_u32_e32 v11, v9, v20
	v_mov_b32_e32 v12, v19
	;; [unrolled: 14-line block ×5, first 2 shown]
	v_cndmask_b32_e32 v13, v13, v17, vcc
	v_lshlrev_b64 v[16:17], 3, v[15:16]
	v_mov_b32_e32 v22, s7
	v_add_co_u32_e32 v23, vcc, s5, v16
	v_addc_co_u32_e32 v17, vcc, v22, v17, vcc
	v_subrev_co_u32_e32 v15, vcc, s19, v15
	v_mov_b32_e32 v16, v19
	v_lshlrev_b64 v[15:16], 3, v[15:16]
	v_mov_b32_e32 v19, s8
	v_add_co_u32_e64 v15, s[0:1], s4, v15
	v_addc_co_u32_e64 v16, s[0:1], v19, v16, s[0:1]
	v_cndmask_b32_e32 v16, v16, v17, vcc
	v_cndmask_b32_e32 v15, v15, v23, vcc
	global_load_dwordx2 v[1:2], v[1:2], off
	s_add_i32 s17, s33, s19
	global_load_dwordx2 v[3:4], v[3:4], off
	s_nop 0
	global_load_dwordx2 v[5:6], v[5:6], off
	s_nop 0
	;; [unrolled: 2-line block ×6, first 2 shown]
	global_load_dwordx2 v[15:16], v[15:16], off
	s_cbranch_execz .LBB117_4
	s_branch .LBB117_21
.LBB117_3:
                                        ; implicit-def: $vgpr1_vgpr2_vgpr3_vgpr4_vgpr5_vgpr6_vgpr7_vgpr8_vgpr9_vgpr10_vgpr11_vgpr12_vgpr13_vgpr14_vgpr15_vgpr16
                                        ; implicit-def: $sgpr17
.LBB117_4:
	s_add_i32 s17, s33, s19
	s_waitcnt vmcnt(7)
	v_mov_b32_e32 v1, 0
	v_cmp_gt_u32_e32 vcc, s17, v0
	v_mov_b32_e32 v2, v1
	s_waitcnt vmcnt(6)
	v_mov_b32_e32 v3, v1
	v_mov_b32_e32 v4, v1
	s_waitcnt vmcnt(5)
	v_mov_b32_e32 v5, v1
	v_mov_b32_e32 v6, v1
	s_waitcnt vmcnt(4)
	v_mov_b32_e32 v7, v1
	v_mov_b32_e32 v8, v1
	s_waitcnt vmcnt(3)
	v_mov_b32_e32 v9, v1
	v_mov_b32_e32 v10, v1
	s_waitcnt vmcnt(2)
	v_mov_b32_e32 v11, v1
	v_mov_b32_e32 v12, v1
	s_waitcnt vmcnt(1)
	v_mov_b32_e32 v13, v1
	v_mov_b32_e32 v14, v1
	s_waitcnt vmcnt(0)
	v_mov_b32_e32 v15, v1
	v_mov_b32_e32 v16, v1
	s_and_saveexec_b64 s[0:1], vcc
	s_cbranch_execz .LBB117_6
; %bb.5:
	v_mov_b32_e32 v2, s7
	v_add_co_u32_e32 v4, vcc, s5, v21
	v_subrev_u32_e32 v3, s19, v0
	v_addc_co_u32_e32 v2, vcc, 0, v2, vcc
	v_lshlrev_b32_e32 v3, 3, v3
	v_mov_b32_e32 v5, s8
	v_add_co_u32_e32 v6, vcc, s4, v3
	v_addc_co_u32_e32 v3, vcc, 0, v5, vcc
	v_cmp_gt_u32_e32 vcc, s19, v0
	v_cndmask_b32_e32 v3, v3, v2, vcc
	v_cndmask_b32_e32 v2, v6, v4, vcc
	global_load_dwordx2 v[2:3], v[2:3], off
	v_mov_b32_e32 v4, v1
	v_mov_b32_e32 v5, v1
	;; [unrolled: 1-line block ×14, first 2 shown]
	s_waitcnt vmcnt(0)
	v_mov_b32_e32 v1, v2
	v_mov_b32_e32 v2, v3
	v_mov_b32_e32 v3, v4
	v_mov_b32_e32 v4, v5
	v_mov_b32_e32 v5, v6
	v_mov_b32_e32 v6, v7
	v_mov_b32_e32 v7, v8
	v_mov_b32_e32 v8, v9
	v_mov_b32_e32 v9, v10
	v_mov_b32_e32 v10, v11
	v_mov_b32_e32 v11, v12
	v_mov_b32_e32 v12, v13
	v_mov_b32_e32 v13, v14
	v_mov_b32_e32 v14, v15
	v_mov_b32_e32 v15, v16
	v_mov_b32_e32 v16, v17
.LBB117_6:
	s_or_b64 exec, exec, s[0:1]
	v_cmp_gt_u32_e32 vcc, s17, v18
	s_and_saveexec_b64 s[2:3], vcc
	s_cbranch_execz .LBB117_8
; %bb.7:
	v_mov_b32_e32 v19, 0
	v_lshlrev_b64 v[3:4], 3, v[18:19]
	v_mov_b32_e32 v17, s7
	v_add_co_u32_e32 v22, vcc, s5, v3
	v_addc_co_u32_e32 v17, vcc, v17, v4, vcc
	v_subrev_co_u32_e32 v3, vcc, s19, v18
	v_mov_b32_e32 v4, v19
	v_lshlrev_b64 v[3:4], 3, v[3:4]
	v_mov_b32_e32 v19, s8
	v_add_co_u32_e64 v3, s[0:1], s4, v3
	v_addc_co_u32_e64 v4, s[0:1], v19, v4, s[0:1]
	v_cndmask_b32_e32 v4, v4, v17, vcc
	v_cndmask_b32_e32 v3, v3, v22, vcc
	global_load_dwordx2 v[3:4], v[3:4], off
.LBB117_8:
	s_or_b64 exec, exec, s[2:3]
	v_add_u32_e32 v17, v18, v20
	v_cmp_gt_u32_e32 vcc, s17, v17
	s_and_saveexec_b64 s[2:3], vcc
	s_cbranch_execz .LBB117_10
; %bb.9:
	v_mov_b32_e32 v18, 0
	v_lshlrev_b64 v[5:6], 3, v[17:18]
	v_mov_b32_e32 v19, s7
	v_add_co_u32_e32 v22, vcc, s5, v5
	v_addc_co_u32_e32 v19, vcc, v19, v6, vcc
	v_subrev_co_u32_e32 v5, vcc, s19, v17
	v_mov_b32_e32 v6, v18
	v_lshlrev_b64 v[5:6], 3, v[5:6]
	v_mov_b32_e32 v18, s8
	v_add_co_u32_e64 v5, s[0:1], s4, v5
	v_addc_co_u32_e64 v6, s[0:1], v18, v6, s[0:1]
	v_cndmask_b32_e32 v6, v6, v19, vcc
	v_cndmask_b32_e32 v5, v5, v22, vcc
	global_load_dwordx2 v[5:6], v[5:6], off
.LBB117_10:
	s_or_b64 exec, exec, s[2:3]
	v_add_u32_e32 v17, v17, v20
	;; [unrolled: 21-line block ×6, first 2 shown]
	v_cmp_gt_u32_e32 vcc, s17, v17
	s_and_saveexec_b64 s[2:3], vcc
	s_cbranch_execz .LBB117_20
; %bb.19:
	v_mov_b32_e32 v18, 0
	v_lshlrev_b64 v[15:16], 3, v[17:18]
	v_mov_b32_e32 v19, s7
	v_add_co_u32_e32 v20, vcc, s5, v15
	v_addc_co_u32_e32 v19, vcc, v19, v16, vcc
	v_subrev_co_u32_e32 v17, vcc, s19, v17
	v_lshlrev_b64 v[15:16], 3, v[17:18]
	v_mov_b32_e32 v17, s8
	v_add_co_u32_e64 v15, s[0:1], s4, v15
	v_addc_co_u32_e64 v16, s[0:1], v17, v16, s[0:1]
	v_cndmask_b32_e32 v16, v16, v19, vcc
	v_cndmask_b32_e32 v15, v15, v20, vcc
	global_load_dwordx2 v[15:16], v[15:16], off
.LBB117_20:
	s_or_b64 exec, exec, s[2:3]
.LBB117_21:
	v_min_u32_e32 v18, s17, v21
	v_sub_u32_e64 v17, v18, s33 clamp
	v_min_u32_e32 v19, s19, v18
	v_cmp_lt_u32_e32 vcc, v17, v19
	s_waitcnt vmcnt(0)
	ds_write2st64_b64 v21, v[1:2], v[3:4] offset1:2
	ds_write2st64_b64 v21, v[5:6], v[7:8] offset0:4 offset1:6
	ds_write2st64_b64 v21, v[9:10], v[11:12] offset0:8 offset1:10
	;; [unrolled: 1-line block ×3, first 2 shown]
	s_waitcnt lgkmcnt(0)
	s_barrier
	s_and_saveexec_b64 s[0:1], vcc
	s_cbranch_execz .LBB117_25
; %bb.22:
	v_lshlrev_b32_e32 v20, 3, v18
	v_lshl_add_u32 v20, s19, 3, v20
	s_mov_b64 s[2:3], 0
.LBB117_23:                             ; =>This Inner Loop Header: Depth=1
	v_add_u32_e32 v22, v19, v17
	v_lshrrev_b32_e32 v26, 1, v22
	v_not_b32_e32 v24, v26
	v_lshlrev_b32_e32 v22, 3, v26
	v_lshl_add_u32 v24, v24, 3, v20
	ds_read_b64 v[22:23], v22
	ds_read_b64 v[24:25], v24
	v_add_u32_e32 v27, 1, v26
	s_waitcnt lgkmcnt(1)
	v_and_b32_e32 v23, s21, v23
	v_and_b32_e32 v22, s20, v22
	s_waitcnt lgkmcnt(0)
	v_and_b32_e32 v25, s21, v25
	v_and_b32_e32 v24, s20, v24
	v_cmp_gt_i64_e32 vcc, v[22:23], v[24:25]
	v_cndmask_b32_e32 v19, v19, v26, vcc
	v_cndmask_b32_e32 v17, v27, v17, vcc
	v_cmp_ge_u32_e32 vcc, v17, v19
	s_or_b64 s[2:3], vcc, s[2:3]
	s_andn2_b64 exec, exec, s[2:3]
	s_cbranch_execnz .LBB117_23
; %bb.24:
	s_or_b64 exec, exec, s[2:3]
.LBB117_25:
	s_or_b64 exec, exec, s[0:1]
	v_sub_u32_e32 v18, v18, v17
	v_add_u32_e32 v18, s19, v18
	v_cmp_ge_u32_e32 vcc, s19, v17
	v_cmp_ge_u32_e64 s[0:1], s17, v18
	s_or_b64 s[0:1], vcc, s[0:1]
	v_mov_b32_e32 v22, 0
	v_mov_b32_e32 v23, 0
	;; [unrolled: 1-line block ×8, first 2 shown]
	s_and_saveexec_b64 s[34:35], s[0:1]
	s_cbranch_execz .LBB117_31
; %bb.26:
	v_cmp_gt_u32_e32 vcc, s19, v17
                                        ; implicit-def: $vgpr1_vgpr2
	s_and_saveexec_b64 s[0:1], vcc
; %bb.27:
	v_lshlrev_b32_e32 v1, 3, v17
	ds_read_b64 v[1:2], v1
; %bb.28:
	s_or_b64 exec, exec, s[0:1]
	v_cmp_le_u32_e64 s[0:1], s17, v18
	v_cmp_gt_u32_e64 s[2:3], s17, v18
                                        ; implicit-def: $vgpr3_vgpr4
	s_and_saveexec_b64 s[4:5], s[2:3]
; %bb.29:
	v_lshlrev_b32_e32 v3, 3, v18
	ds_read_b64 v[3:4], v3
; %bb.30:
	s_or_b64 exec, exec, s[4:5]
	s_waitcnt lgkmcnt(0)
	v_and_b32_e32 v6, s21, v4
	v_and_b32_e32 v5, s20, v3
	v_and_b32_e32 v8, s21, v2
	v_and_b32_e32 v7, s20, v1
	v_cmp_le_i64_e64 s[2:3], v[7:8], v[5:6]
	v_mov_b32_e32 v15, s17
	s_and_b64 s[2:3], vcc, s[2:3]
	s_or_b64 vcc, s[0:1], s[2:3]
	v_mov_b32_e32 v16, s19
	v_cndmask_b32_e32 v22, v18, v17, vcc
	v_cndmask_b32_e32 v5, v15, v16, vcc
	v_add_u32_e32 v7, 1, v22
	v_add_u32_e32 v5, -1, v5
	v_min_u32_e32 v5, v7, v5
	v_lshlrev_b32_e32 v5, 3, v5
	ds_read_b64 v[5:6], v5
	v_cndmask_b32_e32 v13, v7, v18, vcc
	v_cndmask_b32_e32 v14, v17, v7, vcc
	v_cmp_gt_u32_e64 s[4:5], s19, v14
	v_cmp_le_u32_e64 s[0:1], s17, v13
	s_waitcnt lgkmcnt(0)
	v_cndmask_b32_e32 v9, v6, v4, vcc
	v_cndmask_b32_e32 v10, v5, v3, vcc
	;; [unrolled: 1-line block ×4, first 2 shown]
	v_and_b32_e32 v6, s21, v9
	v_and_b32_e32 v5, s20, v10
	;; [unrolled: 1-line block ×4, first 2 shown]
	v_cmp_le_i64_e64 s[2:3], v[7:8], v[5:6]
	v_cndmask_b32_e32 v2, v4, v2, vcc
	s_and_b64 s[2:3], s[4:5], s[2:3]
	s_or_b64 s[0:1], s[0:1], s[2:3]
	v_cndmask_b32_e64 v23, v13, v14, s[0:1]
	v_cndmask_b32_e64 v5, v15, v16, s[0:1]
	v_add_u32_e32 v7, 1, v23
	v_add_u32_e32 v5, -1, v5
	v_min_u32_e32 v5, v7, v5
	v_lshlrev_b32_e32 v5, 3, v5
	ds_read_b64 v[5:6], v5
	v_cndmask_b32_e64 v13, v7, v13, s[0:1]
	v_cndmask_b32_e64 v14, v14, v7, s[0:1]
	v_cmp_gt_u32_e64 s[6:7], s19, v14
	v_cmp_le_u32_e64 s[2:3], s17, v13
	s_waitcnt lgkmcnt(0)
	v_cndmask_b32_e64 v17, v6, v9, s[0:1]
	v_cndmask_b32_e64 v18, v5, v10, s[0:1]
	;; [unrolled: 1-line block ×4, first 2 shown]
	v_and_b32_e32 v6, s21, v17
	v_and_b32_e32 v5, s20, v18
	;; [unrolled: 1-line block ×4, first 2 shown]
	v_cmp_le_i64_e64 s[4:5], v[7:8], v[5:6]
	v_cndmask_b32_e32 v1, v3, v1, vcc
	s_and_b64 s[4:5], s[6:7], s[4:5]
	s_or_b64 s[2:3], s[2:3], s[4:5]
	v_cndmask_b32_e64 v24, v13, v14, s[2:3]
	v_cndmask_b32_e64 v5, v15, v16, s[2:3]
	v_add_u32_e32 v7, 1, v24
	v_add_u32_e32 v5, -1, v5
	v_min_u32_e32 v5, v7, v5
	v_lshlrev_b32_e32 v5, 3, v5
	ds_read_b64 v[5:6], v5
	v_cndmask_b32_e64 v13, v7, v13, s[2:3]
	v_cndmask_b32_e64 v14, v14, v7, s[2:3]
	v_cmp_gt_u32_e64 s[8:9], s19, v14
	v_cmp_le_u32_e64 s[4:5], s17, v13
	s_waitcnt lgkmcnt(0)
	v_cndmask_b32_e64 v28, v6, v17, s[2:3]
	v_cndmask_b32_e64 v29, v5, v18, s[2:3]
	;; [unrolled: 1-line block ×4, first 2 shown]
	v_and_b32_e32 v6, s21, v28
	v_and_b32_e32 v5, s20, v29
	;; [unrolled: 1-line block ×4, first 2 shown]
	v_cmp_le_i64_e64 s[6:7], v[7:8], v[5:6]
	s_and_b64 s[6:7], s[8:9], s[6:7]
	s_or_b64 s[4:5], s[4:5], s[6:7]
	v_cndmask_b32_e64 v25, v13, v14, s[4:5]
	v_cndmask_b32_e64 v5, v15, v16, s[4:5]
	v_add_u32_e32 v7, 1, v25
	v_add_u32_e32 v5, -1, v5
	v_min_u32_e32 v5, v7, v5
	v_lshlrev_b32_e32 v5, 3, v5
	ds_read_b64 v[5:6], v5
	v_cndmask_b32_e64 v14, v14, v7, s[4:5]
	v_cndmask_b32_e64 v13, v7, v13, s[4:5]
	v_cmp_gt_u32_e64 s[8:9], s19, v14
	v_cmp_le_u32_e32 vcc, s17, v13
	s_waitcnt lgkmcnt(0)
	v_cndmask_b32_e64 v32, v6, v28, s[4:5]
	v_cndmask_b32_e64 v33, v5, v29, s[4:5]
	;; [unrolled: 1-line block ×4, first 2 shown]
	v_and_b32_e32 v4, s21, v32
	v_and_b32_e32 v3, s20, v33
	;; [unrolled: 1-line block ×4, first 2 shown]
	v_cmp_le_i64_e64 s[6:7], v[5:6], v[3:4]
	v_cndmask_b32_e64 v6, v17, v19, s[2:3]
	s_and_b64 s[6:7], s[8:9], s[6:7]
	s_or_b64 vcc, vcc, s[6:7]
	v_cndmask_b32_e32 v26, v13, v14, vcc
	v_cndmask_b32_e32 v3, v15, v16, vcc
	v_add_u32_e32 v27, 1, v26
	v_add_u32_e32 v3, -1, v3
	v_min_u32_e32 v3, v27, v3
	v_lshlrev_b32_e32 v3, 3, v3
	ds_read_b64 v[7:8], v3
	v_cndmask_b32_e64 v5, v18, v20, s[2:3]
	v_cndmask_b32_e64 v4, v9, v11, s[0:1]
	;; [unrolled: 1-line block ×3, first 2 shown]
	v_cndmask_b32_e32 v14, v14, v27, vcc
	s_waitcnt lgkmcnt(0)
	v_cndmask_b32_e32 v17, v8, v32, vcc
	v_cndmask_b32_e32 v18, v7, v33, vcc
	;; [unrolled: 1-line block ×4, first 2 shown]
	v_and_b32_e32 v8, s21, v17
	v_and_b32_e32 v7, s20, v18
	;; [unrolled: 1-line block ×4, first 2 shown]
	v_cmp_le_i64_e64 s[2:3], v[9:10], v[7:8]
	v_cndmask_b32_e32 v13, v27, v13, vcc
	v_cmp_gt_u32_e64 s[6:7], s19, v14
	v_cmp_le_u32_e64 s[0:1], s17, v13
	s_and_b64 s[2:3], s[6:7], s[2:3]
	s_or_b64 s[0:1], s[0:1], s[2:3]
	v_cndmask_b32_e64 v27, v13, v14, s[0:1]
	v_cndmask_b32_e64 v7, v15, v16, s[0:1]
	v_add_u32_e32 v36, 1, v27
	v_add_u32_e32 v7, -1, v7
	v_min_u32_e32 v7, v36, v7
	v_lshlrev_b32_e32 v7, 3, v7
	ds_read_b64 v[11:12], v7
	v_cndmask_b32_e64 v8, v28, v30, s[4:5]
	v_cndmask_b32_e64 v7, v29, v31, s[4:5]
	v_cndmask_b32_e32 v10, v32, v34, vcc
	v_cndmask_b32_e32 v9, v33, v35, vcc
	s_waitcnt lgkmcnt(0)
	v_cndmask_b32_e64 v28, v12, v17, s[0:1]
	v_cndmask_b32_e64 v30, v11, v18, s[0:1]
	;; [unrolled: 1-line block ×6, first 2 shown]
	v_and_b32_e32 v12, s21, v28
	v_and_b32_e32 v11, s20, v30
	;; [unrolled: 1-line block ×4, first 2 shown]
	v_cmp_le_i64_e64 s[2:3], v[13:14], v[11:12]
	v_cmp_gt_u32_e64 s[4:5], s19, v34
	v_cmp_le_u32_e32 vcc, s17, v33
	s_and_b64 s[2:3], s[4:5], s[2:3]
	s_or_b64 vcc, vcc, s[2:3]
	v_cndmask_b32_e32 v29, v33, v34, vcc
	v_cndmask_b32_e32 v11, v15, v16, vcc
	v_add_u32_e32 v35, 1, v29
	v_add_u32_e32 v11, -1, v11
	v_min_u32_e32 v11, v35, v11
	v_lshlrev_b32_e32 v11, 3, v11
	ds_read_b64 v[15:16], v11
	v_cndmask_b32_e64 v12, v17, v19, s[0:1]
	v_cndmask_b32_e64 v11, v18, v20, s[0:1]
	v_cndmask_b32_e32 v14, v28, v31, vcc
	v_cndmask_b32_e32 v13, v30, v32, vcc
	s_waitcnt lgkmcnt(0)
	v_cndmask_b32_e32 v19, v16, v28, vcc
	v_cndmask_b32_e32 v20, v15, v30, vcc
	;; [unrolled: 1-line block ×4, first 2 shown]
	v_and_b32_e32 v16, s21, v19
	v_and_b32_e32 v15, s20, v20
	;; [unrolled: 1-line block ×4, first 2 shown]
	v_cndmask_b32_e32 v32, v34, v35, vcc
	v_cmp_le_i64_e64 s[0:1], v[17:18], v[15:16]
	v_cndmask_b32_e32 v28, v35, v33, vcc
	v_cmp_gt_u32_e64 s[2:3], s19, v32
	v_cmp_le_u32_e32 vcc, s17, v28
	s_and_b64 s[0:1], s[2:3], s[0:1]
	s_or_b64 vcc, vcc, s[0:1]
	v_cndmask_b32_e32 v28, v28, v32, vcc
	v_cndmask_b32_e32 v16, v19, v30, vcc
	;; [unrolled: 1-line block ×3, first 2 shown]
.LBB117_31:
	s_or_b64 exec, exec, s[34:35]
	s_add_u32 s8, s12, s28
	s_addc_u32 s9, s13, s29
	s_add_u32 s6, s12, s30
	v_cndmask_b32_e64 v17, 0, 1, s[24:25]
	s_addc_u32 s7, s13, s31
	v_cmp_gt_u32_e64 s[4:5], s19, v0
	v_cmp_ne_u32_e64 s[0:1], 1, v17
	s_andn2_b64 vcc, exec, s[24:25]
	v_cmp_le_u32_e64 s[2:3], s19, v0
	s_barrier
	s_cbranch_vccnz .LBB117_33
; %bb.32:
	v_subrev_u32_e32 v17, s19, v0
	v_lshlrev_b32_e32 v17, 3, v17
	v_mov_b32_e32 v18, s7
	v_add_co_u32_e32 v17, vcc, s6, v17
	v_addc_co_u32_e32 v18, vcc, 0, v18, vcc
	v_mov_b32_e32 v19, s9
	v_add_co_u32_e32 v20, vcc, s8, v21
	v_addc_co_u32_e32 v19, vcc, 0, v19, vcc
	v_cndmask_b32_e64 v18, v18, v19, s[4:5]
	v_or_b32_e32 v19, 0x80, v0
	v_cndmask_b32_e64 v17, v17, v20, s[4:5]
	v_subrev_u32_e32 v20, s19, v19
	v_min_u32_e32 v20, v19, v20
	v_cmp_gt_u32_e32 vcc, s19, v19
	v_mov_b32_e32 v42, s6
	v_mov_b32_e32 v43, s8
	;; [unrolled: 1-line block ×4, first 2 shown]
	v_cndmask_b32_e32 v19, v42, v43, vcc
	v_lshlrev_b32_e32 v20, 3, v20
	v_cndmask_b32_e32 v30, v40, v41, vcc
	v_add_co_u32_e32 v19, vcc, v19, v20
	v_addc_co_u32_e32 v20, vcc, 0, v30, vcc
	v_or_b32_e32 v30, 0x100, v0
	v_subrev_u32_e32 v31, s19, v30
	v_min_u32_e32 v31, v30, v31
	v_cmp_gt_u32_e32 vcc, s19, v30
	v_cndmask_b32_e32 v30, v42, v43, vcc
	v_lshlrev_b32_e32 v31, 3, v31
	v_cndmask_b32_e32 v32, v40, v41, vcc
	v_add_co_u32_e32 v30, vcc, v30, v31
	v_addc_co_u32_e32 v31, vcc, 0, v32, vcc
	v_or_b32_e32 v32, 0x180, v0
	v_subrev_u32_e32 v33, s19, v32
	v_min_u32_e32 v33, v32, v33
	v_cmp_gt_u32_e32 vcc, s19, v32
	;; [unrolled: 9-line block ×5, first 2 shown]
	global_load_dwordx2 v[17:18], v[17:18], off
	v_cndmask_b32_e32 v38, v42, v43, vcc
	global_load_dwordx2 v[19:20], v[19:20], off
	v_lshlrev_b32_e32 v39, 3, v39
	global_load_dwordx2 v[30:31], v[30:31], off
	v_cndmask_b32_e32 v44, v40, v41, vcc
	global_load_dwordx2 v[32:33], v[32:33], off
	v_add_co_u32_e32 v38, vcc, v38, v39
	global_load_dwordx2 v[34:35], v[34:35], off
	v_addc_co_u32_e32 v39, vcc, 0, v44, vcc
	global_load_dwordx2 v[36:37], v[36:37], off
	s_nop 0
	global_load_dwordx2 v[38:39], v[38:39], off
	s_mov_b64 s[4:5], -1
	s_waitcnt vmcnt(5)
	ds_write2st64_b64 v21, v[17:18], v[19:20] offset1:2
	s_waitcnt vmcnt(3)
	ds_write2st64_b64 v21, v[30:31], v[32:33] offset0:4 offset1:6
	s_waitcnt vmcnt(1)
	ds_write2st64_b64 v21, v[34:35], v[36:37] offset0:8 offset1:10
	s_waitcnt vmcnt(0)
	ds_write_b64 v21, v[38:39] offset:6144
	v_or_b32_e32 v30, 0x380, v0
	v_subrev_u32_e32 v17, s19, v30
	v_cmp_gt_u32_e32 vcc, s19, v30
	v_min_u32_e32 v19, v30, v17
	v_cndmask_b32_e32 v18, v40, v41, vcc
	v_cndmask_b32_e32 v17, v42, v43, vcc
	s_cbranch_execz .LBB117_34
	s_branch .LBB117_65
.LBB117_33:
	s_mov_b64 s[4:5], 0
                                        ; implicit-def: $vgpr30
                                        ; implicit-def: $vgpr17_vgpr18
                                        ; implicit-def: $vgpr19
.LBB117_34:
	s_mov_b64 s[4:5], 0
                                        ; implicit-def: $vgpr17_vgpr18
	s_and_saveexec_b64 s[20:21], s[2:3]
	s_xor_b64 s[2:3], exec, s[20:21]
	s_cbranch_execnz .LBB117_104
; %bb.35:
	s_andn2_saveexec_b64 s[2:3], s[2:3]
	s_cbranch_execnz .LBB117_107
.LBB117_36:
	s_or_b64 exec, exec, s[2:3]
	s_and_saveexec_b64 s[2:3], s[4:5]
	s_cbranch_execz .LBB117_38
.LBB117_37:
	global_load_dwordx2 v[17:18], v[17:18], off
	s_waitcnt vmcnt(0)
	ds_write_b64 v21, v[17:18]
.LBB117_38:
	s_or_b64 exec, exec, s[2:3]
	v_or_b32_e32 v19, 0x80, v0
	v_mov_b32_e32 v17, s22
	v_cmp_le_u32_e32 vcc, s19, v19
	s_mov_b64 s[2:3], -1
	v_mov_b32_e32 v18, s23
	s_and_saveexec_b64 s[4:5], vcc
; %bb.39:
	v_subrev_u32_e32 v19, s19, v19
	v_cmp_gt_u32_e32 vcc, s33, v19
	v_mov_b32_e32 v17, s26
	v_mov_b32_e32 v18, s27
	s_orn2_b64 s[2:3], vcc, exec
; %bb.40:
	s_or_b64 exec, exec, s[4:5]
	s_and_saveexec_b64 s[4:5], s[2:3]
	s_cbranch_execz .LBB117_42
; %bb.41:
	v_lshlrev_b64 v[17:18], 3, v[17:18]
	v_mov_b32_e32 v20, s13
	v_add_co_u32_e32 v17, vcc, s12, v17
	v_addc_co_u32_e32 v18, vcc, v20, v18, vcc
	v_lshlrev_b32_e32 v19, 3, v19
	v_add_co_u32_e32 v17, vcc, v17, v19
	v_addc_co_u32_e32 v18, vcc, 0, v18, vcc
	global_load_dwordx2 v[17:18], v[17:18], off
	s_waitcnt vmcnt(0)
	ds_write_b64 v21, v[17:18] offset:1024
.LBB117_42:
	s_or_b64 exec, exec, s[4:5]
	v_or_b32_e32 v19, 0x100, v0
	v_mov_b32_e32 v17, s22
	v_cmp_le_u32_e32 vcc, s19, v19
	s_mov_b64 s[2:3], -1
	v_mov_b32_e32 v18, s23
	s_and_saveexec_b64 s[4:5], vcc
; %bb.43:
	v_subrev_u32_e32 v19, s19, v19
	v_cmp_gt_u32_e32 vcc, s33, v19
	v_mov_b32_e32 v17, s26
	v_mov_b32_e32 v18, s27
	s_orn2_b64 s[2:3], vcc, exec
; %bb.44:
	s_or_b64 exec, exec, s[4:5]
	s_and_saveexec_b64 s[4:5], s[2:3]
	s_cbranch_execz .LBB117_46
; %bb.45:
	v_lshlrev_b64 v[17:18], 3, v[17:18]
	v_mov_b32_e32 v20, s13
	v_add_co_u32_e32 v17, vcc, s12, v17
	v_addc_co_u32_e32 v18, vcc, v20, v18, vcc
	v_lshlrev_b32_e32 v19, 3, v19
	v_add_co_u32_e32 v17, vcc, v17, v19
	v_addc_co_u32_e32 v18, vcc, 0, v18, vcc
	global_load_dwordx2 v[17:18], v[17:18], off
	s_waitcnt vmcnt(0)
	ds_write_b64 v21, v[17:18] offset:2048
.LBB117_46:
	;; [unrolled: 29-line block ×6, first 2 shown]
	s_or_b64 exec, exec, s[4:5]
	v_or_b32_e32 v30, 0x380, v0
	v_mov_b32_e32 v18, s9
	v_cmp_le_u32_e32 vcc, s19, v30
	s_mov_b64 s[4:5], -1
	v_mov_b32_e32 v17, s8
	v_mov_b32_e32 v19, v30
	s_and_saveexec_b64 s[2:3], vcc
; %bb.63:
	v_subrev_u32_e32 v19, s19, v30
	v_cmp_gt_u32_e32 vcc, s33, v19
	v_mov_b32_e32 v18, s7
	v_mov_b32_e32 v17, s6
	s_orn2_b64 s[4:5], vcc, exec
; %bb.64:
	s_or_b64 exec, exec, s[2:3]
.LBB117_65:
	s_and_saveexec_b64 s[2:3], s[4:5]
	s_cbranch_execz .LBB117_67
; %bb.66:
	v_mov_b32_e32 v20, 0
	v_lshlrev_b64 v[19:20], 3, v[19:20]
	v_add_co_u32_e32 v17, vcc, v17, v19
	v_addc_co_u32_e32 v18, vcc, v18, v20, vcc
	global_load_dwordx2 v[17:18], v[17:18], off
	v_lshlrev_b32_e32 v19, 3, v30
	s_waitcnt vmcnt(0)
	ds_write_b64 v19, v[17:18]
.LBB117_67:
	s_or_b64 exec, exec, s[2:3]
	s_and_b64 vcc, exec, s[0:1]
	v_add_u32_e32 v17, s18, v21
	s_waitcnt lgkmcnt(0)
	s_barrier
	s_cbranch_vccnz .LBB117_69
; %bb.68:
	v_lshlrev_b32_e32 v30, 3, v22
	v_lshlrev_b32_e32 v32, 3, v23
	;; [unrolled: 1-line block ×7, first 2 shown]
	v_mov_b32_e32 v18, 0
	ds_read_b64 v[30:31], v30
	ds_read_b64 v[32:33], v32
	;; [unrolled: 1-line block ×7, first 2 shown]
	v_lshlrev_b64 v[19:20], 3, v[17:18]
	v_mov_b32_e32 v44, s15
	v_add_co_u32_e32 v19, vcc, s14, v19
	v_addc_co_u32_e32 v20, vcc, v44, v20, vcc
	s_mov_b64 s[0:1], -1
	s_waitcnt lgkmcnt(5)
	global_store_dwordx4 v[19:20], v[30:33], off
	s_waitcnt lgkmcnt(3)
	global_store_dwordx4 v[19:20], v[34:37], off offset:16
	s_waitcnt lgkmcnt(1)
	global_store_dwordx4 v[19:20], v[38:41], off offset:32
	s_waitcnt lgkmcnt(0)
	global_store_dwordx2 v[19:20], v[42:43], off offset:48
	s_cbranch_execz .LBB117_70
	s_branch .LBB117_87
.LBB117_69:
	s_mov_b64 s[0:1], 0
.LBB117_70:
	v_cmp_gt_u32_e32 vcc, s17, v21
	s_and_saveexec_b64 s[2:3], vcc
	s_cbranch_execz .LBB117_72
; %bb.71:
	v_lshlrev_b32_e32 v22, 3, v22
	v_mov_b32_e32 v18, 0
	ds_read_b64 v[30:31], v22
	v_lshlrev_b64 v[18:19], 3, v[17:18]
	v_mov_b32_e32 v20, s15
	v_add_co_u32_e32 v18, vcc, s14, v18
	v_addc_co_u32_e32 v19, vcc, v20, v19, vcc
	s_waitcnt lgkmcnt(0)
	global_store_dwordx2 v[18:19], v[30:31], off
.LBB117_72:
	s_or_b64 exec, exec, s[2:3]
	v_or_b32_e32 v18, 1, v21
	v_cmp_gt_u32_e32 vcc, s17, v18
	s_and_saveexec_b64 s[2:3], vcc
	s_cbranch_execz .LBB117_74
; %bb.73:
	v_lshlrev_b32_e32 v22, 3, v23
	v_mov_b32_e32 v18, 0
	ds_read_b64 v[22:23], v22
	v_lshlrev_b64 v[18:19], 3, v[17:18]
	v_mov_b32_e32 v20, s15
	v_add_co_u32_e32 v18, vcc, s14, v18
	v_addc_co_u32_e32 v19, vcc, v20, v19, vcc
	s_waitcnt lgkmcnt(0)
	global_store_dwordx2 v[18:19], v[22:23], off offset:8
.LBB117_74:
	s_or_b64 exec, exec, s[2:3]
	v_or_b32_e32 v18, 2, v21
	v_cmp_gt_u32_e32 vcc, s17, v18
	s_and_saveexec_b64 s[2:3], vcc
	s_cbranch_execz .LBB117_76
; %bb.75:
	v_lshlrev_b32_e32 v22, 3, v24
	v_mov_b32_e32 v18, 0
	ds_read_b64 v[22:23], v22
	v_lshlrev_b64 v[18:19], 3, v[17:18]
	v_mov_b32_e32 v20, s15
	v_add_co_u32_e32 v18, vcc, s14, v18
	v_addc_co_u32_e32 v19, vcc, v20, v19, vcc
	s_waitcnt lgkmcnt(0)
	global_store_dwordx2 v[18:19], v[22:23], off offset:16
.LBB117_76:
	;; [unrolled: 16-line block ×6, first 2 shown]
	s_or_b64 exec, exec, s[2:3]
	v_or_b32_e32 v18, 7, v21
	v_cmp_gt_u32_e32 vcc, s17, v18
	s_and_saveexec_b64 s[2:3], vcc
; %bb.85:
	v_mov_b32_e32 v18, 0
	s_or_b64 s[0:1], s[0:1], exec
; %bb.86:
	s_or_b64 exec, exec, s[2:3]
.LBB117_87:
	s_and_saveexec_b64 s[2:3], s[0:1]
	s_cbranch_execz .LBB117_89
; %bb.88:
	v_lshlrev_b32_e32 v19, 3, v28
	ds_read_b64 v[19:20], v19
	v_lshlrev_b64 v[17:18], 3, v[17:18]
	v_mov_b32_e32 v22, s15
	v_add_co_u32_e32 v17, vcc, s14, v17
	v_addc_co_u32_e32 v18, vcc, v22, v18, vcc
	s_waitcnt lgkmcnt(0)
	global_store_dwordx2 v[17:18], v[19:20], off offset:56
.LBB117_89:
	s_or_b64 exec, exec, s[2:3]
	v_lshrrev_b32_e32 v17, 2, v0
	v_lshlrev_b32_e32 v18, 3, v21
	v_lshl_add_u32 v18, v17, 3, v18
	s_waitcnt vmcnt(0)
	s_barrier
	s_barrier
	ds_write2_b64 v18, v[1:2], v[3:4] offset1:1
	ds_write2_b64 v18, v[5:6], v[7:8] offset0:2 offset1:3
	ds_write2_b64 v18, v[9:10], v[11:12] offset0:4 offset1:5
	;; [unrolled: 1-line block ×3, first 2 shown]
	v_and_b32_e32 v1, 24, v17
	v_or_b32_e32 v24, 0x80, v0
	v_add_u32_e32 v25, v1, v21
	v_lshrrev_b32_e32 v1, 2, v24
	v_and_b32_e32 v1, 56, v1
	v_or_b32_e32 v23, 0x100, v0
	v_add_u32_e32 v5, v1, v21
	v_lshrrev_b32_e32 v1, 2, v23
	v_and_b32_e32 v1, 0x58, v1
	v_or_b32_e32 v22, 0x180, v0
	v_add_u32_e32 v6, v1, v21
	v_lshrrev_b32_e32 v1, 2, v22
	v_and_b32_e32 v1, 0x78, v1
	v_or_b32_e32 v20, 0x200, v0
	v_add_u32_e32 v7, v1, v21
	v_lshrrev_b32_e32 v1, 2, v20
	v_and_b32_e32 v1, 0x98, v1
	v_or_b32_e32 v19, 0x280, v0
	v_add_u32_e32 v8, v1, v21
	v_lshrrev_b32_e32 v1, 2, v19
	v_and_b32_e32 v1, 0xb8, v1
	v_or_b32_e32 v18, 0x300, v0
	s_mov_b32 s19, 0
	v_add_u32_e32 v26, v1, v21
	v_lshrrev_b32_e32 v1, 2, v18
	s_lshl_b64 s[0:1], s[18:19], 3
	v_and_b32_e32 v1, 0xd8, v1
	v_or_b32_e32 v17, 0x380, v0
	s_add_u32 s0, s10, s0
	v_add_u32_e32 v27, v1, v21
	v_lshrrev_b32_e32 v1, 2, v17
	s_addc_u32 s1, s11, s1
	v_and_b32_e32 v1, 0xf8, v1
	v_add_u32_e32 v28, v1, v21
	v_mov_b32_e32 v2, s1
	v_add_co_u32_e32 v1, vcc, s0, v21
	v_addc_co_u32_e32 v2, vcc, 0, v2, vcc
	s_and_b64 vcc, exec, s[24:25]
	s_waitcnt lgkmcnt(0)
	s_cbranch_vccz .LBB117_91
; %bb.90:
	s_barrier
	ds_read_b64 v[9:10], v25
	ds_read_b64 v[11:12], v5 offset:1024
	ds_read_b64 v[13:14], v6 offset:2048
	;; [unrolled: 1-line block ×7, first 2 shown]
	s_waitcnt lgkmcnt(7)
	global_store_dwordx2 v[1:2], v[9:10], off
	s_waitcnt lgkmcnt(6)
	global_store_dwordx2 v[1:2], v[11:12], off offset:1024
	s_waitcnt lgkmcnt(5)
	global_store_dwordx2 v[1:2], v[13:14], off offset:2048
	;; [unrolled: 2-line block ×3, first 2 shown]
	v_add_co_u32_e32 v9, vcc, 0x1000, v1
	v_addc_co_u32_e32 v10, vcc, 0, v2, vcc
	s_waitcnt lgkmcnt(3)
	global_store_dwordx2 v[9:10], v[29:30], off
	s_waitcnt lgkmcnt(2)
	global_store_dwordx2 v[9:10], v[31:32], off offset:1024
	s_waitcnt lgkmcnt(1)
	global_store_dwordx2 v[9:10], v[33:34], off offset:2048
	s_mov_b64 s[0:1], -1
	s_cbranch_execz .LBB117_92
	s_branch .LBB117_101
.LBB117_91:
	s_mov_b64 s[0:1], 0
                                        ; implicit-def: $vgpr3_vgpr4
.LBB117_92:
	s_waitcnt vmcnt(0) lgkmcnt(0)
	s_barrier
	ds_read_b64 v[15:16], v5 offset:1024
	ds_read_b64 v[13:14], v6 offset:2048
	;; [unrolled: 1-line block ×7, first 2 shown]
	s_sub_i32 s2, s16, s18
	v_cmp_gt_u32_e32 vcc, s2, v0
	s_and_saveexec_b64 s[0:1], vcc
	s_cbranch_execnz .LBB117_108
; %bb.93:
	s_or_b64 exec, exec, s[0:1]
	v_cmp_gt_u32_e32 vcc, s2, v24
	s_and_saveexec_b64 s[0:1], vcc
	s_cbranch_execnz .LBB117_109
.LBB117_94:
	s_or_b64 exec, exec, s[0:1]
	v_cmp_gt_u32_e32 vcc, s2, v23
	s_and_saveexec_b64 s[0:1], vcc
	s_cbranch_execnz .LBB117_110
.LBB117_95:
	s_or_b64 exec, exec, s[0:1]
	v_cmp_gt_u32_e32 vcc, s2, v22
	s_and_saveexec_b64 s[0:1], vcc
	s_cbranch_execnz .LBB117_111
.LBB117_96:
	s_or_b64 exec, exec, s[0:1]
	v_cmp_gt_u32_e32 vcc, s2, v20
	s_and_saveexec_b64 s[0:1], vcc
	s_cbranch_execnz .LBB117_112
.LBB117_97:
	s_or_b64 exec, exec, s[0:1]
	v_cmp_gt_u32_e32 vcc, s2, v19
	s_and_saveexec_b64 s[0:1], vcc
	s_cbranch_execnz .LBB117_113
.LBB117_98:
	s_or_b64 exec, exec, s[0:1]
	v_cmp_gt_u32_e32 vcc, s2, v18
	s_and_saveexec_b64 s[0:1], vcc
	s_cbranch_execz .LBB117_100
.LBB117_99:
	s_waitcnt lgkmcnt(2)
	v_add_co_u32_e32 v7, vcc, 0x1000, v1
	v_addc_co_u32_e32 v8, vcc, 0, v2, vcc
	s_waitcnt lgkmcnt(1)
	global_store_dwordx2 v[7:8], v[5:6], off offset:2048
.LBB117_100:
	s_or_b64 exec, exec, s[0:1]
	v_cmp_gt_u32_e64 s[0:1], s2, v17
.LBB117_101:
	s_and_saveexec_b64 s[2:3], s[0:1]
	s_cbranch_execz .LBB117_103
; %bb.102:
	v_add_co_u32_e32 v0, vcc, 0x1000, v1
	v_addc_co_u32_e32 v1, vcc, 0, v2, vcc
	s_waitcnt lgkmcnt(0)
	global_store_dwordx2 v[0:1], v[3:4], off offset:3072
.LBB117_103:
	s_endpgm
.LBB117_104:
	v_subrev_u32_e32 v19, s19, v0
	v_cmp_gt_u32_e32 vcc, s33, v19
                                        ; implicit-def: $vgpr17_vgpr18
	s_and_saveexec_b64 s[20:21], vcc
	s_xor_b64 s[20:21], exec, s[20:21]
; %bb.105:
	v_lshlrev_b32_e32 v17, 3, v19
	v_mov_b32_e32 v18, s7
	v_add_co_u32_e32 v17, vcc, s6, v17
	s_mov_b64 s[4:5], exec
	v_addc_co_u32_e32 v18, vcc, 0, v18, vcc
; %bb.106:
	s_or_b64 exec, exec, s[20:21]
	s_and_b64 s[4:5], s[4:5], exec
	s_andn2_saveexec_b64 s[2:3], s[2:3]
	s_cbranch_execz .LBB117_36
.LBB117_107:
	v_mov_b32_e32 v18, s9
	v_add_co_u32_e32 v17, vcc, s8, v21
	v_addc_co_u32_e32 v18, vcc, 0, v18, vcc
	s_or_b64 s[4:5], s[4:5], exec
	s_or_b64 exec, exec, s[2:3]
	s_and_saveexec_b64 s[2:3], s[4:5]
	s_cbranch_execnz .LBB117_37
	s_branch .LBB117_38
.LBB117_108:
	ds_read_b64 v[25:26], v25
	s_waitcnt lgkmcnt(0)
	global_store_dwordx2 v[1:2], v[25:26], off
	s_or_b64 exec, exec, s[0:1]
	v_cmp_gt_u32_e32 vcc, s2, v24
	s_and_saveexec_b64 s[0:1], vcc
	s_cbranch_execz .LBB117_94
.LBB117_109:
	s_waitcnt lgkmcnt(6)
	global_store_dwordx2 v[1:2], v[15:16], off offset:1024
	s_or_b64 exec, exec, s[0:1]
	v_cmp_gt_u32_e32 vcc, s2, v23
	s_and_saveexec_b64 s[0:1], vcc
	s_cbranch_execz .LBB117_95
.LBB117_110:
	s_waitcnt lgkmcnt(5)
	global_store_dwordx2 v[1:2], v[13:14], off offset:2048
	s_or_b64 exec, exec, s[0:1]
	v_cmp_gt_u32_e32 vcc, s2, v22
	s_and_saveexec_b64 s[0:1], vcc
	s_cbranch_execz .LBB117_96
.LBB117_111:
	s_waitcnt lgkmcnt(4)
	global_store_dwordx2 v[1:2], v[11:12], off offset:3072
	s_or_b64 exec, exec, s[0:1]
	v_cmp_gt_u32_e32 vcc, s2, v20
	s_and_saveexec_b64 s[0:1], vcc
	s_cbranch_execz .LBB117_97
.LBB117_112:
	s_waitcnt lgkmcnt(4)
	v_add_co_u32_e32 v11, vcc, 0x1000, v1
	v_addc_co_u32_e32 v12, vcc, 0, v2, vcc
	s_waitcnt lgkmcnt(3)
	global_store_dwordx2 v[11:12], v[9:10], off
	s_or_b64 exec, exec, s[0:1]
	v_cmp_gt_u32_e32 vcc, s2, v19
	s_and_saveexec_b64 s[0:1], vcc
	s_cbranch_execz .LBB117_98
.LBB117_113:
	s_waitcnt lgkmcnt(3)
	v_add_co_u32_e32 v9, vcc, 0x1000, v1
	v_addc_co_u32_e32 v10, vcc, 0, v2, vcc
	s_waitcnt lgkmcnt(2)
	global_store_dwordx2 v[9:10], v[7:8], off offset:1024
	s_or_b64 exec, exec, s[0:1]
	v_cmp_gt_u32_e32 vcc, s2, v18
	s_and_saveexec_b64 s[0:1], vcc
	s_cbranch_execnz .LBB117_99
	s_branch .LBB117_100
	.section	.rodata,"a",@progbits
	.p2align	6, 0x0
	.amdhsa_kernel _ZN7rocprim17ROCPRIM_304000_NS6detail35device_block_merge_mergepath_kernelINS1_37wrapped_merge_sort_block_merge_configINS0_14default_configElN2at4cuda3cub6detail10OpaqueTypeILi8EEEEEPlSC_PSA_SD_jNS1_19radix_merge_compareILb0ELb1ElNS0_19identity_decomposerEEEEEvT0_T1_T2_T3_T4_SL_jT5_PKSL_NS1_7vsmem_tE
		.amdhsa_group_segment_fixed_size 8448
		.amdhsa_private_segment_fixed_size 0
		.amdhsa_kernarg_size 328
		.amdhsa_user_sgpr_count 6
		.amdhsa_user_sgpr_private_segment_buffer 1
		.amdhsa_user_sgpr_dispatch_ptr 0
		.amdhsa_user_sgpr_queue_ptr 0
		.amdhsa_user_sgpr_kernarg_segment_ptr 1
		.amdhsa_user_sgpr_dispatch_id 0
		.amdhsa_user_sgpr_flat_scratch_init 0
		.amdhsa_user_sgpr_private_segment_size 0
		.amdhsa_uses_dynamic_stack 0
		.amdhsa_system_sgpr_private_segment_wavefront_offset 0
		.amdhsa_system_sgpr_workgroup_id_x 1
		.amdhsa_system_sgpr_workgroup_id_y 1
		.amdhsa_system_sgpr_workgroup_id_z 1
		.amdhsa_system_sgpr_workgroup_info 0
		.amdhsa_system_vgpr_workitem_id 0
		.amdhsa_next_free_vgpr 49
		.amdhsa_next_free_sgpr 98
		.amdhsa_reserve_vcc 1
		.amdhsa_reserve_flat_scratch 0
		.amdhsa_float_round_mode_32 0
		.amdhsa_float_round_mode_16_64 0
		.amdhsa_float_denorm_mode_32 3
		.amdhsa_float_denorm_mode_16_64 3
		.amdhsa_dx10_clamp 1
		.amdhsa_ieee_mode 1
		.amdhsa_fp16_overflow 0
		.amdhsa_exception_fp_ieee_invalid_op 0
		.amdhsa_exception_fp_denorm_src 0
		.amdhsa_exception_fp_ieee_div_zero 0
		.amdhsa_exception_fp_ieee_overflow 0
		.amdhsa_exception_fp_ieee_underflow 0
		.amdhsa_exception_fp_ieee_inexact 0
		.amdhsa_exception_int_div_zero 0
	.end_amdhsa_kernel
	.section	.text._ZN7rocprim17ROCPRIM_304000_NS6detail35device_block_merge_mergepath_kernelINS1_37wrapped_merge_sort_block_merge_configINS0_14default_configElN2at4cuda3cub6detail10OpaqueTypeILi8EEEEEPlSC_PSA_SD_jNS1_19radix_merge_compareILb0ELb1ElNS0_19identity_decomposerEEEEEvT0_T1_T2_T3_T4_SL_jT5_PKSL_NS1_7vsmem_tE,"axG",@progbits,_ZN7rocprim17ROCPRIM_304000_NS6detail35device_block_merge_mergepath_kernelINS1_37wrapped_merge_sort_block_merge_configINS0_14default_configElN2at4cuda3cub6detail10OpaqueTypeILi8EEEEEPlSC_PSA_SD_jNS1_19radix_merge_compareILb0ELb1ElNS0_19identity_decomposerEEEEEvT0_T1_T2_T3_T4_SL_jT5_PKSL_NS1_7vsmem_tE,comdat
.Lfunc_end117:
	.size	_ZN7rocprim17ROCPRIM_304000_NS6detail35device_block_merge_mergepath_kernelINS1_37wrapped_merge_sort_block_merge_configINS0_14default_configElN2at4cuda3cub6detail10OpaqueTypeILi8EEEEEPlSC_PSA_SD_jNS1_19radix_merge_compareILb0ELb1ElNS0_19identity_decomposerEEEEEvT0_T1_T2_T3_T4_SL_jT5_PKSL_NS1_7vsmem_tE, .Lfunc_end117-_ZN7rocprim17ROCPRIM_304000_NS6detail35device_block_merge_mergepath_kernelINS1_37wrapped_merge_sort_block_merge_configINS0_14default_configElN2at4cuda3cub6detail10OpaqueTypeILi8EEEEEPlSC_PSA_SD_jNS1_19radix_merge_compareILb0ELb1ElNS0_19identity_decomposerEEEEEvT0_T1_T2_T3_T4_SL_jT5_PKSL_NS1_7vsmem_tE
                                        ; -- End function
	.set _ZN7rocprim17ROCPRIM_304000_NS6detail35device_block_merge_mergepath_kernelINS1_37wrapped_merge_sort_block_merge_configINS0_14default_configElN2at4cuda3cub6detail10OpaqueTypeILi8EEEEEPlSC_PSA_SD_jNS1_19radix_merge_compareILb0ELb1ElNS0_19identity_decomposerEEEEEvT0_T1_T2_T3_T4_SL_jT5_PKSL_NS1_7vsmem_tE.num_vgpr, 45
	.set _ZN7rocprim17ROCPRIM_304000_NS6detail35device_block_merge_mergepath_kernelINS1_37wrapped_merge_sort_block_merge_configINS0_14default_configElN2at4cuda3cub6detail10OpaqueTypeILi8EEEEEPlSC_PSA_SD_jNS1_19radix_merge_compareILb0ELb1ElNS0_19identity_decomposerEEEEEvT0_T1_T2_T3_T4_SL_jT5_PKSL_NS1_7vsmem_tE.num_agpr, 0
	.set _ZN7rocprim17ROCPRIM_304000_NS6detail35device_block_merge_mergepath_kernelINS1_37wrapped_merge_sort_block_merge_configINS0_14default_configElN2at4cuda3cub6detail10OpaqueTypeILi8EEEEEPlSC_PSA_SD_jNS1_19radix_merge_compareILb0ELb1ElNS0_19identity_decomposerEEEEEvT0_T1_T2_T3_T4_SL_jT5_PKSL_NS1_7vsmem_tE.numbered_sgpr, 36
	.set _ZN7rocprim17ROCPRIM_304000_NS6detail35device_block_merge_mergepath_kernelINS1_37wrapped_merge_sort_block_merge_configINS0_14default_configElN2at4cuda3cub6detail10OpaqueTypeILi8EEEEEPlSC_PSA_SD_jNS1_19radix_merge_compareILb0ELb1ElNS0_19identity_decomposerEEEEEvT0_T1_T2_T3_T4_SL_jT5_PKSL_NS1_7vsmem_tE.num_named_barrier, 0
	.set _ZN7rocprim17ROCPRIM_304000_NS6detail35device_block_merge_mergepath_kernelINS1_37wrapped_merge_sort_block_merge_configINS0_14default_configElN2at4cuda3cub6detail10OpaqueTypeILi8EEEEEPlSC_PSA_SD_jNS1_19radix_merge_compareILb0ELb1ElNS0_19identity_decomposerEEEEEvT0_T1_T2_T3_T4_SL_jT5_PKSL_NS1_7vsmem_tE.private_seg_size, 0
	.set _ZN7rocprim17ROCPRIM_304000_NS6detail35device_block_merge_mergepath_kernelINS1_37wrapped_merge_sort_block_merge_configINS0_14default_configElN2at4cuda3cub6detail10OpaqueTypeILi8EEEEEPlSC_PSA_SD_jNS1_19radix_merge_compareILb0ELb1ElNS0_19identity_decomposerEEEEEvT0_T1_T2_T3_T4_SL_jT5_PKSL_NS1_7vsmem_tE.uses_vcc, 1
	.set _ZN7rocprim17ROCPRIM_304000_NS6detail35device_block_merge_mergepath_kernelINS1_37wrapped_merge_sort_block_merge_configINS0_14default_configElN2at4cuda3cub6detail10OpaqueTypeILi8EEEEEPlSC_PSA_SD_jNS1_19radix_merge_compareILb0ELb1ElNS0_19identity_decomposerEEEEEvT0_T1_T2_T3_T4_SL_jT5_PKSL_NS1_7vsmem_tE.uses_flat_scratch, 0
	.set _ZN7rocprim17ROCPRIM_304000_NS6detail35device_block_merge_mergepath_kernelINS1_37wrapped_merge_sort_block_merge_configINS0_14default_configElN2at4cuda3cub6detail10OpaqueTypeILi8EEEEEPlSC_PSA_SD_jNS1_19radix_merge_compareILb0ELb1ElNS0_19identity_decomposerEEEEEvT0_T1_T2_T3_T4_SL_jT5_PKSL_NS1_7vsmem_tE.has_dyn_sized_stack, 0
	.set _ZN7rocprim17ROCPRIM_304000_NS6detail35device_block_merge_mergepath_kernelINS1_37wrapped_merge_sort_block_merge_configINS0_14default_configElN2at4cuda3cub6detail10OpaqueTypeILi8EEEEEPlSC_PSA_SD_jNS1_19radix_merge_compareILb0ELb1ElNS0_19identity_decomposerEEEEEvT0_T1_T2_T3_T4_SL_jT5_PKSL_NS1_7vsmem_tE.has_recursion, 0
	.set _ZN7rocprim17ROCPRIM_304000_NS6detail35device_block_merge_mergepath_kernelINS1_37wrapped_merge_sort_block_merge_configINS0_14default_configElN2at4cuda3cub6detail10OpaqueTypeILi8EEEEEPlSC_PSA_SD_jNS1_19radix_merge_compareILb0ELb1ElNS0_19identity_decomposerEEEEEvT0_T1_T2_T3_T4_SL_jT5_PKSL_NS1_7vsmem_tE.has_indirect_call, 0
	.section	.AMDGPU.csdata,"",@progbits
; Kernel info:
; codeLenInByte = 6412
; TotalNumSgprs: 40
; NumVgprs: 45
; ScratchSize: 0
; MemoryBound: 1
; FloatMode: 240
; IeeeMode: 1
; LDSByteSize: 8448 bytes/workgroup (compile time only)
; SGPRBlocks: 12
; VGPRBlocks: 12
; NumSGPRsForWavesPerEU: 102
; NumVGPRsForWavesPerEU: 49
; Occupancy: 4
; WaveLimiterHint : 1
; COMPUTE_PGM_RSRC2:SCRATCH_EN: 0
; COMPUTE_PGM_RSRC2:USER_SGPR: 6
; COMPUTE_PGM_RSRC2:TRAP_HANDLER: 0
; COMPUTE_PGM_RSRC2:TGID_X_EN: 1
; COMPUTE_PGM_RSRC2:TGID_Y_EN: 1
; COMPUTE_PGM_RSRC2:TGID_Z_EN: 1
; COMPUTE_PGM_RSRC2:TIDIG_COMP_CNT: 0
	.section	.text._ZN7rocprim17ROCPRIM_304000_NS6detail33device_block_merge_oddeven_kernelINS1_37wrapped_merge_sort_block_merge_configINS0_14default_configElN2at4cuda3cub6detail10OpaqueTypeILi8EEEEEPlSC_PSA_SD_jNS1_19radix_merge_compareILb0ELb1ElNS0_19identity_decomposerEEEEEvT0_T1_T2_T3_T4_SL_T5_,"axG",@progbits,_ZN7rocprim17ROCPRIM_304000_NS6detail33device_block_merge_oddeven_kernelINS1_37wrapped_merge_sort_block_merge_configINS0_14default_configElN2at4cuda3cub6detail10OpaqueTypeILi8EEEEEPlSC_PSA_SD_jNS1_19radix_merge_compareILb0ELb1ElNS0_19identity_decomposerEEEEEvT0_T1_T2_T3_T4_SL_T5_,comdat
	.protected	_ZN7rocprim17ROCPRIM_304000_NS6detail33device_block_merge_oddeven_kernelINS1_37wrapped_merge_sort_block_merge_configINS0_14default_configElN2at4cuda3cub6detail10OpaqueTypeILi8EEEEEPlSC_PSA_SD_jNS1_19radix_merge_compareILb0ELb1ElNS0_19identity_decomposerEEEEEvT0_T1_T2_T3_T4_SL_T5_ ; -- Begin function _ZN7rocprim17ROCPRIM_304000_NS6detail33device_block_merge_oddeven_kernelINS1_37wrapped_merge_sort_block_merge_configINS0_14default_configElN2at4cuda3cub6detail10OpaqueTypeILi8EEEEEPlSC_PSA_SD_jNS1_19radix_merge_compareILb0ELb1ElNS0_19identity_decomposerEEEEEvT0_T1_T2_T3_T4_SL_T5_
	.globl	_ZN7rocprim17ROCPRIM_304000_NS6detail33device_block_merge_oddeven_kernelINS1_37wrapped_merge_sort_block_merge_configINS0_14default_configElN2at4cuda3cub6detail10OpaqueTypeILi8EEEEEPlSC_PSA_SD_jNS1_19radix_merge_compareILb0ELb1ElNS0_19identity_decomposerEEEEEvT0_T1_T2_T3_T4_SL_T5_
	.p2align	8
	.type	_ZN7rocprim17ROCPRIM_304000_NS6detail33device_block_merge_oddeven_kernelINS1_37wrapped_merge_sort_block_merge_configINS0_14default_configElN2at4cuda3cub6detail10OpaqueTypeILi8EEEEEPlSC_PSA_SD_jNS1_19radix_merge_compareILb0ELb1ElNS0_19identity_decomposerEEEEEvT0_T1_T2_T3_T4_SL_T5_,@function
_ZN7rocprim17ROCPRIM_304000_NS6detail33device_block_merge_oddeven_kernelINS1_37wrapped_merge_sort_block_merge_configINS0_14default_configElN2at4cuda3cub6detail10OpaqueTypeILi8EEEEEPlSC_PSA_SD_jNS1_19radix_merge_compareILb0ELb1ElNS0_19identity_decomposerEEEEEvT0_T1_T2_T3_T4_SL_T5_: ; @_ZN7rocprim17ROCPRIM_304000_NS6detail33device_block_merge_oddeven_kernelINS1_37wrapped_merge_sort_block_merge_configINS0_14default_configElN2at4cuda3cub6detail10OpaqueTypeILi8EEEEEPlSC_PSA_SD_jNS1_19radix_merge_compareILb0ELb1ElNS0_19identity_decomposerEEEEEvT0_T1_T2_T3_T4_SL_T5_
; %bb.0:
	s_load_dwordx2 s[18:19], s[4:5], 0x20
	s_waitcnt lgkmcnt(0)
	s_lshr_b32 s0, s18, 8
	s_cmp_eq_u32 s6, s0
	s_cselect_b64 s[16:17], -1, 0
	s_cmp_lg_u32 s6, s0
	s_cselect_b64 s[0:1], -1, 0
	s_lshl_b32 s20, s6, 8
	s_sub_i32 s2, s18, s20
	v_cmp_gt_u32_e64 s[2:3], s2, v0
	s_or_b64 s[0:1], s[0:1], s[2:3]
	s_and_saveexec_b64 s[8:9], s[0:1]
	s_cbranch_execz .LBB118_24
; %bb.1:
	s_load_dwordx8 s[8:15], s[4:5], 0x0
	s_mov_b32 s21, 0
	s_lshl_b64 s[0:1], s[20:21], 3
	v_lshlrev_b32_e32 v5, 3, v0
	s_waitcnt lgkmcnt(0)
	s_add_u32 s22, s8, s0
	s_addc_u32 s23, s9, s1
	s_add_u32 s0, s12, s0
	s_addc_u32 s1, s13, s1
	global_load_dwordx2 v[1:2], v5, s[0:1]
	global_load_dwordx2 v[3:4], v5, s[22:23]
	s_lshr_b32 s0, s19, 8
	s_sub_i32 s1, 0, s0
	s_and_b32 s1, s6, s1
	s_and_b32 s0, s1, s0
	s_lshl_b32 s21, s1, 8
	s_sub_i32 s12, 0, s19
	s_cmp_eq_u32 s0, 0
	s_cselect_b64 s[0:1], -1, 0
	s_and_b64 s[6:7], s[0:1], exec
	s_cselect_b32 s12, s19, s12
	s_add_i32 s12, s12, s21
	s_mov_b64 s[6:7], -1
	s_cmp_gt_u32 s18, s12
	v_add_u32_e32 v5, s20, v0
	s_cbranch_scc1 .LBB118_9
; %bb.2:
	s_and_b64 vcc, exec, s[16:17]
	s_cbranch_vccz .LBB118_6
; %bb.3:
	v_cmp_gt_u32_e32 vcc, s18, v5
	s_and_saveexec_b64 s[6:7], vcc
	s_cbranch_execz .LBB118_5
; %bb.4:
	v_mov_b32_e32 v6, 0
	v_lshlrev_b64 v[6:7], 3, v[5:6]
	v_mov_b32_e32 v0, s15
	v_add_co_u32_e32 v8, vcc, s14, v6
	v_addc_co_u32_e32 v9, vcc, v0, v7, vcc
	v_mov_b32_e32 v0, s11
	v_add_co_u32_e32 v6, vcc, s10, v6
	v_addc_co_u32_e32 v7, vcc, v0, v7, vcc
	s_waitcnt vmcnt(0)
	global_store_dwordx2 v[6:7], v[3:4], off
	global_store_dwordx2 v[8:9], v[1:2], off
.LBB118_5:
	s_or_b64 exec, exec, s[6:7]
	s_mov_b64 s[6:7], 0
.LBB118_6:
	s_andn2_b64 vcc, exec, s[6:7]
	s_cbranch_vccnz .LBB118_8
; %bb.7:
	v_mov_b32_e32 v6, 0
	v_lshlrev_b64 v[6:7], 3, v[5:6]
	v_mov_b32_e32 v0, s11
	v_add_co_u32_e32 v8, vcc, s10, v6
	v_addc_co_u32_e32 v9, vcc, v0, v7, vcc
	v_mov_b32_e32 v0, s15
	v_add_co_u32_e32 v6, vcc, s14, v6
	v_addc_co_u32_e32 v7, vcc, v0, v7, vcc
	s_waitcnt vmcnt(0)
	global_store_dwordx2 v[8:9], v[3:4], off
	global_store_dwordx2 v[6:7], v[1:2], off
.LBB118_8:
	s_mov_b64 s[6:7], 0
.LBB118_9:
	s_andn2_b64 vcc, exec, s[6:7]
	s_cbranch_vccnz .LBB118_24
; %bb.10:
	s_load_dwordx2 s[4:5], s[4:5], 0x28
	s_min_u32 s13, s12, s18
	s_add_i32 s6, s13, s19
	s_min_u32 s18, s6, s18
	s_min_u32 s6, s21, s13
	s_add_i32 s21, s21, s13
	v_subrev_u32_e32 v0, s21, v5
	v_add_u32_e32 v0, s6, v0
	s_waitcnt vmcnt(0) lgkmcnt(0)
	v_and_b32_e32 v6, s5, v4
	v_and_b32_e32 v5, s4, v3
	s_mov_b64 s[6:7], -1
	s_and_b64 vcc, exec, s[16:17]
	s_cbranch_vccz .LBB118_18
; %bb.11:
	s_and_saveexec_b64 s[6:7], s[2:3]
	s_cbranch_execz .LBB118_17
; %bb.12:
	s_cmp_ge_u32 s12, s18
	v_mov_b32_e32 v9, s13
	s_cbranch_scc1 .LBB118_16
; %bb.13:
	s_mov_b64 s[2:3], 0
	v_mov_b32_e32 v10, s18
	v_mov_b32_e32 v9, s13
	v_mov_b32_e32 v8, 0
	v_mov_b32_e32 v11, s9
.LBB118_14:                             ; =>This Inner Loop Header: Depth=1
	v_add_u32_e32 v7, v9, v10
	v_lshrrev_b32_e32 v7, 1, v7
	v_lshlrev_b64 v[12:13], 3, v[7:8]
	v_add_u32_e32 v14, 1, v7
	v_add_co_u32_e32 v12, vcc, s8, v12
	v_addc_co_u32_e32 v13, vcc, v11, v13, vcc
	global_load_dwordx2 v[12:13], v[12:13], off
	s_waitcnt vmcnt(0)
	v_and_b32_e32 v13, s5, v13
	v_and_b32_e32 v12, s4, v12
	v_cmp_gt_i64_e32 vcc, v[5:6], v[12:13]
	v_cndmask_b32_e64 v15, 0, 1, vcc
	v_cmp_le_i64_e32 vcc, v[12:13], v[5:6]
	v_cndmask_b32_e64 v12, 0, 1, vcc
	v_cndmask_b32_e64 v12, v12, v15, s[0:1]
	v_and_b32_e32 v12, 1, v12
	v_cmp_eq_u32_e32 vcc, 1, v12
	v_cndmask_b32_e32 v10, v7, v10, vcc
	v_cndmask_b32_e32 v9, v9, v14, vcc
	v_cmp_ge_u32_e32 vcc, v9, v10
	s_or_b64 s[2:3], vcc, s[2:3]
	s_andn2_b64 exec, exec, s[2:3]
	s_cbranch_execnz .LBB118_14
; %bb.15:
	s_or_b64 exec, exec, s[2:3]
.LBB118_16:
	v_add_u32_e32 v7, v9, v0
	v_mov_b32_e32 v8, 0
	v_lshlrev_b64 v[7:8], 3, v[7:8]
	v_mov_b32_e32 v10, s11
	v_add_co_u32_e32 v9, vcc, s10, v7
	v_addc_co_u32_e32 v10, vcc, v10, v8, vcc
	global_store_dwordx2 v[9:10], v[3:4], off
	v_mov_b32_e32 v9, s15
	v_add_co_u32_e32 v7, vcc, s14, v7
	v_addc_co_u32_e32 v8, vcc, v9, v8, vcc
	global_store_dwordx2 v[7:8], v[1:2], off
.LBB118_17:
	s_or_b64 exec, exec, s[6:7]
	s_mov_b64 s[6:7], 0
.LBB118_18:
	s_andn2_b64 vcc, exec, s[6:7]
	s_cbranch_vccnz .LBB118_24
; %bb.19:
	s_cmp_ge_u32 s12, s18
	v_mov_b32_e32 v9, s13
	s_cbranch_scc1 .LBB118_23
; %bb.20:
	s_mov_b64 s[2:3], 0
	v_mov_b32_e32 v10, s18
	v_mov_b32_e32 v9, s13
	;; [unrolled: 1-line block ×4, first 2 shown]
.LBB118_21:                             ; =>This Inner Loop Header: Depth=1
	v_add_u32_e32 v7, v9, v10
	v_lshrrev_b32_e32 v7, 1, v7
	v_lshlrev_b64 v[12:13], 3, v[7:8]
	v_add_u32_e32 v14, 1, v7
	v_add_co_u32_e32 v12, vcc, s8, v12
	v_addc_co_u32_e32 v13, vcc, v11, v13, vcc
	global_load_dwordx2 v[12:13], v[12:13], off
	s_waitcnt vmcnt(0)
	v_and_b32_e32 v13, s5, v13
	v_and_b32_e32 v12, s4, v12
	v_cmp_gt_i64_e32 vcc, v[5:6], v[12:13]
	v_cndmask_b32_e64 v15, 0, 1, vcc
	v_cmp_le_i64_e32 vcc, v[12:13], v[5:6]
	v_cndmask_b32_e64 v12, 0, 1, vcc
	v_cndmask_b32_e64 v12, v12, v15, s[0:1]
	v_and_b32_e32 v12, 1, v12
	v_cmp_eq_u32_e32 vcc, 1, v12
	v_cndmask_b32_e32 v10, v7, v10, vcc
	v_cndmask_b32_e32 v9, v9, v14, vcc
	v_cmp_ge_u32_e32 vcc, v9, v10
	s_or_b64 s[2:3], vcc, s[2:3]
	s_andn2_b64 exec, exec, s[2:3]
	s_cbranch_execnz .LBB118_21
; %bb.22:
	s_or_b64 exec, exec, s[2:3]
.LBB118_23:
	v_add_u32_e32 v5, v9, v0
	v_mov_b32_e32 v6, 0
	v_lshlrev_b64 v[5:6], 3, v[5:6]
	v_mov_b32_e32 v0, s11
	v_add_co_u32_e32 v7, vcc, s10, v5
	v_addc_co_u32_e32 v8, vcc, v0, v6, vcc
	global_store_dwordx2 v[7:8], v[3:4], off
	v_mov_b32_e32 v0, s15
	v_add_co_u32_e32 v3, vcc, s14, v5
	v_addc_co_u32_e32 v4, vcc, v0, v6, vcc
	global_store_dwordx2 v[3:4], v[1:2], off
.LBB118_24:
	s_endpgm
	.section	.rodata,"a",@progbits
	.p2align	6, 0x0
	.amdhsa_kernel _ZN7rocprim17ROCPRIM_304000_NS6detail33device_block_merge_oddeven_kernelINS1_37wrapped_merge_sort_block_merge_configINS0_14default_configElN2at4cuda3cub6detail10OpaqueTypeILi8EEEEEPlSC_PSA_SD_jNS1_19radix_merge_compareILb0ELb1ElNS0_19identity_decomposerEEEEEvT0_T1_T2_T3_T4_SL_T5_
		.amdhsa_group_segment_fixed_size 0
		.amdhsa_private_segment_fixed_size 0
		.amdhsa_kernarg_size 48
		.amdhsa_user_sgpr_count 6
		.amdhsa_user_sgpr_private_segment_buffer 1
		.amdhsa_user_sgpr_dispatch_ptr 0
		.amdhsa_user_sgpr_queue_ptr 0
		.amdhsa_user_sgpr_kernarg_segment_ptr 1
		.amdhsa_user_sgpr_dispatch_id 0
		.amdhsa_user_sgpr_flat_scratch_init 0
		.amdhsa_user_sgpr_private_segment_size 0
		.amdhsa_uses_dynamic_stack 0
		.amdhsa_system_sgpr_private_segment_wavefront_offset 0
		.amdhsa_system_sgpr_workgroup_id_x 1
		.amdhsa_system_sgpr_workgroup_id_y 0
		.amdhsa_system_sgpr_workgroup_id_z 0
		.amdhsa_system_sgpr_workgroup_info 0
		.amdhsa_system_vgpr_workitem_id 0
		.amdhsa_next_free_vgpr 16
		.amdhsa_next_free_sgpr 24
		.amdhsa_reserve_vcc 1
		.amdhsa_reserve_flat_scratch 0
		.amdhsa_float_round_mode_32 0
		.amdhsa_float_round_mode_16_64 0
		.amdhsa_float_denorm_mode_32 3
		.amdhsa_float_denorm_mode_16_64 3
		.amdhsa_dx10_clamp 1
		.amdhsa_ieee_mode 1
		.amdhsa_fp16_overflow 0
		.amdhsa_exception_fp_ieee_invalid_op 0
		.amdhsa_exception_fp_denorm_src 0
		.amdhsa_exception_fp_ieee_div_zero 0
		.amdhsa_exception_fp_ieee_overflow 0
		.amdhsa_exception_fp_ieee_underflow 0
		.amdhsa_exception_fp_ieee_inexact 0
		.amdhsa_exception_int_div_zero 0
	.end_amdhsa_kernel
	.section	.text._ZN7rocprim17ROCPRIM_304000_NS6detail33device_block_merge_oddeven_kernelINS1_37wrapped_merge_sort_block_merge_configINS0_14default_configElN2at4cuda3cub6detail10OpaqueTypeILi8EEEEEPlSC_PSA_SD_jNS1_19radix_merge_compareILb0ELb1ElNS0_19identity_decomposerEEEEEvT0_T1_T2_T3_T4_SL_T5_,"axG",@progbits,_ZN7rocprim17ROCPRIM_304000_NS6detail33device_block_merge_oddeven_kernelINS1_37wrapped_merge_sort_block_merge_configINS0_14default_configElN2at4cuda3cub6detail10OpaqueTypeILi8EEEEEPlSC_PSA_SD_jNS1_19radix_merge_compareILb0ELb1ElNS0_19identity_decomposerEEEEEvT0_T1_T2_T3_T4_SL_T5_,comdat
.Lfunc_end118:
	.size	_ZN7rocprim17ROCPRIM_304000_NS6detail33device_block_merge_oddeven_kernelINS1_37wrapped_merge_sort_block_merge_configINS0_14default_configElN2at4cuda3cub6detail10OpaqueTypeILi8EEEEEPlSC_PSA_SD_jNS1_19radix_merge_compareILb0ELb1ElNS0_19identity_decomposerEEEEEvT0_T1_T2_T3_T4_SL_T5_, .Lfunc_end118-_ZN7rocprim17ROCPRIM_304000_NS6detail33device_block_merge_oddeven_kernelINS1_37wrapped_merge_sort_block_merge_configINS0_14default_configElN2at4cuda3cub6detail10OpaqueTypeILi8EEEEEPlSC_PSA_SD_jNS1_19radix_merge_compareILb0ELb1ElNS0_19identity_decomposerEEEEEvT0_T1_T2_T3_T4_SL_T5_
                                        ; -- End function
	.set _ZN7rocprim17ROCPRIM_304000_NS6detail33device_block_merge_oddeven_kernelINS1_37wrapped_merge_sort_block_merge_configINS0_14default_configElN2at4cuda3cub6detail10OpaqueTypeILi8EEEEEPlSC_PSA_SD_jNS1_19radix_merge_compareILb0ELb1ElNS0_19identity_decomposerEEEEEvT0_T1_T2_T3_T4_SL_T5_.num_vgpr, 16
	.set _ZN7rocprim17ROCPRIM_304000_NS6detail33device_block_merge_oddeven_kernelINS1_37wrapped_merge_sort_block_merge_configINS0_14default_configElN2at4cuda3cub6detail10OpaqueTypeILi8EEEEEPlSC_PSA_SD_jNS1_19radix_merge_compareILb0ELb1ElNS0_19identity_decomposerEEEEEvT0_T1_T2_T3_T4_SL_T5_.num_agpr, 0
	.set _ZN7rocprim17ROCPRIM_304000_NS6detail33device_block_merge_oddeven_kernelINS1_37wrapped_merge_sort_block_merge_configINS0_14default_configElN2at4cuda3cub6detail10OpaqueTypeILi8EEEEEPlSC_PSA_SD_jNS1_19radix_merge_compareILb0ELb1ElNS0_19identity_decomposerEEEEEvT0_T1_T2_T3_T4_SL_T5_.numbered_sgpr, 24
	.set _ZN7rocprim17ROCPRIM_304000_NS6detail33device_block_merge_oddeven_kernelINS1_37wrapped_merge_sort_block_merge_configINS0_14default_configElN2at4cuda3cub6detail10OpaqueTypeILi8EEEEEPlSC_PSA_SD_jNS1_19radix_merge_compareILb0ELb1ElNS0_19identity_decomposerEEEEEvT0_T1_T2_T3_T4_SL_T5_.num_named_barrier, 0
	.set _ZN7rocprim17ROCPRIM_304000_NS6detail33device_block_merge_oddeven_kernelINS1_37wrapped_merge_sort_block_merge_configINS0_14default_configElN2at4cuda3cub6detail10OpaqueTypeILi8EEEEEPlSC_PSA_SD_jNS1_19radix_merge_compareILb0ELb1ElNS0_19identity_decomposerEEEEEvT0_T1_T2_T3_T4_SL_T5_.private_seg_size, 0
	.set _ZN7rocprim17ROCPRIM_304000_NS6detail33device_block_merge_oddeven_kernelINS1_37wrapped_merge_sort_block_merge_configINS0_14default_configElN2at4cuda3cub6detail10OpaqueTypeILi8EEEEEPlSC_PSA_SD_jNS1_19radix_merge_compareILb0ELb1ElNS0_19identity_decomposerEEEEEvT0_T1_T2_T3_T4_SL_T5_.uses_vcc, 1
	.set _ZN7rocprim17ROCPRIM_304000_NS6detail33device_block_merge_oddeven_kernelINS1_37wrapped_merge_sort_block_merge_configINS0_14default_configElN2at4cuda3cub6detail10OpaqueTypeILi8EEEEEPlSC_PSA_SD_jNS1_19radix_merge_compareILb0ELb1ElNS0_19identity_decomposerEEEEEvT0_T1_T2_T3_T4_SL_T5_.uses_flat_scratch, 0
	.set _ZN7rocprim17ROCPRIM_304000_NS6detail33device_block_merge_oddeven_kernelINS1_37wrapped_merge_sort_block_merge_configINS0_14default_configElN2at4cuda3cub6detail10OpaqueTypeILi8EEEEEPlSC_PSA_SD_jNS1_19radix_merge_compareILb0ELb1ElNS0_19identity_decomposerEEEEEvT0_T1_T2_T3_T4_SL_T5_.has_dyn_sized_stack, 0
	.set _ZN7rocprim17ROCPRIM_304000_NS6detail33device_block_merge_oddeven_kernelINS1_37wrapped_merge_sort_block_merge_configINS0_14default_configElN2at4cuda3cub6detail10OpaqueTypeILi8EEEEEPlSC_PSA_SD_jNS1_19radix_merge_compareILb0ELb1ElNS0_19identity_decomposerEEEEEvT0_T1_T2_T3_T4_SL_T5_.has_recursion, 0
	.set _ZN7rocprim17ROCPRIM_304000_NS6detail33device_block_merge_oddeven_kernelINS1_37wrapped_merge_sort_block_merge_configINS0_14default_configElN2at4cuda3cub6detail10OpaqueTypeILi8EEEEEPlSC_PSA_SD_jNS1_19radix_merge_compareILb0ELb1ElNS0_19identity_decomposerEEEEEvT0_T1_T2_T3_T4_SL_T5_.has_indirect_call, 0
	.section	.AMDGPU.csdata,"",@progbits
; Kernel info:
; codeLenInByte = 832
; TotalNumSgprs: 28
; NumVgprs: 16
; ScratchSize: 0
; MemoryBound: 0
; FloatMode: 240
; IeeeMode: 1
; LDSByteSize: 0 bytes/workgroup (compile time only)
; SGPRBlocks: 3
; VGPRBlocks: 3
; NumSGPRsForWavesPerEU: 28
; NumVGPRsForWavesPerEU: 16
; Occupancy: 10
; WaveLimiterHint : 0
; COMPUTE_PGM_RSRC2:SCRATCH_EN: 0
; COMPUTE_PGM_RSRC2:USER_SGPR: 6
; COMPUTE_PGM_RSRC2:TRAP_HANDLER: 0
; COMPUTE_PGM_RSRC2:TGID_X_EN: 1
; COMPUTE_PGM_RSRC2:TGID_Y_EN: 0
; COMPUTE_PGM_RSRC2:TGID_Z_EN: 0
; COMPUTE_PGM_RSRC2:TIDIG_COMP_CNT: 0
	.section	.text._ZN7rocprim17ROCPRIM_304000_NS6detail26onesweep_histograms_kernelINS1_34wrapped_radix_sort_onesweep_configINS0_14default_configElN2at4cuda3cub6detail10OpaqueTypeILi8EEEEELb0EPKlmNS0_19identity_decomposerEEEvT1_PT2_SG_SG_T3_jj,"axG",@progbits,_ZN7rocprim17ROCPRIM_304000_NS6detail26onesweep_histograms_kernelINS1_34wrapped_radix_sort_onesweep_configINS0_14default_configElN2at4cuda3cub6detail10OpaqueTypeILi8EEEEELb0EPKlmNS0_19identity_decomposerEEEvT1_PT2_SG_SG_T3_jj,comdat
	.protected	_ZN7rocprim17ROCPRIM_304000_NS6detail26onesweep_histograms_kernelINS1_34wrapped_radix_sort_onesweep_configINS0_14default_configElN2at4cuda3cub6detail10OpaqueTypeILi8EEEEELb0EPKlmNS0_19identity_decomposerEEEvT1_PT2_SG_SG_T3_jj ; -- Begin function _ZN7rocprim17ROCPRIM_304000_NS6detail26onesweep_histograms_kernelINS1_34wrapped_radix_sort_onesweep_configINS0_14default_configElN2at4cuda3cub6detail10OpaqueTypeILi8EEEEELb0EPKlmNS0_19identity_decomposerEEEvT1_PT2_SG_SG_T3_jj
	.globl	_ZN7rocprim17ROCPRIM_304000_NS6detail26onesweep_histograms_kernelINS1_34wrapped_radix_sort_onesweep_configINS0_14default_configElN2at4cuda3cub6detail10OpaqueTypeILi8EEEEELb0EPKlmNS0_19identity_decomposerEEEvT1_PT2_SG_SG_T3_jj
	.p2align	8
	.type	_ZN7rocprim17ROCPRIM_304000_NS6detail26onesweep_histograms_kernelINS1_34wrapped_radix_sort_onesweep_configINS0_14default_configElN2at4cuda3cub6detail10OpaqueTypeILi8EEEEELb0EPKlmNS0_19identity_decomposerEEEvT1_PT2_SG_SG_T3_jj,@function
_ZN7rocprim17ROCPRIM_304000_NS6detail26onesweep_histograms_kernelINS1_34wrapped_radix_sort_onesweep_configINS0_14default_configElN2at4cuda3cub6detail10OpaqueTypeILi8EEEEELb0EPKlmNS0_19identity_decomposerEEEvT1_PT2_SG_SG_T3_jj: ; @_ZN7rocprim17ROCPRIM_304000_NS6detail26onesweep_histograms_kernelINS1_34wrapped_radix_sort_onesweep_configINS0_14default_configElN2at4cuda3cub6detail10OpaqueTypeILi8EEEEELb0EPKlmNS0_19identity_decomposerEEEvT1_PT2_SG_SG_T3_jj
; %bb.0:
	s_load_dwordx8 s[12:19], s[4:5], 0x0
	s_load_dwordx2 s[20:21], s[4:5], 0x24
	v_mov_b32_e32 v1, s6
	v_mov_b32_e32 v2, 0
	s_mul_hi_u32 s0, s6, 0x6000
	s_waitcnt lgkmcnt(0)
	v_cmp_le_u64_e32 vcc, s[18:19], v[1:2]
	s_mulk_i32 s6, 0x6000
	s_add_u32 s12, s12, s6
	s_addc_u32 s13, s13, s0
	s_mov_b64 s[0:1], -1
	v_lshlrev_b32_e32 v15, 3, v0
	s_cbranch_vccz .LBB119_46
; %bb.1:
	s_mul_i32 s0, s18, 0xfffff400
	s_add_i32 s16, s0, s16
	v_mov_b32_e32 v1, s13
	v_add_co_u32_e32 v13, vcc, s12, v15
	v_addc_co_u32_e32 v14, vcc, 0, v1, vcc
	v_cmp_gt_u32_e64 s[10:11], s16, v0
                                        ; implicit-def: $vgpr11_vgpr12
	s_and_saveexec_b64 s[0:1], s[10:11]
	s_cbranch_execz .LBB119_3
; %bb.2:
	global_load_dwordx2 v[11:12], v[13:14], off
	s_waitcnt vmcnt(0)
	v_xor_b32_e32 v12, 0x80000000, v12
.LBB119_3:
	s_or_b64 exec, exec, s[0:1]
	v_or_b32_e32 v1, 0x200, v0
	v_cmp_gt_u32_e64 s[8:9], s16, v1
                                        ; implicit-def: $vgpr9_vgpr10
	s_and_saveexec_b64 s[0:1], s[8:9]
	s_cbranch_execz .LBB119_5
; %bb.4:
	v_add_co_u32_e32 v1, vcc, 0x1000, v13
	v_addc_co_u32_e32 v2, vcc, 0, v14, vcc
	global_load_dwordx2 v[9:10], v[1:2], off
	s_waitcnt vmcnt(0)
	v_xor_b32_e32 v10, 0x80000000, v10
.LBB119_5:
	s_or_b64 exec, exec, s[0:1]
	v_or_b32_e32 v1, 0x400, v0
	v_cmp_gt_u32_e64 s[6:7], s16, v1
                                        ; implicit-def: $vgpr7_vgpr8
	s_and_saveexec_b64 s[0:1], s[6:7]
	s_cbranch_execz .LBB119_7
; %bb.6:
	v_add_co_u32_e32 v1, vcc, 0x2000, v13
	v_addc_co_u32_e32 v2, vcc, 0, v14, vcc
	global_load_dwordx2 v[7:8], v[1:2], off
	s_waitcnt vmcnt(0)
	v_xor_b32_e32 v8, 0x80000000, v8
.LBB119_7:
	s_or_b64 exec, exec, s[0:1]
	v_or_b32_e32 v1, 0x600, v0
	v_cmp_gt_u32_e64 s[4:5], s16, v1
                                        ; implicit-def: $vgpr5_vgpr6
	s_and_saveexec_b64 s[0:1], s[4:5]
	s_cbranch_execz .LBB119_9
; %bb.8:
	v_add_co_u32_e32 v1, vcc, 0x3000, v13
	v_addc_co_u32_e32 v2, vcc, 0, v14, vcc
	global_load_dwordx2 v[5:6], v[1:2], off
	s_waitcnt vmcnt(0)
	v_xor_b32_e32 v6, 0x80000000, v6
.LBB119_9:
	s_or_b64 exec, exec, s[0:1]
	v_or_b32_e32 v1, 0x800, v0
	v_cmp_gt_u32_e64 s[2:3], s16, v1
                                        ; implicit-def: $vgpr3_vgpr4
	s_and_saveexec_b64 s[0:1], s[2:3]
	s_cbranch_execz .LBB119_11
; %bb.10:
	v_add_co_u32_e32 v1, vcc, 0x4000, v13
	v_addc_co_u32_e32 v2, vcc, 0, v14, vcc
	global_load_dwordx2 v[3:4], v[1:2], off
	s_waitcnt vmcnt(0)
	v_xor_b32_e32 v4, 0x80000000, v4
.LBB119_11:
	s_or_b64 exec, exec, s[0:1]
	v_or_b32_e32 v1, 0xa00, v0
	v_cmp_gt_u32_e64 s[0:1], s16, v1
                                        ; implicit-def: $vgpr1_vgpr2
	s_and_saveexec_b64 s[16:17], s[0:1]
	s_cbranch_execz .LBB119_13
; %bb.12:
	v_add_co_u32_e32 v1, vcc, 0x5000, v13
	v_addc_co_u32_e32 v2, vcc, 0, v14, vcc
	global_load_dwordx2 v[1:2], v[1:2], off
	s_waitcnt vmcnt(0)
	v_xor_b32_e32 v2, 0x80000000, v2
.LBB119_13:
	s_or_b64 exec, exec, s[16:17]
	v_or_b32_e32 v13, 0xfffffe00, v0
	v_lshlrev_b32_e32 v14, 2, v0
	s_mov_b64 s[16:17], 0
	v_mov_b32_e32 v16, 0
	s_movk_i32 s18, 0x1dff
.LBB119_14:                             ; =>This Inner Loop Header: Depth=1
	v_add_u32_e32 v13, 0x200, v13
	v_cmp_lt_u32_e32 vcc, s18, v13
	ds_write_b32 v14, v16
	s_or_b64 s[16:17], vcc, s[16:17]
	v_add_u32_e32 v14, 0x800, v14
	s_andn2_b64 exec, exec, s[16:17]
	s_cbranch_execnz .LBB119_14
; %bb.15:
	s_or_b64 exec, exec, s[16:17]
	s_cmp_gt_u32 s21, s20
	s_cselect_b64 s[16:17], -1, 0
	s_cmp_le_u32 s21, s20
	s_waitcnt lgkmcnt(0)
	s_barrier
	s_cbranch_scc1 .LBB119_40
; %bb.16:
	v_and_b32_e32 v13, 3, v0
	v_lshlrev_b32_e32 v13, 2, v13
	s_sub_i32 s22, s21, s20
	v_mov_b32_e32 v14, 1
	s_mov_b32 s23, s22
	v_mov_b32_e32 v16, v13
	s_mov_b32 s24, s20
	s_branch .LBB119_18
.LBB119_17:                             ;   in Loop: Header=BB119_18 Depth=1
	s_or_b64 exec, exec, s[18:19]
	s_add_i32 s24, s24, 8
	s_add_i32 s23, s23, -8
	s_cmp_lt_u32 s24, s21
	v_add_u32_e32 v16, 0x1000, v16
	s_cbranch_scc0 .LBB119_20
.LBB119_18:                             ; =>This Inner Loop Header: Depth=1
	s_and_saveexec_b64 s[18:19], s[10:11]
	s_cbranch_execz .LBB119_17
; %bb.19:                               ;   in Loop: Header=BB119_18 Depth=1
	v_lshrrev_b64 v[17:18], s24, v[11:12]
	s_min_u32 s25, s23, 8
	v_bfe_u32 v17, v17, 0, s25
	v_lshl_add_u32 v17, v17, 4, v16
	ds_add_u32 v17, v14
	s_branch .LBB119_17
.LBB119_20:
	v_mov_b32_e32 v11, 1
	s_mov_b32 s18, s22
	v_mov_b32_e32 v12, v13
	s_mov_b32 s19, s20
	s_branch .LBB119_22
.LBB119_21:                             ;   in Loop: Header=BB119_22 Depth=1
	s_or_b64 exec, exec, s[10:11]
	s_add_i32 s19, s19, 8
	s_add_i32 s18, s18, -8
	s_cmp_lt_u32 s19, s21
	v_add_u32_e32 v12, 0x1000, v12
	s_cbranch_scc0 .LBB119_24
.LBB119_22:                             ; =>This Inner Loop Header: Depth=1
	s_and_saveexec_b64 s[10:11], s[8:9]
	s_cbranch_execz .LBB119_21
; %bb.23:                               ;   in Loop: Header=BB119_22 Depth=1
	v_lshrrev_b64 v[16:17], s19, v[9:10]
	s_min_u32 s23, s18, 8
	v_bfe_u32 v14, v16, 0, s23
	v_lshl_add_u32 v14, v14, 4, v12
	ds_add_u32 v14, v11
	s_branch .LBB119_21
.LBB119_24:
	;; [unrolled: 23-line block ×5, first 2 shown]
	v_mov_b32_e32 v3, 1
	s_mov_b32 s4, s20
	s_branch .LBB119_38
.LBB119_37:                             ;   in Loop: Header=BB119_38 Depth=1
	s_or_b64 exec, exec, s[2:3]
	s_add_i32 s4, s4, 8
	s_add_i32 s22, s22, -8
	s_cmp_lt_u32 s4, s21
	v_add_u32_e32 v13, 0x1000, v13
	s_cbranch_scc0 .LBB119_40
.LBB119_38:                             ; =>This Inner Loop Header: Depth=1
	s_and_saveexec_b64 s[2:3], s[0:1]
	s_cbranch_execz .LBB119_37
; %bb.39:                               ;   in Loop: Header=BB119_38 Depth=1
	v_lshrrev_b64 v[4:5], s4, v[1:2]
	s_min_u32 s5, s22, 8
	v_bfe_u32 v4, v4, 0, s5
	v_lshl_add_u32 v4, v4, 4, v13
	ds_add_u32 v4, v3
	s_branch .LBB119_37
.LBB119_40:
	s_and_b64 vcc, exec, s[16:17]
	s_waitcnt lgkmcnt(0)
	s_barrier
	s_cbranch_vccz .LBB119_45
; %bb.41:
	s_movk_i32 s0, 0x100
	v_cmp_gt_u32_e32 vcc, s0, v0
	v_lshlrev_b32_e32 v3, 4, v0
	v_mov_b32_e32 v2, 0
	v_mov_b32_e32 v1, v0
	s_mov_b32 s4, s20
	s_branch .LBB119_43
.LBB119_42:                             ;   in Loop: Header=BB119_43 Depth=1
	s_or_b64 exec, exec, s[2:3]
	s_add_i32 s4, s4, 8
	v_add_u32_e32 v1, 0x100, v1
	s_cmp_lt_u32 s4, s21
	v_add_u32_e32 v3, 0x1000, v3
	s_cbranch_scc0 .LBB119_45
.LBB119_43:                             ; =>This Inner Loop Header: Depth=1
	s_and_saveexec_b64 s[2:3], vcc
	s_cbranch_execz .LBB119_42
; %bb.44:                               ;   in Loop: Header=BB119_43 Depth=1
	ds_read2_b32 v[4:5], v3 offset1:1
	ds_read2_b32 v[6:7], v3 offset0:2 offset1:3
	v_lshlrev_b64 v[8:9], 3, v[1:2]
	v_mov_b32_e32 v10, s15
	s_waitcnt lgkmcnt(1)
	v_add_u32_e32 v4, v5, v4
	s_waitcnt lgkmcnt(0)
	v_add3_u32 v4, v4, v6, v7
	v_add_co_u32_e64 v6, s[0:1], s14, v8
	v_addc_co_u32_e64 v7, s[0:1], v10, v9, s[0:1]
	v_mov_b32_e32 v5, v2
	global_atomic_add_x2 v[6:7], v[4:5], off
	s_branch .LBB119_42
.LBB119_45:
	s_mov_b64 s[0:1], 0
.LBB119_46:
	s_and_b64 vcc, exec, s[0:1]
	s_cbranch_vccz .LBB119_74
; %bb.47:
	v_mov_b32_e32 v1, s13
	v_add_co_u32_e32 v18, vcc, s12, v15
	v_addc_co_u32_e32 v19, vcc, 0, v1, vcc
	v_add_co_u32_e32 v1, vcc, 0x1000, v18
	v_addc_co_u32_e32 v2, vcc, 0, v19, vcc
	;; [unrolled: 2-line block ×5, first 2 shown]
	global_load_dwordx2 v[9:10], v[1:2], off
	global_load_dwordx2 v[7:8], v[11:12], off
	;; [unrolled: 1-line block ×4, first 2 shown]
	v_add_co_u32_e32 v13, vcc, 0x5000, v18
	v_addc_co_u32_e32 v14, vcc, 0, v19, vcc
	global_load_dwordx2 v[11:12], v15, s[12:13]
	global_load_dwordx2 v[1:2], v[13:14], off
	s_cmp_eq_u32 s20, 0
	s_cselect_b64 s[0:1], -1, 0
	s_cmp_eq_u32 s21, 64
	s_cselect_b64 s[2:3], -1, 0
	s_and_b64 s[2:3], s[0:1], s[2:3]
	v_mov_b32_e32 v13, 0
	s_mov_b64 s[0:1], -1
	s_and_b64 vcc, exec, s[2:3]
	v_lshlrev_b32_e32 v16, 2, v0
	s_cbranch_vccnz .LBB119_69
; %bb.48:
	v_or_b32_e32 v14, 0xfffffe00, v0
	v_lshlrev_b32_e32 v17, 2, v0
	s_mov_b64 s[0:1], 0
	s_movk_i32 s2, 0x1dff
.LBB119_49:                             ; =>This Inner Loop Header: Depth=1
	v_add_u32_e32 v14, 0x200, v14
	v_cmp_lt_u32_e32 vcc, s2, v14
	ds_write_b32 v17, v13
	s_or_b64 s[0:1], vcc, s[0:1]
	v_add_u32_e32 v17, 0x800, v17
	s_andn2_b64 exec, exec, s[0:1]
	s_cbranch_execnz .LBB119_49
; %bb.50:
	s_or_b64 exec, exec, s[0:1]
	s_cmp_gt_u32 s21, s20
	s_cselect_b64 s[0:1], -1, 0
	s_cmp_le_u32 s21, s20
	s_waitcnt vmcnt(0) lgkmcnt(0)
	s_barrier
	s_cbranch_scc1 .LBB119_63
; %bb.51:
	v_and_b32_e32 v17, 3, v0
	v_lshlrev_b32_e32 v17, 2, v17
	s_sub_i32 s2, s21, s20
	v_xor_b32_e32 v14, 0x80000000, v12
	v_mov_b32_e32 v13, v11
	v_mov_b32_e32 v18, 1
	s_mov_b32 s3, s2
	v_mov_b32_e32 v19, v17
	s_mov_b32 s4, s20
.LBB119_52:                             ; =>This Inner Loop Header: Depth=1
	v_lshrrev_b64 v[20:21], s4, v[13:14]
	s_min_u32 s5, s3, 8
	v_bfe_u32 v20, v20, 0, s5
	v_lshl_add_u32 v20, v20, 4, v19
	ds_add_u32 v20, v18
	s_add_i32 s4, s4, 8
	s_add_i32 s3, s3, -8
	s_cmp_lt_u32 s4, s21
	v_add_u32_e32 v19, 0x1000, v19
	s_cbranch_scc1 .LBB119_52
; %bb.53:
	v_xor_b32_e32 v14, 0x80000000, v10
	v_mov_b32_e32 v13, v9
	v_mov_b32_e32 v18, 1
	s_mov_b32 s3, s2
	v_mov_b32_e32 v19, v17
	s_mov_b32 s4, s20
.LBB119_54:                             ; =>This Inner Loop Header: Depth=1
	v_lshrrev_b64 v[20:21], s4, v[13:14]
	s_min_u32 s5, s3, 8
	v_bfe_u32 v20, v20, 0, s5
	v_lshl_add_u32 v20, v20, 4, v19
	ds_add_u32 v20, v18
	s_add_i32 s4, s4, 8
	s_add_i32 s3, s3, -8
	s_cmp_lt_u32 s4, s21
	v_add_u32_e32 v19, 0x1000, v19
	s_cbranch_scc1 .LBB119_54
; %bb.55:
	;; [unrolled: 18-line block ×5, first 2 shown]
	v_xor_b32_e32 v14, 0x80000000, v2
	v_mov_b32_e32 v13, v1
	v_mov_b32_e32 v18, 1
	s_mov_b32 s3, s20
.LBB119_62:                             ; =>This Inner Loop Header: Depth=1
	v_lshrrev_b64 v[19:20], s3, v[13:14]
	s_min_u32 s4, s2, 8
	v_bfe_u32 v19, v19, 0, s4
	v_lshl_add_u32 v19, v19, 4, v17
	ds_add_u32 v19, v18
	s_add_i32 s3, s3, 8
	s_add_i32 s2, s2, -8
	s_cmp_lt_u32 s3, s21
	v_add_u32_e32 v17, 0x1000, v17
	s_cbranch_scc1 .LBB119_62
.LBB119_63:
	s_and_b64 vcc, exec, s[0:1]
	s_waitcnt lgkmcnt(0)
	s_barrier
	s_cbranch_vccz .LBB119_68
; %bb.64:
	s_movk_i32 s0, 0x100
	v_cmp_gt_u32_e32 vcc, s0, v0
	v_lshlrev_b32_e32 v17, 4, v0
	v_mov_b32_e32 v14, 0
	v_mov_b32_e32 v13, v0
	s_branch .LBB119_66
.LBB119_65:                             ;   in Loop: Header=BB119_66 Depth=1
	s_or_b64 exec, exec, s[2:3]
	s_add_i32 s20, s20, 8
	v_add_u32_e32 v13, 0x100, v13
	s_cmp_ge_u32 s20, s21
	v_add_u32_e32 v17, 0x1000, v17
	s_cbranch_scc1 .LBB119_68
.LBB119_66:                             ; =>This Inner Loop Header: Depth=1
	s_and_saveexec_b64 s[2:3], vcc
	s_cbranch_execz .LBB119_65
; %bb.67:                               ;   in Loop: Header=BB119_66 Depth=1
	ds_read2_b32 v[18:19], v17 offset1:1
	ds_read2_b32 v[20:21], v17 offset0:2 offset1:3
	v_lshlrev_b64 v[22:23], 3, v[13:14]
	v_mov_b32_e32 v24, s15
	s_waitcnt lgkmcnt(1)
	v_add_u32_e32 v18, v19, v18
	s_waitcnt lgkmcnt(0)
	v_add3_u32 v18, v18, v20, v21
	v_add_co_u32_e64 v20, s[0:1], s14, v22
	v_addc_co_u32_e64 v21, s[0:1], v24, v23, s[0:1]
	v_mov_b32_e32 v19, v14
	global_atomic_add_x2 v[20:21], v[18:19], off
	s_branch .LBB119_65
.LBB119_68:
	s_mov_b64 s[0:1], 0
.LBB119_69:
	s_and_b64 vcc, exec, s[0:1]
	s_cbranch_vccz .LBB119_74
; %bb.70:
	v_or_b32_e32 v13, 0xfffffe00, v0
	s_mov_b64 s[0:1], 0
	v_mov_b32_e32 v14, 0
	s_movk_i32 s2, 0x1dff
.LBB119_71:                             ; =>This Inner Loop Header: Depth=1
	v_add_u32_e32 v13, 0x200, v13
	v_cmp_lt_u32_e32 vcc, s2, v13
	ds_write_b32 v16, v14
	s_or_b64 s[0:1], vcc, s[0:1]
	v_add_u32_e32 v16, 0x800, v16
	s_andn2_b64 exec, exec, s[0:1]
	s_cbranch_execnz .LBB119_71
; %bb.72:
	s_or_b64 exec, exec, s[0:1]
	v_and_b32_e32 v13, 3, v0
	s_waitcnt vmcnt(1)
	v_lshlrev_b32_e32 v14, 4, v11
	v_lshlrev_b32_e32 v13, 2, v13
	s_movk_i32 s0, 0xff0
	v_and_or_b32 v14, v14, s0, v13
	v_mov_b32_e32 v16, 1
	s_waitcnt vmcnt(0) lgkmcnt(0)
	s_barrier
	ds_add_u32 v14, v16
	v_bfe_u32 v14, v11, 8, 8
	v_lshl_or_b32 v14, v14, 4, v13
	ds_add_u32 v14, v16 offset:4096
	v_bfe_u32 v14, v11, 16, 8
	v_lshl_or_b32 v14, v14, 4, v13
	ds_add_u32 v14, v16 offset:8192
	v_lshrrev_b32_e32 v14, 24, v11
	v_alignbit_b32 v11, v12, v11, 30
	v_lshl_or_b32 v14, v14, 4, v13
	v_and_b32_e32 v11, 0x3fc, v11
	ds_add_u32 v14, v16 offset:12288
	v_lshl_or_b32 v11, v11, 2, v13
	ds_add_u32 v11, v16 offset:16384
	v_bfe_u32 v11, v12, 8, 8
	v_lshl_or_b32 v11, v11, 4, v13
	ds_add_u32 v11, v16 offset:20480
	v_bfe_u32 v11, v12, 16, 8
	v_lshl_or_b32 v11, v11, 4, v13
	ds_add_u32 v11, v16 offset:24576
	v_mov_b32_e32 v11, 2
	v_lshlrev_b32_sdwa v12, v11, v12 dst_sel:DWORD dst_unused:UNUSED_PAD src0_sel:DWORD src1_sel:BYTE_3
	v_xor_b32_e32 v12, 0x200, v12
	v_lshl_or_b32 v12, v12, 2, v13
	ds_add_u32 v12, v16 offset:28672
	v_lshlrev_b32_e32 v12, 4, v9
	v_and_or_b32 v12, v12, s0, v13
	ds_add_u32 v12, v16
	v_bfe_u32 v12, v9, 8, 8
	v_lshl_or_b32 v12, v12, 4, v13
	ds_add_u32 v12, v16 offset:4096
	v_bfe_u32 v12, v9, 16, 8
	v_lshl_or_b32 v12, v12, 4, v13
	ds_add_u32 v12, v16 offset:8192
	v_lshrrev_b32_e32 v12, 24, v9
	v_alignbit_b32 v9, v10, v9, 30
	v_lshl_or_b32 v12, v12, 4, v13
	v_and_b32_e32 v9, 0x3fc, v9
	ds_add_u32 v12, v16 offset:12288
	v_lshl_or_b32 v9, v9, 2, v13
	ds_add_u32 v9, v16 offset:16384
	v_bfe_u32 v9, v10, 8, 8
	v_lshl_or_b32 v9, v9, 4, v13
	ds_add_u32 v9, v16 offset:20480
	v_bfe_u32 v9, v10, 16, 8
	v_lshl_or_b32 v9, v9, 4, v13
	ds_add_u32 v9, v16 offset:24576
	v_lshlrev_b32_sdwa v9, v11, v10 dst_sel:DWORD dst_unused:UNUSED_PAD src0_sel:DWORD src1_sel:BYTE_3
	v_xor_b32_e32 v9, 0x200, v9
	v_lshl_or_b32 v9, v9, 2, v13
	ds_add_u32 v9, v16 offset:28672
	v_lshlrev_b32_e32 v9, 4, v7
	v_and_or_b32 v9, v9, s0, v13
	ds_add_u32 v9, v16
	v_bfe_u32 v9, v7, 8, 8
	v_lshl_or_b32 v9, v9, 4, v13
	ds_add_u32 v9, v16 offset:4096
	v_bfe_u32 v9, v7, 16, 8
	v_lshl_or_b32 v9, v9, 4, v13
	ds_add_u32 v9, v16 offset:8192
	v_lshrrev_b32_e32 v9, 24, v7
	v_alignbit_b32 v7, v8, v7, 30
	v_lshl_or_b32 v9, v9, 4, v13
	v_and_b32_e32 v7, 0x3fc, v7
	ds_add_u32 v9, v16 offset:12288
	v_lshl_or_b32 v7, v7, 2, v13
	ds_add_u32 v7, v16 offset:16384
	v_bfe_u32 v7, v8, 8, 8
	v_lshl_or_b32 v7, v7, 4, v13
	ds_add_u32 v7, v16 offset:20480
	v_bfe_u32 v7, v8, 16, 8
	v_lshl_or_b32 v7, v7, 4, v13
	ds_add_u32 v7, v16 offset:24576
	;; [unrolled: 26-line block ×5, first 2 shown]
	v_lshlrev_b32_sdwa v1, v11, v2 dst_sel:DWORD dst_unused:UNUSED_PAD src0_sel:DWORD src1_sel:BYTE_3
	v_xor_b32_e32 v1, 0x200, v1
	v_lshl_or_b32 v1, v1, 2, v13
	ds_add_u32 v1, v16 offset:28672
	s_movk_i32 s0, 0x100
	v_cmp_gt_u32_e32 vcc, s0, v0
	s_waitcnt lgkmcnt(0)
	s_barrier
	s_and_saveexec_b64 s[0:1], vcc
	s_cbranch_execz .LBB119_74
; %bb.73:
	v_lshlrev_b32_e32 v9, 4, v0
	ds_read2_b32 v[0:1], v9 offset1:1
	ds_read2_b32 v[2:3], v9 offset0:2 offset1:3
	v_mov_b32_e32 v4, 0
	v_add_u32_e32 v5, 0x1000, v9
	v_add_u32_e32 v6, 0x1008, v9
	s_waitcnt lgkmcnt(1)
	v_add_u32_e32 v0, v1, v0
	s_waitcnt lgkmcnt(0)
	v_add3_u32 v3, v0, v2, v3
	global_atomic_add_x2 v15, v[3:4], s[14:15]
	ds_read2_b32 v[0:1], v5 offset1:1
	ds_read2_b32 v[2:3], v6 offset1:1
	v_or_b32_e32 v6, 0x2000, v9
	v_or_b32_e32 v7, 0x2008, v9
	v_mov_b32_e32 v5, s15
	s_waitcnt lgkmcnt(1)
	v_add_u32_e32 v0, v1, v0
	s_waitcnt lgkmcnt(0)
	v_add3_u32 v3, v0, v2, v3
	global_atomic_add_x2 v15, v[3:4], s[14:15] offset:2048
	ds_read2_b32 v[0:1], v6 offset1:1
	ds_read2_b32 v[2:3], v7 offset1:1
	v_add_co_u32_e32 v10, vcc, s14, v15
	v_addc_co_u32_e32 v11, vcc, 0, v5, vcc
	s_movk_i32 s1, 0x2000
	s_waitcnt lgkmcnt(1)
	v_add_u32_e32 v0, v1, v0
	s_waitcnt lgkmcnt(0)
	v_add3_u32 v3, v0, v2, v3
	v_add_co_u32_e32 v0, vcc, s1, v10
	v_addc_co_u32_e32 v1, vcc, 0, v11, vcc
	global_atomic_add_x2 v[0:1], v[3:4], off offset:-4096
	v_add_u32_e32 v2, 0x3000, v9
	v_add_u32_e32 v5, 0x3008, v9
	ds_read2_b32 v[2:3], v2 offset1:1
	ds_read2_b32 v[5:6], v5 offset1:1
	s_movk_i32 s0, 0x1000
	v_add_co_u32_e32 v7, vcc, s0, v10
	s_waitcnt lgkmcnt(1)
	v_add_u32_e32 v2, v3, v2
	v_addc_co_u32_e32 v8, vcc, 0, v11, vcc
	s_waitcnt lgkmcnt(0)
	v_add3_u32 v3, v2, v5, v6
	global_atomic_add_x2 v[7:8], v[3:4], off offset:2048
	v_or_b32_e32 v2, 0x4000, v9
	v_or_b32_e32 v5, 0x4008, v9
	ds_read2_b32 v[2:3], v2 offset1:1
	ds_read2_b32 v[5:6], v5 offset1:1
	s_movk_i32 s0, 0x3000
	s_waitcnt lgkmcnt(1)
	v_add_u32_e32 v2, v3, v2
	s_waitcnt lgkmcnt(0)
	v_add3_u32 v3, v2, v5, v6
	global_atomic_add_x2 v[0:1], v[3:4], off
	v_add_u32_e32 v2, 0x5000, v9
	v_add_u32_e32 v5, 0x5008, v9
	ds_read2_b32 v[2:3], v2 offset1:1
	ds_read2_b32 v[5:6], v5 offset1:1
	s_waitcnt lgkmcnt(1)
	v_add_u32_e32 v2, v3, v2
	s_waitcnt lgkmcnt(0)
	v_add3_u32 v3, v2, v5, v6
	global_atomic_add_x2 v[0:1], v[3:4], off offset:2048
	v_or_b32_e32 v0, 0x6000, v9
	v_or_b32_e32 v2, 0x6008, v9
	ds_read2_b32 v[0:1], v0 offset1:1
	ds_read2_b32 v[2:3], v2 offset1:1
	v_add_u32_e32 v5, 0x7008, v9
	s_waitcnt lgkmcnt(1)
	v_add_u32_e32 v0, v1, v0
	s_waitcnt lgkmcnt(0)
	v_add3_u32 v3, v0, v2, v3
	v_add_co_u32_e32 v0, vcc, s0, v10
	v_addc_co_u32_e32 v1, vcc, 0, v11, vcc
	global_atomic_add_x2 v[0:1], v[3:4], off
	v_add_u32_e32 v2, 0x7000, v9
	ds_read2_b32 v[2:3], v2 offset1:1
	ds_read2_b32 v[5:6], v5 offset1:1
	s_waitcnt lgkmcnt(1)
	v_add_u32_e32 v2, v3, v2
	s_waitcnt lgkmcnt(0)
	v_add3_u32 v3, v2, v5, v6
	global_atomic_add_x2 v[0:1], v[3:4], off offset:2048
.LBB119_74:
	s_endpgm
	.section	.rodata,"a",@progbits
	.p2align	6, 0x0
	.amdhsa_kernel _ZN7rocprim17ROCPRIM_304000_NS6detail26onesweep_histograms_kernelINS1_34wrapped_radix_sort_onesweep_configINS0_14default_configElN2at4cuda3cub6detail10OpaqueTypeILi8EEEEELb0EPKlmNS0_19identity_decomposerEEEvT1_PT2_SG_SG_T3_jj
		.amdhsa_group_segment_fixed_size 32768
		.amdhsa_private_segment_fixed_size 0
		.amdhsa_kernarg_size 44
		.amdhsa_user_sgpr_count 6
		.amdhsa_user_sgpr_private_segment_buffer 1
		.amdhsa_user_sgpr_dispatch_ptr 0
		.amdhsa_user_sgpr_queue_ptr 0
		.amdhsa_user_sgpr_kernarg_segment_ptr 1
		.amdhsa_user_sgpr_dispatch_id 0
		.amdhsa_user_sgpr_flat_scratch_init 0
		.amdhsa_user_sgpr_private_segment_size 0
		.amdhsa_uses_dynamic_stack 0
		.amdhsa_system_sgpr_private_segment_wavefront_offset 0
		.amdhsa_system_sgpr_workgroup_id_x 1
		.amdhsa_system_sgpr_workgroup_id_y 0
		.amdhsa_system_sgpr_workgroup_id_z 0
		.amdhsa_system_sgpr_workgroup_info 0
		.amdhsa_system_vgpr_workitem_id 0
		.amdhsa_next_free_vgpr 49
		.amdhsa_next_free_sgpr 98
		.amdhsa_reserve_vcc 1
		.amdhsa_reserve_flat_scratch 0
		.amdhsa_float_round_mode_32 0
		.amdhsa_float_round_mode_16_64 0
		.amdhsa_float_denorm_mode_32 3
		.amdhsa_float_denorm_mode_16_64 3
		.amdhsa_dx10_clamp 1
		.amdhsa_ieee_mode 1
		.amdhsa_fp16_overflow 0
		.amdhsa_exception_fp_ieee_invalid_op 0
		.amdhsa_exception_fp_denorm_src 0
		.amdhsa_exception_fp_ieee_div_zero 0
		.amdhsa_exception_fp_ieee_overflow 0
		.amdhsa_exception_fp_ieee_underflow 0
		.amdhsa_exception_fp_ieee_inexact 0
		.amdhsa_exception_int_div_zero 0
	.end_amdhsa_kernel
	.section	.text._ZN7rocprim17ROCPRIM_304000_NS6detail26onesweep_histograms_kernelINS1_34wrapped_radix_sort_onesweep_configINS0_14default_configElN2at4cuda3cub6detail10OpaqueTypeILi8EEEEELb0EPKlmNS0_19identity_decomposerEEEvT1_PT2_SG_SG_T3_jj,"axG",@progbits,_ZN7rocprim17ROCPRIM_304000_NS6detail26onesweep_histograms_kernelINS1_34wrapped_radix_sort_onesweep_configINS0_14default_configElN2at4cuda3cub6detail10OpaqueTypeILi8EEEEELb0EPKlmNS0_19identity_decomposerEEEvT1_PT2_SG_SG_T3_jj,comdat
.Lfunc_end119:
	.size	_ZN7rocprim17ROCPRIM_304000_NS6detail26onesweep_histograms_kernelINS1_34wrapped_radix_sort_onesweep_configINS0_14default_configElN2at4cuda3cub6detail10OpaqueTypeILi8EEEEELb0EPKlmNS0_19identity_decomposerEEEvT1_PT2_SG_SG_T3_jj, .Lfunc_end119-_ZN7rocprim17ROCPRIM_304000_NS6detail26onesweep_histograms_kernelINS1_34wrapped_radix_sort_onesweep_configINS0_14default_configElN2at4cuda3cub6detail10OpaqueTypeILi8EEEEELb0EPKlmNS0_19identity_decomposerEEEvT1_PT2_SG_SG_T3_jj
                                        ; -- End function
	.set _ZN7rocprim17ROCPRIM_304000_NS6detail26onesweep_histograms_kernelINS1_34wrapped_radix_sort_onesweep_configINS0_14default_configElN2at4cuda3cub6detail10OpaqueTypeILi8EEEEELb0EPKlmNS0_19identity_decomposerEEEvT1_PT2_SG_SG_T3_jj.num_vgpr, 25
	.set _ZN7rocprim17ROCPRIM_304000_NS6detail26onesweep_histograms_kernelINS1_34wrapped_radix_sort_onesweep_configINS0_14default_configElN2at4cuda3cub6detail10OpaqueTypeILi8EEEEELb0EPKlmNS0_19identity_decomposerEEEvT1_PT2_SG_SG_T3_jj.num_agpr, 0
	.set _ZN7rocprim17ROCPRIM_304000_NS6detail26onesweep_histograms_kernelINS1_34wrapped_radix_sort_onesweep_configINS0_14default_configElN2at4cuda3cub6detail10OpaqueTypeILi8EEEEELb0EPKlmNS0_19identity_decomposerEEEvT1_PT2_SG_SG_T3_jj.numbered_sgpr, 26
	.set _ZN7rocprim17ROCPRIM_304000_NS6detail26onesweep_histograms_kernelINS1_34wrapped_radix_sort_onesweep_configINS0_14default_configElN2at4cuda3cub6detail10OpaqueTypeILi8EEEEELb0EPKlmNS0_19identity_decomposerEEEvT1_PT2_SG_SG_T3_jj.num_named_barrier, 0
	.set _ZN7rocprim17ROCPRIM_304000_NS6detail26onesweep_histograms_kernelINS1_34wrapped_radix_sort_onesweep_configINS0_14default_configElN2at4cuda3cub6detail10OpaqueTypeILi8EEEEELb0EPKlmNS0_19identity_decomposerEEEvT1_PT2_SG_SG_T3_jj.private_seg_size, 0
	.set _ZN7rocprim17ROCPRIM_304000_NS6detail26onesweep_histograms_kernelINS1_34wrapped_radix_sort_onesweep_configINS0_14default_configElN2at4cuda3cub6detail10OpaqueTypeILi8EEEEELb0EPKlmNS0_19identity_decomposerEEEvT1_PT2_SG_SG_T3_jj.uses_vcc, 1
	.set _ZN7rocprim17ROCPRIM_304000_NS6detail26onesweep_histograms_kernelINS1_34wrapped_radix_sort_onesweep_configINS0_14default_configElN2at4cuda3cub6detail10OpaqueTypeILi8EEEEELb0EPKlmNS0_19identity_decomposerEEEvT1_PT2_SG_SG_T3_jj.uses_flat_scratch, 0
	.set _ZN7rocprim17ROCPRIM_304000_NS6detail26onesweep_histograms_kernelINS1_34wrapped_radix_sort_onesweep_configINS0_14default_configElN2at4cuda3cub6detail10OpaqueTypeILi8EEEEELb0EPKlmNS0_19identity_decomposerEEEvT1_PT2_SG_SG_T3_jj.has_dyn_sized_stack, 0
	.set _ZN7rocprim17ROCPRIM_304000_NS6detail26onesweep_histograms_kernelINS1_34wrapped_radix_sort_onesweep_configINS0_14default_configElN2at4cuda3cub6detail10OpaqueTypeILi8EEEEELb0EPKlmNS0_19identity_decomposerEEEvT1_PT2_SG_SG_T3_jj.has_recursion, 0
	.set _ZN7rocprim17ROCPRIM_304000_NS6detail26onesweep_histograms_kernelINS1_34wrapped_radix_sort_onesweep_configINS0_14default_configElN2at4cuda3cub6detail10OpaqueTypeILi8EEEEELb0EPKlmNS0_19identity_decomposerEEEvT1_PT2_SG_SG_T3_jj.has_indirect_call, 0
	.section	.AMDGPU.csdata,"",@progbits
; Kernel info:
; codeLenInByte = 4072
; TotalNumSgprs: 30
; NumVgprs: 25
; ScratchSize: 0
; MemoryBound: 1
; FloatMode: 240
; IeeeMode: 1
; LDSByteSize: 32768 bytes/workgroup (compile time only)
; SGPRBlocks: 12
; VGPRBlocks: 12
; NumSGPRsForWavesPerEU: 102
; NumVGPRsForWavesPerEU: 49
; Occupancy: 4
; WaveLimiterHint : 1
; COMPUTE_PGM_RSRC2:SCRATCH_EN: 0
; COMPUTE_PGM_RSRC2:USER_SGPR: 6
; COMPUTE_PGM_RSRC2:TRAP_HANDLER: 0
; COMPUTE_PGM_RSRC2:TGID_X_EN: 1
; COMPUTE_PGM_RSRC2:TGID_Y_EN: 0
; COMPUTE_PGM_RSRC2:TGID_Z_EN: 0
; COMPUTE_PGM_RSRC2:TIDIG_COMP_CNT: 0
	.section	.text._ZN7rocprim17ROCPRIM_304000_NS6detail25onesweep_iteration_kernelINS1_34wrapped_radix_sort_onesweep_configINS0_14default_configElN2at4cuda3cub6detail10OpaqueTypeILi8EEEEELb0EPKlPlPKSA_PSA_mNS0_19identity_decomposerEEEvT1_T2_T3_T4_jPT5_SO_PNS1_23onesweep_lookback_stateET6_jjj,"axG",@progbits,_ZN7rocprim17ROCPRIM_304000_NS6detail25onesweep_iteration_kernelINS1_34wrapped_radix_sort_onesweep_configINS0_14default_configElN2at4cuda3cub6detail10OpaqueTypeILi8EEEEELb0EPKlPlPKSA_PSA_mNS0_19identity_decomposerEEEvT1_T2_T3_T4_jPT5_SO_PNS1_23onesweep_lookback_stateET6_jjj,comdat
	.protected	_ZN7rocprim17ROCPRIM_304000_NS6detail25onesweep_iteration_kernelINS1_34wrapped_radix_sort_onesweep_configINS0_14default_configElN2at4cuda3cub6detail10OpaqueTypeILi8EEEEELb0EPKlPlPKSA_PSA_mNS0_19identity_decomposerEEEvT1_T2_T3_T4_jPT5_SO_PNS1_23onesweep_lookback_stateET6_jjj ; -- Begin function _ZN7rocprim17ROCPRIM_304000_NS6detail25onesweep_iteration_kernelINS1_34wrapped_radix_sort_onesweep_configINS0_14default_configElN2at4cuda3cub6detail10OpaqueTypeILi8EEEEELb0EPKlPlPKSA_PSA_mNS0_19identity_decomposerEEEvT1_T2_T3_T4_jPT5_SO_PNS1_23onesweep_lookback_stateET6_jjj
	.globl	_ZN7rocprim17ROCPRIM_304000_NS6detail25onesweep_iteration_kernelINS1_34wrapped_radix_sort_onesweep_configINS0_14default_configElN2at4cuda3cub6detail10OpaqueTypeILi8EEEEELb0EPKlPlPKSA_PSA_mNS0_19identity_decomposerEEEvT1_T2_T3_T4_jPT5_SO_PNS1_23onesweep_lookback_stateET6_jjj
	.p2align	8
	.type	_ZN7rocprim17ROCPRIM_304000_NS6detail25onesweep_iteration_kernelINS1_34wrapped_radix_sort_onesweep_configINS0_14default_configElN2at4cuda3cub6detail10OpaqueTypeILi8EEEEELb0EPKlPlPKSA_PSA_mNS0_19identity_decomposerEEEvT1_T2_T3_T4_jPT5_SO_PNS1_23onesweep_lookback_stateET6_jjj,@function
_ZN7rocprim17ROCPRIM_304000_NS6detail25onesweep_iteration_kernelINS1_34wrapped_radix_sort_onesweep_configINS0_14default_configElN2at4cuda3cub6detail10OpaqueTypeILi8EEEEELb0EPKlPlPKSA_PSA_mNS0_19identity_decomposerEEEvT1_T2_T3_T4_jPT5_SO_PNS1_23onesweep_lookback_stateET6_jjj: ; @_ZN7rocprim17ROCPRIM_304000_NS6detail25onesweep_iteration_kernelINS1_34wrapped_radix_sort_onesweep_configINS0_14default_configElN2at4cuda3cub6detail10OpaqueTypeILi8EEEEELb0EPKlPlPKSA_PSA_mNS0_19identity_decomposerEEEvT1_T2_T3_T4_jPT5_SO_PNS1_23onesweep_lookback_stateET6_jjj
; %bb.0:
	s_load_dwordx4 s[48:51], s[4:5], 0x44
	s_load_dwordx8 s[36:43], s[4:5], 0x0
	s_load_dwordx4 s[44:47], s[4:5], 0x28
	s_load_dwordx2 s[30:31], s[4:5], 0x38
	s_mov_b64 s[0:1], -1
	s_waitcnt lgkmcnt(0)
	s_cmp_ge_u32 s6, s50
	s_mul_i32 s34, s6, 0xc00
	v_mbcnt_lo_u32_b32 v19, -1, 0
	s_cbranch_scc0 .LBB120_96
; %bb.1:
	s_load_dword s0, s[4:5], 0x20
	s_mul_i32 s1, s50, 0xfffff400
	s_mov_b32 s35, 0
	s_lshl_b64 s[50:51], s[34:35], 3
	v_mbcnt_hi_u32_b32 v22, -1, v19
	s_waitcnt lgkmcnt(0)
	s_add_i32 s35, s1, s0
	s_add_u32 s0, s36, s50
	s_addc_u32 s1, s37, s51
	v_and_b32_e32 v23, 0x1c0, v0
	v_lshlrev_b32_e32 v20, 3, v22
	v_mul_u32_u24_e32 v3, 6, v23
	v_mov_b32_e32 v4, s1
	v_add_co_u32_e32 v5, vcc, s0, v20
	v_addc_co_u32_e32 v4, vcc, 0, v4, vcc
	v_lshlrev_b32_e32 v21, 3, v3
	v_add_co_u32_e32 v15, vcc, v5, v21
	v_addc_co_u32_e32 v16, vcc, 0, v4, vcc
	v_or_b32_e32 v17, v22, v3
	v_mov_b32_e32 v3, -1
	v_mov_b32_e32 v5, -1
	;; [unrolled: 1-line block ×4, first 2 shown]
	v_cmp_gt_u32_e32 vcc, s35, v17
	s_and_saveexec_b64 s[0:1], vcc
	s_cbranch_execz .LBB120_3
; %bb.2:
	global_load_dwordx2 v[5:6], v[15:16], off
	s_waitcnt vmcnt(0)
	v_xor_b32_e32 v6, 0x80000000, v6
.LBB120_3:
	s_or_b64 exec, exec, s[0:1]
	v_add_u32_e32 v7, 64, v17
	v_cmp_gt_u32_e64 s[0:1], s35, v7
	s_and_saveexec_b64 s[2:3], s[0:1]
	s_cbranch_execz .LBB120_5
; %bb.4:
	global_load_dwordx2 v[3:4], v[15:16], off offset:512
	s_waitcnt vmcnt(0)
	v_xor_b32_e32 v4, 0x80000000, v4
.LBB120_5:
	s_or_b64 exec, exec, s[2:3]
	v_add_u32_e32 v11, 0x80, v17
	v_mov_b32_e32 v7, -1
	v_mov_b32_e32 v9, -1
	;; [unrolled: 1-line block ×4, first 2 shown]
	v_cmp_gt_u32_e64 s[2:3], s35, v11
	s_and_saveexec_b64 s[8:9], s[2:3]
	s_cbranch_execz .LBB120_7
; %bb.6:
	global_load_dwordx2 v[9:10], v[15:16], off offset:1024
	s_waitcnt vmcnt(0)
	v_xor_b32_e32 v10, 0x80000000, v10
.LBB120_7:
	s_or_b64 exec, exec, s[8:9]
	v_add_u32_e32 v11, 0xc0, v17
	v_cmp_gt_u32_e64 s[26:27], s35, v11
	s_and_saveexec_b64 s[8:9], s[26:27]
	s_cbranch_execz .LBB120_9
; %bb.8:
	global_load_dwordx2 v[7:8], v[15:16], off offset:1536
	s_waitcnt vmcnt(0)
	v_xor_b32_e32 v8, 0x80000000, v8
.LBB120_9:
	s_or_b64 exec, exec, s[8:9]
	v_add_u32_e32 v18, 0x100, v17
	v_mov_b32_e32 v11, -1
	v_mov_b32_e32 v13, -1
	;; [unrolled: 1-line block ×4, first 2 shown]
	v_cmp_gt_u32_e64 s[8:9], s35, v18
	s_and_saveexec_b64 s[10:11], s[8:9]
	s_cbranch_execz .LBB120_11
; %bb.10:
	global_load_dwordx2 v[13:14], v[15:16], off offset:2048
	s_waitcnt vmcnt(0)
	v_xor_b32_e32 v14, 0x80000000, v14
.LBB120_11:
	s_or_b64 exec, exec, s[10:11]
	v_add_u32_e32 v17, 0x140, v17
	v_cmp_gt_u32_e64 s[10:11], s35, v17
	s_and_saveexec_b64 s[12:13], s[10:11]
	s_cbranch_execz .LBB120_13
; %bb.12:
	global_load_dwordx2 v[11:12], v[15:16], off offset:2560
	s_waitcnt vmcnt(0)
	v_xor_b32_e32 v12, 0x80000000, v12
.LBB120_13:
	s_or_b64 exec, exec, s[12:13]
	s_load_dword s12, s[4:5], 0x5c
	s_load_dword s7, s[4:5], 0x50
	s_add_u32 s13, s4, 0x50
	s_addc_u32 s14, s5, 0
	v_mov_b32_e32 v15, 0
	s_waitcnt lgkmcnt(0)
	s_lshr_b32 s15, s12, 16
	s_cmp_lt_u32 s6, s7
	s_cselect_b32 s12, 12, 18
	s_add_u32 s12, s13, s12
	s_addc_u32 s13, s14, 0
	global_load_ushort v18, v15, s[12:13]
	v_lshrrev_b64 v[16:17], s48, v[5:6]
	s_lshl_b32 s12, -1, s49
	s_not_b32 s33, s12
	v_and_b32_e32 v25, s33, v16
	v_and_b32_e32 v26, 1, v25
	v_add_co_u32_e64 v28, s[12:13], -1, v26
	v_lshlrev_b32_e32 v16, 30, v25
	v_addc_co_u32_e64 v29, s[12:13], 0, -1, s[12:13]
	v_mad_u32_u24 v17, v2, s15, v1
	v_cmp_ne_u32_e64 s[12:13], 0, v26
	v_cmp_gt_i64_e64 s[14:15], 0, v[15:16]
	v_not_b32_e32 v26, v16
	v_lshlrev_b32_e32 v16, 29, v25
	v_xor_b32_e32 v29, s13, v29
	v_xor_b32_e32 v28, s12, v28
	v_ashrrev_i32_e32 v26, 31, v26
	v_cmp_gt_i64_e64 s[12:13], 0, v[15:16]
	v_not_b32_e32 v30, v16
	v_lshlrev_b32_e32 v16, 28, v25
	v_and_b32_e32 v29, exec_hi, v29
	v_and_b32_e32 v28, exec_lo, v28
	v_xor_b32_e32 v31, s15, v26
	v_xor_b32_e32 v26, s14, v26
	v_ashrrev_i32_e32 v30, 31, v30
	v_cmp_gt_i64_e64 s[14:15], 0, v[15:16]
	v_not_b32_e32 v32, v16
	v_lshlrev_b32_e32 v16, 27, v25
	v_and_b32_e32 v29, v29, v31
	v_and_b32_e32 v26, v28, v26
	v_xor_b32_e32 v28, s13, v30
	v_xor_b32_e32 v30, s12, v30
	v_ashrrev_i32_e32 v31, 31, v32
	v_cmp_gt_i64_e64 s[12:13], 0, v[15:16]
	v_not_b32_e32 v32, v16
	v_lshlrev_b32_e32 v16, 26, v25
	v_and_b32_e32 v28, v29, v28
	v_and_b32_e32 v26, v26, v30
	;; [unrolled: 8-line block ×3, first 2 shown]
	v_xor_b32_e32 v29, s13, v31
	v_xor_b32_e32 v30, s12, v31
	v_ashrrev_i32_e32 v31, 31, v32
	v_cmp_gt_i64_e64 s[12:13], 0, v[15:16]
	v_not_b32_e32 v32, v16
	v_mul_lo_u32 v27, v25, 36
	v_lshlrev_b32_e32 v16, 24, v25
	v_and_b32_e32 v25, v28, v29
	v_and_b32_e32 v26, v26, v30
	v_xor_b32_e32 v28, s15, v31
	v_xor_b32_e32 v29, s14, v31
	v_ashrrev_i32_e32 v30, 31, v32
	v_and_b32_e32 v25, v25, v28
	v_and_b32_e32 v26, v26, v29
	v_xor_b32_e32 v28, s13, v30
	v_xor_b32_e32 v29, s12, v30
	v_cmp_gt_i64_e64 s[14:15], 0, v[15:16]
	v_not_b32_e32 v16, v16
	v_and_b32_e32 v28, v25, v28
	v_and_b32_e32 v29, v26, v29
	v_ashrrev_i32_e32 v16, 31, v16
	v_xor_b32_e32 v30, s15, v16
	v_xor_b32_e32 v16, s14, v16
	v_and_b32_e32 v16, v29, v16
	v_mul_u32_u24_e32 v24, 20, v0
	ds_write2_b32 v24, v15, v15 offset0:8 offset1:9
	ds_write2_b32 v24, v15, v15 offset0:10 offset1:11
	ds_write_b32 v24, v15 offset:48
	s_waitcnt vmcnt(0) lgkmcnt(0)
	s_barrier
	; wave barrier
	v_mad_u64_u32 v[25:26], s[12:13], v17, v18, v[0:1]
	v_and_b32_e32 v17, v28, v30
	v_cmp_ne_u64_e64 s[12:13], 0, v[16:17]
	v_lshrrev_b32_e32 v18, 6, v25
	v_mbcnt_lo_u32_b32 v25, v16, 0
	v_mbcnt_hi_u32_b32 v25, v17, v25
	v_cmp_eq_u32_e64 s[14:15], 0, v25
	v_lshl_add_u32 v27, v18, 2, v27
	s_and_b64 s[14:15], s[12:13], s[14:15]
	s_and_saveexec_b64 s[12:13], s[14:15]
; %bb.14:
	v_bcnt_u32_b32 v16, v16, 0
	v_bcnt_u32_b32 v16, v17, v16
	ds_write_b32 v27, v16 offset:32
; %bb.15:
	s_or_b64 exec, exec, s[12:13]
	v_lshrrev_b64 v[16:17], s48, v[3:4]
	v_and_b32_e32 v17, s33, v16
	v_mul_lo_u32 v16, v17, 36
	v_and_b32_e32 v29, 1, v17
	; wave barrier
	v_lshl_add_u32 v28, v18, 2, v16
	v_add_co_u32_e64 v16, s[12:13], -1, v29
	v_addc_co_u32_e64 v30, s[12:13], 0, -1, s[12:13]
	v_cmp_ne_u32_e64 s[12:13], 0, v29
	v_xor_b32_e32 v16, s12, v16
	v_xor_b32_e32 v29, s13, v30
	v_and_b32_e32 v30, exec_lo, v16
	v_lshlrev_b32_e32 v16, 30, v17
	v_cmp_gt_i64_e64 s[12:13], 0, v[15:16]
	v_not_b32_e32 v16, v16
	v_ashrrev_i32_e32 v16, 31, v16
	v_xor_b32_e32 v31, s13, v16
	v_xor_b32_e32 v16, s12, v16
	v_and_b32_e32 v30, v30, v16
	v_lshlrev_b32_e32 v16, 29, v17
	v_cmp_gt_i64_e64 s[12:13], 0, v[15:16]
	v_not_b32_e32 v16, v16
	v_and_b32_e32 v29, exec_hi, v29
	v_ashrrev_i32_e32 v16, 31, v16
	v_and_b32_e32 v29, v29, v31
	v_xor_b32_e32 v31, s13, v16
	v_xor_b32_e32 v16, s12, v16
	v_and_b32_e32 v30, v30, v16
	v_lshlrev_b32_e32 v16, 28, v17
	v_cmp_gt_i64_e64 s[12:13], 0, v[15:16]
	v_not_b32_e32 v16, v16
	v_ashrrev_i32_e32 v16, 31, v16
	v_and_b32_e32 v29, v29, v31
	v_xor_b32_e32 v31, s13, v16
	v_xor_b32_e32 v16, s12, v16
	v_and_b32_e32 v30, v30, v16
	v_lshlrev_b32_e32 v16, 27, v17
	v_cmp_gt_i64_e64 s[12:13], 0, v[15:16]
	v_not_b32_e32 v16, v16
	;; [unrolled: 8-line block ×5, first 2 shown]
	v_ashrrev_i32_e32 v15, 31, v15
	v_xor_b32_e32 v16, s13, v15
	v_xor_b32_e32 v15, s12, v15
	ds_read_b32 v26, v28 offset:32
	v_and_b32_e32 v29, v29, v31
	v_and_b32_e32 v15, v30, v15
	;; [unrolled: 1-line block ×3, first 2 shown]
	v_mbcnt_lo_u32_b32 v17, v15, 0
	v_mbcnt_hi_u32_b32 v29, v16, v17
	v_cmp_ne_u64_e64 s[12:13], 0, v[15:16]
	v_cmp_eq_u32_e64 s[14:15], 0, v29
	s_and_b64 s[14:15], s[12:13], s[14:15]
	; wave barrier
	s_and_saveexec_b64 s[12:13], s[14:15]
	s_cbranch_execz .LBB120_17
; %bb.16:
	v_bcnt_u32_b32 v15, v15, 0
	v_bcnt_u32_b32 v15, v16, v15
	s_waitcnt lgkmcnt(0)
	v_add_u32_e32 v15, v26, v15
	ds_write_b32 v28, v15 offset:32
.LBB120_17:
	s_or_b64 exec, exec, s[12:13]
	v_lshrrev_b64 v[15:16], s48, v[9:10]
	v_and_b32_e32 v17, s33, v15
	v_mul_lo_u32 v16, v17, 36
	v_and_b32_e32 v32, 1, v17
	v_mov_b32_e32 v15, 0
	; wave barrier
	v_lshl_add_u32 v31, v18, 2, v16
	v_add_co_u32_e64 v16, s[12:13], -1, v32
	v_addc_co_u32_e64 v33, s[12:13], 0, -1, s[12:13]
	v_cmp_ne_u32_e64 s[12:13], 0, v32
	v_xor_b32_e32 v16, s12, v16
	v_xor_b32_e32 v32, s13, v33
	v_and_b32_e32 v33, exec_lo, v16
	v_lshlrev_b32_e32 v16, 30, v17
	v_cmp_gt_i64_e64 s[12:13], 0, v[15:16]
	v_not_b32_e32 v16, v16
	v_ashrrev_i32_e32 v16, 31, v16
	v_xor_b32_e32 v34, s13, v16
	v_xor_b32_e32 v16, s12, v16
	v_and_b32_e32 v33, v33, v16
	v_lshlrev_b32_e32 v16, 29, v17
	v_cmp_gt_i64_e64 s[12:13], 0, v[15:16]
	v_not_b32_e32 v16, v16
	v_and_b32_e32 v32, exec_hi, v32
	v_ashrrev_i32_e32 v16, 31, v16
	v_and_b32_e32 v32, v32, v34
	v_xor_b32_e32 v34, s13, v16
	v_xor_b32_e32 v16, s12, v16
	v_and_b32_e32 v33, v33, v16
	v_lshlrev_b32_e32 v16, 28, v17
	v_cmp_gt_i64_e64 s[12:13], 0, v[15:16]
	v_not_b32_e32 v16, v16
	v_ashrrev_i32_e32 v16, 31, v16
	v_and_b32_e32 v32, v32, v34
	v_xor_b32_e32 v34, s13, v16
	v_xor_b32_e32 v16, s12, v16
	v_and_b32_e32 v33, v33, v16
	v_lshlrev_b32_e32 v16, 27, v17
	v_cmp_gt_i64_e64 s[12:13], 0, v[15:16]
	v_not_b32_e32 v16, v16
	;; [unrolled: 8-line block ×5, first 2 shown]
	v_ashrrev_i32_e32 v16, 31, v16
	v_xor_b32_e32 v17, s13, v16
	v_xor_b32_e32 v16, s12, v16
	ds_read_b32 v30, v31 offset:32
	v_and_b32_e32 v32, v32, v34
	v_and_b32_e32 v16, v33, v16
	v_and_b32_e32 v17, v32, v17
	v_mbcnt_lo_u32_b32 v32, v16, 0
	v_mbcnt_hi_u32_b32 v32, v17, v32
	v_cmp_ne_u64_e64 s[12:13], 0, v[16:17]
	v_cmp_eq_u32_e64 s[14:15], 0, v32
	s_and_b64 s[14:15], s[12:13], s[14:15]
	; wave barrier
	s_and_saveexec_b64 s[12:13], s[14:15]
	s_cbranch_execz .LBB120_19
; %bb.18:
	v_bcnt_u32_b32 v16, v16, 0
	v_bcnt_u32_b32 v16, v17, v16
	s_waitcnt lgkmcnt(0)
	v_add_u32_e32 v16, v30, v16
	ds_write_b32 v31, v16 offset:32
.LBB120_19:
	s_or_b64 exec, exec, s[12:13]
	v_lshrrev_b64 v[16:17], s48, v[7:8]
	v_and_b32_e32 v17, s33, v16
	v_mul_lo_u32 v16, v17, 36
	v_and_b32_e32 v35, 1, v17
	; wave barrier
	v_lshl_add_u32 v34, v18, 2, v16
	v_add_co_u32_e64 v16, s[12:13], -1, v35
	v_addc_co_u32_e64 v36, s[12:13], 0, -1, s[12:13]
	v_cmp_ne_u32_e64 s[12:13], 0, v35
	v_xor_b32_e32 v16, s12, v16
	v_xor_b32_e32 v35, s13, v36
	v_and_b32_e32 v36, exec_lo, v16
	v_lshlrev_b32_e32 v16, 30, v17
	v_cmp_gt_i64_e64 s[12:13], 0, v[15:16]
	v_not_b32_e32 v16, v16
	v_ashrrev_i32_e32 v16, 31, v16
	v_xor_b32_e32 v37, s13, v16
	v_xor_b32_e32 v16, s12, v16
	v_and_b32_e32 v36, v36, v16
	v_lshlrev_b32_e32 v16, 29, v17
	v_cmp_gt_i64_e64 s[12:13], 0, v[15:16]
	v_not_b32_e32 v16, v16
	v_and_b32_e32 v35, exec_hi, v35
	v_ashrrev_i32_e32 v16, 31, v16
	v_and_b32_e32 v35, v35, v37
	v_xor_b32_e32 v37, s13, v16
	v_xor_b32_e32 v16, s12, v16
	v_and_b32_e32 v36, v36, v16
	v_lshlrev_b32_e32 v16, 28, v17
	v_cmp_gt_i64_e64 s[12:13], 0, v[15:16]
	v_not_b32_e32 v16, v16
	v_ashrrev_i32_e32 v16, 31, v16
	v_and_b32_e32 v35, v35, v37
	v_xor_b32_e32 v37, s13, v16
	v_xor_b32_e32 v16, s12, v16
	v_and_b32_e32 v36, v36, v16
	v_lshlrev_b32_e32 v16, 27, v17
	v_cmp_gt_i64_e64 s[12:13], 0, v[15:16]
	v_not_b32_e32 v16, v16
	;; [unrolled: 8-line block ×5, first 2 shown]
	v_ashrrev_i32_e32 v15, 31, v15
	v_xor_b32_e32 v16, s13, v15
	v_xor_b32_e32 v15, s12, v15
	ds_read_b32 v33, v34 offset:32
	v_and_b32_e32 v35, v35, v37
	v_and_b32_e32 v15, v36, v15
	;; [unrolled: 1-line block ×3, first 2 shown]
	v_mbcnt_lo_u32_b32 v17, v15, 0
	v_mbcnt_hi_u32_b32 v35, v16, v17
	v_cmp_ne_u64_e64 s[12:13], 0, v[15:16]
	v_cmp_eq_u32_e64 s[14:15], 0, v35
	s_and_b64 s[14:15], s[12:13], s[14:15]
	; wave barrier
	s_and_saveexec_b64 s[12:13], s[14:15]
	s_cbranch_execz .LBB120_21
; %bb.20:
	v_bcnt_u32_b32 v15, v15, 0
	v_bcnt_u32_b32 v15, v16, v15
	s_waitcnt lgkmcnt(0)
	v_add_u32_e32 v15, v33, v15
	ds_write_b32 v34, v15 offset:32
.LBB120_21:
	s_or_b64 exec, exec, s[12:13]
	v_lshrrev_b64 v[15:16], s48, v[13:14]
	v_and_b32_e32 v17, s33, v15
	v_mul_lo_u32 v16, v17, 36
	v_and_b32_e32 v38, 1, v17
	v_mov_b32_e32 v15, 0
	; wave barrier
	v_lshl_add_u32 v37, v18, 2, v16
	v_add_co_u32_e64 v16, s[12:13], -1, v38
	v_addc_co_u32_e64 v39, s[12:13], 0, -1, s[12:13]
	v_cmp_ne_u32_e64 s[12:13], 0, v38
	v_xor_b32_e32 v16, s12, v16
	v_xor_b32_e32 v38, s13, v39
	v_and_b32_e32 v39, exec_lo, v16
	v_lshlrev_b32_e32 v16, 30, v17
	v_cmp_gt_i64_e64 s[12:13], 0, v[15:16]
	v_not_b32_e32 v16, v16
	v_ashrrev_i32_e32 v16, 31, v16
	v_xor_b32_e32 v40, s13, v16
	v_xor_b32_e32 v16, s12, v16
	v_and_b32_e32 v39, v39, v16
	v_lshlrev_b32_e32 v16, 29, v17
	v_cmp_gt_i64_e64 s[12:13], 0, v[15:16]
	v_not_b32_e32 v16, v16
	v_and_b32_e32 v38, exec_hi, v38
	v_ashrrev_i32_e32 v16, 31, v16
	v_and_b32_e32 v38, v38, v40
	v_xor_b32_e32 v40, s13, v16
	v_xor_b32_e32 v16, s12, v16
	v_and_b32_e32 v39, v39, v16
	v_lshlrev_b32_e32 v16, 28, v17
	v_cmp_gt_i64_e64 s[12:13], 0, v[15:16]
	v_not_b32_e32 v16, v16
	v_ashrrev_i32_e32 v16, 31, v16
	v_and_b32_e32 v38, v38, v40
	v_xor_b32_e32 v40, s13, v16
	v_xor_b32_e32 v16, s12, v16
	v_and_b32_e32 v39, v39, v16
	v_lshlrev_b32_e32 v16, 27, v17
	v_cmp_gt_i64_e64 s[12:13], 0, v[15:16]
	v_not_b32_e32 v16, v16
	;; [unrolled: 8-line block ×5, first 2 shown]
	v_ashrrev_i32_e32 v16, 31, v16
	v_xor_b32_e32 v17, s13, v16
	v_xor_b32_e32 v16, s12, v16
	ds_read_b32 v36, v37 offset:32
	v_and_b32_e32 v38, v38, v40
	v_and_b32_e32 v16, v39, v16
	;; [unrolled: 1-line block ×3, first 2 shown]
	v_mbcnt_lo_u32_b32 v38, v16, 0
	v_mbcnt_hi_u32_b32 v38, v17, v38
	v_cmp_ne_u64_e64 s[12:13], 0, v[16:17]
	v_cmp_eq_u32_e64 s[14:15], 0, v38
	s_and_b64 s[14:15], s[12:13], s[14:15]
	; wave barrier
	s_and_saveexec_b64 s[12:13], s[14:15]
	s_cbranch_execz .LBB120_23
; %bb.22:
	v_bcnt_u32_b32 v16, v16, 0
	v_bcnt_u32_b32 v16, v17, v16
	s_waitcnt lgkmcnt(0)
	v_add_u32_e32 v16, v36, v16
	ds_write_b32 v37, v16 offset:32
.LBB120_23:
	s_or_b64 exec, exec, s[12:13]
	v_lshrrev_b64 v[16:17], s48, v[11:12]
	v_and_b32_e32 v17, s33, v16
	v_mul_lo_u32 v16, v17, 36
	v_and_b32_e32 v41, 1, v17
	; wave barrier
	v_lshl_add_u32 v40, v18, 2, v16
	v_add_co_u32_e64 v16, s[12:13], -1, v41
	v_addc_co_u32_e64 v18, s[12:13], 0, -1, s[12:13]
	v_cmp_ne_u32_e64 s[12:13], 0, v41
	v_xor_b32_e32 v16, s12, v16
	v_and_b32_e32 v41, exec_lo, v16
	v_lshlrev_b32_e32 v16, 30, v17
	v_xor_b32_e32 v18, s13, v18
	v_cmp_gt_i64_e64 s[12:13], 0, v[15:16]
	v_not_b32_e32 v16, v16
	v_ashrrev_i32_e32 v16, 31, v16
	v_xor_b32_e32 v42, s13, v16
	v_xor_b32_e32 v16, s12, v16
	v_and_b32_e32 v41, v41, v16
	v_lshlrev_b32_e32 v16, 29, v17
	v_cmp_gt_i64_e64 s[12:13], 0, v[15:16]
	v_not_b32_e32 v16, v16
	v_and_b32_e32 v18, exec_hi, v18
	v_ashrrev_i32_e32 v16, 31, v16
	v_and_b32_e32 v18, v18, v42
	v_xor_b32_e32 v42, s13, v16
	v_xor_b32_e32 v16, s12, v16
	v_and_b32_e32 v41, v41, v16
	v_lshlrev_b32_e32 v16, 28, v17
	v_cmp_gt_i64_e64 s[12:13], 0, v[15:16]
	v_not_b32_e32 v16, v16
	v_ashrrev_i32_e32 v16, 31, v16
	v_and_b32_e32 v18, v18, v42
	v_xor_b32_e32 v42, s13, v16
	v_xor_b32_e32 v16, s12, v16
	v_and_b32_e32 v41, v41, v16
	v_lshlrev_b32_e32 v16, 27, v17
	v_cmp_gt_i64_e64 s[12:13], 0, v[15:16]
	v_not_b32_e32 v16, v16
	;; [unrolled: 8-line block ×5, first 2 shown]
	v_ashrrev_i32_e32 v15, 31, v15
	v_xor_b32_e32 v16, s13, v15
	v_xor_b32_e32 v15, s12, v15
	ds_read_b32 v39, v40 offset:32
	v_and_b32_e32 v18, v18, v42
	v_and_b32_e32 v15, v41, v15
	;; [unrolled: 1-line block ×3, first 2 shown]
	v_mbcnt_lo_u32_b32 v17, v15, 0
	v_mbcnt_hi_u32_b32 v41, v16, v17
	v_cmp_ne_u64_e64 s[12:13], 0, v[15:16]
	v_cmp_eq_u32_e64 s[14:15], 0, v41
	s_and_b64 s[14:15], s[12:13], s[14:15]
	; wave barrier
	s_and_saveexec_b64 s[12:13], s[14:15]
	s_cbranch_execz .LBB120_25
; %bb.24:
	v_bcnt_u32_b32 v15, v15, 0
	v_bcnt_u32_b32 v15, v16, v15
	s_waitcnt lgkmcnt(0)
	v_add_u32_e32 v15, v39, v15
	ds_write_b32 v40, v15 offset:32
.LBB120_25:
	s_or_b64 exec, exec, s[12:13]
	; wave barrier
	s_waitcnt lgkmcnt(0)
	s_barrier
	ds_read2_b32 v[17:18], v24 offset0:8 offset1:9
	ds_read2_b32 v[15:16], v24 offset0:10 offset1:11
	ds_read_b32 v42, v24 offset:48
	v_min_u32_e32 v23, 0x1c0, v23
	v_or_b32_e32 v23, 63, v23
	s_waitcnt lgkmcnt(1)
	v_add3_u32 v43, v18, v17, v15
	s_waitcnt lgkmcnt(0)
	v_add3_u32 v42, v43, v16, v42
	v_and_b32_e32 v43, 15, v22
	v_cmp_ne_u32_e64 s[12:13], 0, v43
	v_mov_b32_dpp v44, v42 row_shr:1 row_mask:0xf bank_mask:0xf
	v_cndmask_b32_e64 v44, 0, v44, s[12:13]
	v_add_u32_e32 v42, v44, v42
	v_cmp_lt_u32_e64 s[12:13], 1, v43
	s_nop 0
	v_mov_b32_dpp v44, v42 row_shr:2 row_mask:0xf bank_mask:0xf
	v_cndmask_b32_e64 v44, 0, v44, s[12:13]
	v_add_u32_e32 v42, v42, v44
	v_cmp_lt_u32_e64 s[12:13], 3, v43
	s_nop 0
	;; [unrolled: 5-line block ×3, first 2 shown]
	v_mov_b32_dpp v44, v42 row_shr:8 row_mask:0xf bank_mask:0xf
	v_cndmask_b32_e64 v43, 0, v44, s[12:13]
	v_add_u32_e32 v42, v42, v43
	v_bfe_i32 v44, v22, 4, 1
	v_cmp_lt_u32_e64 s[12:13], 31, v22
	v_mov_b32_dpp v43, v42 row_bcast:15 row_mask:0xf bank_mask:0xf
	v_and_b32_e32 v43, v44, v43
	v_add_u32_e32 v42, v42, v43
	s_nop 1
	v_mov_b32_dpp v43, v42 row_bcast:31 row_mask:0xf bank_mask:0xf
	v_cndmask_b32_e64 v43, 0, v43, s[12:13]
	v_add_u32_e32 v42, v42, v43
	v_lshrrev_b32_e32 v43, 6, v0
	v_cmp_eq_u32_e64 s[12:13], v0, v23
	s_and_saveexec_b64 s[14:15], s[12:13]
; %bb.26:
	v_lshlrev_b32_e32 v23, 2, v43
	ds_write_b32 v23, v42
; %bb.27:
	s_or_b64 exec, exec, s[14:15]
	v_cmp_gt_u32_e64 s[12:13], 8, v0
	s_waitcnt lgkmcnt(0)
	s_barrier
	s_and_saveexec_b64 s[14:15], s[12:13]
	s_cbranch_execz .LBB120_29
; %bb.28:
	v_lshlrev_b32_e32 v23, 2, v0
	ds_read_b32 v44, v23
	v_and_b32_e32 v45, 7, v22
	v_cmp_ne_u32_e64 s[12:13], 0, v45
	s_waitcnt lgkmcnt(0)
	v_mov_b32_dpp v46, v44 row_shr:1 row_mask:0xf bank_mask:0xf
	v_cndmask_b32_e64 v46, 0, v46, s[12:13]
	v_add_u32_e32 v44, v46, v44
	v_cmp_lt_u32_e64 s[12:13], 1, v45
	s_nop 0
	v_mov_b32_dpp v46, v44 row_shr:2 row_mask:0xf bank_mask:0xf
	v_cndmask_b32_e64 v46, 0, v46, s[12:13]
	v_add_u32_e32 v44, v44, v46
	v_cmp_lt_u32_e64 s[12:13], 3, v45
	s_nop 0
	v_mov_b32_dpp v46, v44 row_shr:4 row_mask:0xf bank_mask:0xf
	v_cndmask_b32_e64 v45, 0, v46, s[12:13]
	v_add_u32_e32 v44, v44, v45
	ds_write_b32 v23, v44
.LBB120_29:
	s_or_b64 exec, exec, s[14:15]
	v_cmp_lt_u32_e64 s[12:13], 63, v0
	v_mov_b32_e32 v23, 0
	s_waitcnt lgkmcnt(0)
	s_barrier
	s_and_saveexec_b64 s[14:15], s[12:13]
; %bb.30:
	v_lshl_add_u32 v23, v43, 2, -4
	ds_read_b32 v23, v23
; %bb.31:
	s_or_b64 exec, exec, s[14:15]
	v_add_u32_e32 v43, -1, v22
	v_and_b32_e32 v44, 64, v22
	v_cmp_lt_i32_e64 s[12:13], v43, v44
	v_cndmask_b32_e64 v43, v43, v22, s[12:13]
	s_waitcnt lgkmcnt(0)
	v_add_u32_e32 v42, v23, v42
	v_lshlrev_b32_e32 v43, 2, v43
	ds_bpermute_b32 v42, v43, v42
	v_cmp_eq_u32_e64 s[12:13], 0, v22
	s_movk_i32 s16, 0x100
	v_cmp_gt_u32_e64 s[14:15], s16, v0
	s_waitcnt lgkmcnt(0)
	v_cndmask_b32_e64 v22, v42, v23, s[12:13]
	v_cmp_ne_u32_e64 s[12:13], 0, v0
	v_cndmask_b32_e64 v22, 0, v22, s[12:13]
	v_add_u32_e32 v17, v22, v17
	v_add_u32_e32 v18, v17, v18
	;; [unrolled: 1-line block ×4, first 2 shown]
	ds_write2_b32 v24, v22, v17 offset0:8 offset1:9
	ds_write2_b32 v24, v18, v15 offset0:10 offset1:11
	ds_write_b32 v24, v16 offset:48
	s_waitcnt lgkmcnt(0)
	s_barrier
	ds_read_b32 v24, v27 offset:32
	ds_read_b32 v28, v28 offset:32
	;; [unrolled: 1-line block ×6, first 2 shown]
	s_movk_i32 s12, 0xff
	v_mov_b32_e32 v15, 0
	v_cmp_lt_u32_e64 s[12:13], s12, v0
	v_mov_b32_e32 v16, 0
                                        ; implicit-def: $vgpr22
	s_and_saveexec_b64 s[18:19], s[14:15]
	s_cbranch_execz .LBB120_35
; %bb.32:
	v_mul_u32_u24_e32 v15, 36, v0
	ds_read_b32 v15, v15 offset:32
	v_add_u32_e32 v22, 1, v0
	v_cmp_ne_u32_e64 s[16:17], s16, v22
	v_mov_b32_e32 v16, 0xc00
	s_and_saveexec_b64 s[20:21], s[16:17]
; %bb.33:
	v_mul_u32_u24_e32 v16, 36, v22
	ds_read_b32 v16, v16 offset:32
; %bb.34:
	s_or_b64 exec, exec, s[20:21]
	s_waitcnt lgkmcnt(0)
	v_sub_u32_e32 v22, v16, v15
	v_mov_b32_e32 v16, 0
.LBB120_35:
	s_or_b64 exec, exec, s[18:19]
	v_lshlrev_b32_e32 v25, 3, v25
	s_waitcnt lgkmcnt(5)
	v_lshl_add_u32 v24, v24, 3, v25
	s_waitcnt lgkmcnt(0)
	s_barrier
	ds_write_b64 v24, v[5:6] offset:2048
	v_lshlrev_b32_e32 v5, 3, v28
	v_lshlrev_b32_e32 v6, 3, v29
	;; [unrolled: 1-line block ×3, first 2 shown]
	v_add3_u32 v25, v5, v6, v25
	ds_write_b64 v25, v[3:4] offset:2048
	v_lshlrev_b32_e32 v3, 3, v27
	v_lshlrev_b32_e32 v4, 3, v32
	v_lshlrev_b32_e32 v5, 3, v30
	v_add3_u32 v26, v3, v4, v5
	v_lshlrev_b32_e32 v3, 3, v23
	v_lshlrev_b32_e32 v4, 3, v35
	v_lshlrev_b32_e32 v5, 3, v33
	v_add3_u32 v27, v3, v4, v5
	;; [unrolled: 4-line block ×4, first 2 shown]
	v_mov_b32_e32 v4, 0
	v_lshlrev_b32_e32 v23, 3, v0
	ds_write_b64 v26, v[9:10] offset:2048
	ds_write_b64 v27, v[7:8] offset:2048
	ds_write_b64 v28, v[13:14] offset:2048
	ds_write_b64 v29, v[11:12] offset:2048
	s_waitcnt lgkmcnt(0)
	s_barrier
	s_and_saveexec_b64 s[16:17], s[14:15]
	s_cbranch_execz .LBB120_45
; %bb.36:
	v_lshl_add_u32 v3, s6, 8, v0
	v_lshlrev_b64 v[5:6], 2, v[3:4]
	v_mov_b32_e32 v9, s31
	v_add_co_u32_e64 v5, s[14:15], s30, v5
	v_addc_co_u32_e64 v6, s[14:15], v9, v6, s[14:15]
	v_or_b32_e32 v3, 2.0, v22
	s_mov_b64 s[18:19], 0
	s_brev_b32 s24, -4
	s_mov_b32 s25, s6
	v_mov_b32_e32 v10, 0
	global_store_dword v[5:6], v3, off
                                        ; implicit-def: $sgpr14_sgpr15
	s_branch .LBB120_39
.LBB120_37:                             ;   in Loop: Header=BB120_39 Depth=1
	s_or_b64 exec, exec, s[22:23]
.LBB120_38:                             ;   in Loop: Header=BB120_39 Depth=1
	s_or_b64 exec, exec, s[20:21]
	v_and_b32_e32 v7, 0x3fffffff, v3
	v_add_u32_e32 v10, v7, v10
	v_cmp_gt_i32_e64 s[14:15], -2.0, v3
	s_and_b64 s[20:21], exec, s[14:15]
	s_or_b64 s[18:19], s[20:21], s[18:19]
	s_andn2_b64 exec, exec, s[18:19]
	s_cbranch_execz .LBB120_44
.LBB120_39:                             ; =>This Loop Header: Depth=1
                                        ;     Child Loop BB120_42 Depth 2
	s_or_b64 s[14:15], s[14:15], exec
	s_cmp_eq_u32 s25, 0
	s_cbranch_scc1 .LBB120_43
; %bb.40:                               ;   in Loop: Header=BB120_39 Depth=1
	s_add_i32 s25, s25, -1
	v_lshl_or_b32 v3, s25, 8, v0
	v_lshlrev_b64 v[7:8], 2, v[3:4]
	v_add_co_u32_e64 v7, s[14:15], s30, v7
	v_addc_co_u32_e64 v8, s[14:15], v9, v8, s[14:15]
	global_load_dword v3, v[7:8], off glc
	s_waitcnt vmcnt(0)
	v_cmp_gt_u32_e64 s[14:15], 2.0, v3
	s_and_saveexec_b64 s[20:21], s[14:15]
	s_cbranch_execz .LBB120_38
; %bb.41:                               ;   in Loop: Header=BB120_39 Depth=1
	s_mov_b64 s[22:23], 0
.LBB120_42:                             ;   Parent Loop BB120_39 Depth=1
                                        ; =>  This Inner Loop Header: Depth=2
	global_load_dword v3, v[7:8], off glc
	s_waitcnt vmcnt(0)
	v_cmp_lt_u32_e64 s[14:15], s24, v3
	s_or_b64 s[22:23], s[14:15], s[22:23]
	s_andn2_b64 exec, exec, s[22:23]
	s_cbranch_execnz .LBB120_42
	s_branch .LBB120_37
.LBB120_43:                             ;   in Loop: Header=BB120_39 Depth=1
                                        ; implicit-def: $sgpr25
	s_and_b64 s[20:21], exec, s[14:15]
	s_or_b64 s[18:19], s[20:21], s[18:19]
	s_andn2_b64 exec, exec, s[18:19]
	s_cbranch_execnz .LBB120_39
.LBB120_44:
	s_or_b64 exec, exec, s[18:19]
	v_add_u32_e32 v3, v10, v22
	v_or_b32_e32 v3, 0x80000000, v3
	global_store_dword v[5:6], v3, off
	global_load_dwordx2 v[3:4], v23, s[44:45]
	v_sub_co_u32_e64 v5, s[14:15], v10, v15
	v_subb_co_u32_e64 v6, s[14:15], 0, v16, s[14:15]
	s_waitcnt vmcnt(0)
	v_add_co_u32_e64 v3, s[14:15], v5, v3
	v_addc_co_u32_e64 v4, s[14:15], v6, v4, s[14:15]
	ds_write_b64 v23, v[3:4]
.LBB120_45:
	s_or_b64 exec, exec, s[16:17]
	v_cmp_gt_u32_e64 s[14:15], s35, v0
	s_waitcnt lgkmcnt(0)
	s_barrier
	s_and_saveexec_b64 s[18:19], s[14:15]
	s_cbranch_execz .LBB120_47
; %bb.46:
	ds_read_b64 v[3:4], v23 offset:2048
	v_mov_b32_e32 v7, s39
	s_waitcnt lgkmcnt(0)
	v_lshrrev_b64 v[5:6], s48, v[3:4]
	v_xor_b32_e32 v4, 0x80000000, v4
	v_and_b32_e32 v5, s33, v5
	v_lshlrev_b32_e32 v5, 3, v5
	ds_read_b64 v[5:6], v5
	s_waitcnt lgkmcnt(0)
	v_lshlrev_b64 v[5:6], 3, v[5:6]
	v_add_co_u32_e64 v5, s[16:17], s38, v5
	v_addc_co_u32_e64 v6, s[16:17], v7, v6, s[16:17]
	v_add_co_u32_e64 v5, s[16:17], v5, v23
	v_addc_co_u32_e64 v6, s[16:17], 0, v6, s[16:17]
	global_store_dwordx2 v[5:6], v[3:4], off
.LBB120_47:
	s_or_b64 exec, exec, s[18:19]
	v_or_b32_e32 v3, 0x200, v0
	v_cmp_gt_u32_e64 s[16:17], s35, v3
	v_lshlrev_b32_e32 v30, 3, v3
	s_and_saveexec_b64 s[20:21], s[16:17]
	s_cbranch_execz .LBB120_49
; %bb.48:
	ds_read_b64 v[3:4], v23 offset:6144
	v_mov_b32_e32 v7, s39
	s_waitcnt lgkmcnt(0)
	v_lshrrev_b64 v[5:6], s48, v[3:4]
	v_xor_b32_e32 v4, 0x80000000, v4
	v_and_b32_e32 v5, s33, v5
	v_lshlrev_b32_e32 v5, 3, v5
	ds_read_b64 v[5:6], v5
	s_waitcnt lgkmcnt(0)
	v_lshlrev_b64 v[5:6], 3, v[5:6]
	v_add_co_u32_e64 v5, s[18:19], s38, v5
	v_addc_co_u32_e64 v6, s[18:19], v7, v6, s[18:19]
	v_add_co_u32_e64 v5, s[18:19], v5, v30
	v_addc_co_u32_e64 v6, s[18:19], 0, v6, s[18:19]
	global_store_dwordx2 v[5:6], v[3:4], off
.LBB120_49:
	s_or_b64 exec, exec, s[20:21]
	v_or_b32_e32 v3, 0x400, v0
	v_cmp_gt_u32_e64 s[18:19], s35, v3
	v_lshlrev_b32_e32 v31, 3, v3
	;; [unrolled: 23-line block ×5, first 2 shown]
	s_and_saveexec_b64 s[52:53], s[24:25]
	s_cbranch_execz .LBB120_57
; %bb.56:
	ds_read_b64 v[3:4], v23 offset:22528
	v_mov_b32_e32 v7, s39
	s_waitcnt lgkmcnt(0)
	v_lshrrev_b64 v[5:6], s48, v[3:4]
	v_xor_b32_e32 v4, 0x80000000, v4
	v_and_b32_e32 v5, s33, v5
	v_lshlrev_b32_e32 v5, 3, v5
	ds_read_b64 v[5:6], v5
	s_waitcnt lgkmcnt(0)
	v_lshlrev_b64 v[5:6], 3, v[5:6]
	v_add_co_u32_e64 v5, s[28:29], s38, v5
	v_addc_co_u32_e64 v6, s[28:29], v7, v6, s[28:29]
	v_add_co_u32_e64 v5, s[28:29], v5, v34
	v_addc_co_u32_e64 v6, s[28:29], 0, v6, s[28:29]
	global_store_dwordx2 v[5:6], v[3:4], off
.LBB120_57:
	s_or_b64 exec, exec, s[52:53]
	s_add_u32 s28, s40, s50
	s_addc_u32 s29, s41, s51
	v_mov_b32_e32 v3, s29
	v_add_co_u32_e64 v4, s[28:29], s28, v20
	v_addc_co_u32_e64 v3, s[28:29], 0, v3, s[28:29]
	v_add_co_u32_e64 v17, s[28:29], v4, v21
	v_addc_co_u32_e64 v18, s[28:29], 0, v3, s[28:29]
                                        ; implicit-def: $vgpr3_vgpr4
	s_and_saveexec_b64 s[28:29], vcc
	s_xor_b64 s[28:29], exec, s[28:29]
	s_cbranch_execz .LBB120_63
; %bb.58:
	global_load_dwordx2 v[3:4], v[17:18], off
	s_or_b64 exec, exec, s[28:29]
                                        ; implicit-def: $vgpr5_vgpr6
	s_and_saveexec_b64 s[28:29], s[0:1]
	s_cbranch_execnz .LBB120_64
.LBB120_59:
	s_or_b64 exec, exec, s[28:29]
                                        ; implicit-def: $vgpr7_vgpr8
	s_and_saveexec_b64 s[0:1], s[2:3]
	s_cbranch_execz .LBB120_65
.LBB120_60:
	global_load_dwordx2 v[7:8], v[17:18], off offset:1024
	s_or_b64 exec, exec, s[0:1]
                                        ; implicit-def: $vgpr9_vgpr10
	s_and_saveexec_b64 s[0:1], s[26:27]
	s_cbranch_execnz .LBB120_66
.LBB120_61:
	s_or_b64 exec, exec, s[0:1]
                                        ; implicit-def: $vgpr11_vgpr12
	s_and_saveexec_b64 s[0:1], s[8:9]
	s_cbranch_execz .LBB120_67
.LBB120_62:
	global_load_dwordx2 v[11:12], v[17:18], off offset:2048
	s_or_b64 exec, exec, s[0:1]
                                        ; implicit-def: $vgpr13_vgpr14
	s_and_saveexec_b64 s[0:1], s[10:11]
	s_cbranch_execnz .LBB120_68
	s_branch .LBB120_69
.LBB120_63:
	s_or_b64 exec, exec, s[28:29]
                                        ; implicit-def: $vgpr5_vgpr6
	s_and_saveexec_b64 s[28:29], s[0:1]
	s_cbranch_execz .LBB120_59
.LBB120_64:
	global_load_dwordx2 v[5:6], v[17:18], off offset:512
	s_or_b64 exec, exec, s[28:29]
                                        ; implicit-def: $vgpr7_vgpr8
	s_and_saveexec_b64 s[0:1], s[2:3]
	s_cbranch_execnz .LBB120_60
.LBB120_65:
	s_or_b64 exec, exec, s[0:1]
                                        ; implicit-def: $vgpr9_vgpr10
	s_and_saveexec_b64 s[0:1], s[26:27]
	s_cbranch_execz .LBB120_61
.LBB120_66:
	global_load_dwordx2 v[9:10], v[17:18], off offset:1536
	s_or_b64 exec, exec, s[0:1]
                                        ; implicit-def: $vgpr11_vgpr12
	s_and_saveexec_b64 s[0:1], s[8:9]
	s_cbranch_execnz .LBB120_62
.LBB120_67:
	s_or_b64 exec, exec, s[0:1]
                                        ; implicit-def: $vgpr13_vgpr14
	s_and_saveexec_b64 s[0:1], s[10:11]
	s_cbranch_execz .LBB120_69
.LBB120_68:
	global_load_dwordx2 v[13:14], v[17:18], off offset:2560
.LBB120_69:
	s_or_b64 exec, exec, s[0:1]
	v_mov_b32_e32 v21, 0
	v_mov_b32_e32 v36, 0
	s_and_saveexec_b64 s[0:1], s[14:15]
	s_cbranch_execz .LBB120_71
; %bb.70:
	ds_read_b64 v[17:18], v23 offset:2048
	s_waitcnt lgkmcnt(0)
	v_lshrrev_b64 v[17:18], s48, v[17:18]
	v_and_b32_e32 v36, s33, v17
.LBB120_71:
	s_or_b64 exec, exec, s[0:1]
	s_and_saveexec_b64 s[0:1], s[16:17]
	s_cbranch_execz .LBB120_73
; %bb.72:
	ds_read_b64 v[17:18], v23 offset:6144
	s_waitcnt lgkmcnt(0)
	v_lshrrev_b64 v[17:18], s48, v[17:18]
	v_and_b32_e32 v21, s33, v17
.LBB120_73:
	s_or_b64 exec, exec, s[0:1]
	v_mov_b32_e32 v18, 0
	v_mov_b32_e32 v35, 0
	s_and_saveexec_b64 s[0:1], s[18:19]
	s_cbranch_execz .LBB120_75
; %bb.74:
	ds_read_b64 v[37:38], v23 offset:10240
	s_waitcnt lgkmcnt(0)
	v_lshrrev_b64 v[37:38], s48, v[37:38]
	v_and_b32_e32 v35, s33, v37
.LBB120_75:
	s_or_b64 exec, exec, s[0:1]
	s_and_saveexec_b64 s[0:1], s[20:21]
	s_cbranch_execz .LBB120_77
; %bb.76:
	ds_read_b64 v[17:18], v23 offset:14336
	s_waitcnt lgkmcnt(0)
	v_lshrrev_b64 v[17:18], s48, v[17:18]
	v_and_b32_e32 v18, s33, v17
.LBB120_77:
	;; [unrolled: 20-line block ×3, first 2 shown]
	s_or_b64 exec, exec, s[0:1]
	s_waitcnt vmcnt(0)
	s_barrier
	ds_write_b64 v24, v[3:4] offset:2048
	ds_write_b64 v25, v[5:6] offset:2048
	;; [unrolled: 1-line block ×6, first 2 shown]
	s_waitcnt lgkmcnt(0)
	s_barrier
	s_and_saveexec_b64 s[0:1], s[14:15]
	s_cbranch_execz .LBB120_87
; %bb.82:
	v_lshlrev_b32_e32 v3, 3, v36
	ds_read_b64 v[3:4], v3
	ds_read_b64 v[5:6], v23 offset:2048
	v_mov_b32_e32 v7, s43
	s_waitcnt lgkmcnt(1)
	v_lshlrev_b64 v[3:4], 3, v[3:4]
	v_add_co_u32_e32 v3, vcc, s42, v3
	v_addc_co_u32_e32 v4, vcc, v7, v4, vcc
	v_add_co_u32_e32 v3, vcc, v3, v23
	v_addc_co_u32_e32 v4, vcc, 0, v4, vcc
	s_waitcnt lgkmcnt(0)
	global_store_dwordx2 v[3:4], v[5:6], off
	s_or_b64 exec, exec, s[0:1]
	s_and_saveexec_b64 s[0:1], s[16:17]
	s_cbranch_execnz .LBB120_88
.LBB120_83:
	s_or_b64 exec, exec, s[0:1]
	s_and_saveexec_b64 s[0:1], s[18:19]
	s_cbranch_execz .LBB120_89
.LBB120_84:
	v_lshlrev_b32_e32 v3, 3, v35
	ds_read_b64 v[3:4], v3
	ds_read_b64 v[5:6], v23 offset:10240
	v_mov_b32_e32 v7, s43
	s_waitcnt lgkmcnt(1)
	v_lshlrev_b64 v[3:4], 3, v[3:4]
	v_add_co_u32_e32 v3, vcc, s42, v3
	v_addc_co_u32_e32 v4, vcc, v7, v4, vcc
	v_add_co_u32_e32 v3, vcc, v3, v31
	v_addc_co_u32_e32 v4, vcc, 0, v4, vcc
	s_waitcnt lgkmcnt(0)
	global_store_dwordx2 v[3:4], v[5:6], off
	s_or_b64 exec, exec, s[0:1]
	s_and_saveexec_b64 s[0:1], s[20:21]
	s_cbranch_execnz .LBB120_90
.LBB120_85:
	s_or_b64 exec, exec, s[0:1]
	s_and_saveexec_b64 s[0:1], s[22:23]
	s_cbranch_execz .LBB120_91
.LBB120_86:
	v_lshlrev_b32_e32 v3, 3, v20
	ds_read_b64 v[3:4], v3
	ds_read_b64 v[5:6], v23 offset:18432
	v_mov_b32_e32 v7, s43
	s_waitcnt lgkmcnt(1)
	v_lshlrev_b64 v[3:4], 3, v[3:4]
	v_add_co_u32_e32 v3, vcc, s42, v3
	v_addc_co_u32_e32 v4, vcc, v7, v4, vcc
	v_add_co_u32_e32 v3, vcc, v3, v33
	v_addc_co_u32_e32 v4, vcc, 0, v4, vcc
	s_waitcnt lgkmcnt(0)
	global_store_dwordx2 v[3:4], v[5:6], off
	s_or_b64 exec, exec, s[0:1]
	s_and_saveexec_b64 s[0:1], s[24:25]
	s_cbranch_execnz .LBB120_92
	s_branch .LBB120_93
.LBB120_87:
	s_or_b64 exec, exec, s[0:1]
	s_and_saveexec_b64 s[0:1], s[16:17]
	s_cbranch_execz .LBB120_83
.LBB120_88:
	v_lshlrev_b32_e32 v3, 3, v21
	ds_read_b64 v[3:4], v3
	ds_read_b64 v[5:6], v23 offset:6144
	v_mov_b32_e32 v7, s43
	s_waitcnt lgkmcnt(1)
	v_lshlrev_b64 v[3:4], 3, v[3:4]
	v_add_co_u32_e32 v3, vcc, s42, v3
	v_addc_co_u32_e32 v4, vcc, v7, v4, vcc
	v_add_co_u32_e32 v3, vcc, v3, v30
	v_addc_co_u32_e32 v4, vcc, 0, v4, vcc
	s_waitcnt lgkmcnt(0)
	global_store_dwordx2 v[3:4], v[5:6], off
	s_or_b64 exec, exec, s[0:1]
	s_and_saveexec_b64 s[0:1], s[18:19]
	s_cbranch_execnz .LBB120_84
.LBB120_89:
	s_or_b64 exec, exec, s[0:1]
	s_and_saveexec_b64 s[0:1], s[20:21]
	s_cbranch_execz .LBB120_85
.LBB120_90:
	v_lshlrev_b32_e32 v3, 3, v18
	ds_read_b64 v[3:4], v3
	ds_read_b64 v[5:6], v23 offset:14336
	v_mov_b32_e32 v7, s43
	s_waitcnt lgkmcnt(1)
	v_lshlrev_b64 v[3:4], 3, v[3:4]
	v_add_co_u32_e32 v3, vcc, s42, v3
	v_addc_co_u32_e32 v4, vcc, v7, v4, vcc
	v_add_co_u32_e32 v3, vcc, v3, v32
	v_addc_co_u32_e32 v4, vcc, 0, v4, vcc
	s_waitcnt lgkmcnt(0)
	global_store_dwordx2 v[3:4], v[5:6], off
	s_or_b64 exec, exec, s[0:1]
	s_and_saveexec_b64 s[0:1], s[22:23]
	s_cbranch_execnz .LBB120_86
.LBB120_91:
	s_or_b64 exec, exec, s[0:1]
	s_and_saveexec_b64 s[0:1], s[24:25]
	s_cbranch_execz .LBB120_93
.LBB120_92:
	v_lshlrev_b32_e32 v3, 3, v17
	ds_read_b64 v[3:4], v3
	ds_read_b64 v[5:6], v23 offset:22528
	v_mov_b32_e32 v7, s43
	s_waitcnt lgkmcnt(1)
	v_lshlrev_b64 v[3:4], 3, v[3:4]
	v_add_co_u32_e32 v3, vcc, s42, v3
	v_addc_co_u32_e32 v4, vcc, v7, v4, vcc
	v_add_co_u32_e32 v3, vcc, v3, v34
	v_addc_co_u32_e32 v4, vcc, 0, v4, vcc
	s_waitcnt lgkmcnt(0)
	global_store_dwordx2 v[3:4], v[5:6], off
.LBB120_93:
	s_or_b64 exec, exec, s[0:1]
	s_add_i32 s7, s7, -1
	s_cmp_eq_u32 s6, s7
	s_cselect_b64 s[0:1], -1, 0
	s_xor_b64 s[2:3], s[12:13], -1
	s_and_b64 s[2:3], s[2:3], s[0:1]
	s_and_saveexec_b64 s[0:1], s[2:3]
	s_cbranch_execz .LBB120_95
; %bb.94:
	ds_read_b64 v[3:4], v23
	v_add_co_u32_e32 v5, vcc, v15, v22
	v_addc_co_u32_e32 v6, vcc, 0, v16, vcc
	s_waitcnt lgkmcnt(0)
	v_add_co_u32_e32 v3, vcc, v5, v3
	v_addc_co_u32_e32 v4, vcc, v6, v4, vcc
	global_store_dwordx2 v23, v[3:4], s[46:47]
.LBB120_95:
	s_or_b64 exec, exec, s[0:1]
	s_mov_b64 s[0:1], 0
.LBB120_96:
	s_and_b64 vcc, exec, s[0:1]
	s_cbranch_vccz .LBB120_131
; %bb.97:
	s_mov_b32 s35, 0
	s_lshl_b64 s[8:9], s[34:35], 3
	v_mbcnt_hi_u32_b32 v19, -1, v19
	s_add_u32 s0, s36, s8
	v_lshlrev_b32_e32 v17, 3, v19
	v_add_co_u32_e32 v5, vcc, s0, v17
	s_load_dword s7, s[4:5], 0x50
	s_load_dword s0, s[4:5], 0x5c
	s_addc_u32 s1, s37, s9
	v_and_b32_e32 v21, 0x1c0, v0
	v_mul_u32_u24_e32 v3, 6, v21
	v_mov_b32_e32 v4, s1
	s_add_u32 s1, s4, 0x50
	v_addc_co_u32_e32 v4, vcc, 0, v4, vcc
	v_lshlrev_b32_e32 v18, 3, v3
	s_addc_u32 s2, s5, 0
	s_waitcnt lgkmcnt(0)
	s_lshr_b32 s3, s0, 16
	v_add_co_u32_e32 v14, vcc, v5, v18
	s_cmp_lt_u32 s6, s7
	v_addc_co_u32_e32 v15, vcc, 0, v4, vcc
	s_cselect_b32 s0, 12, 18
	global_load_dwordx2 v[3:4], v[14:15], off
	s_add_u32 s0, s1, s0
	v_mov_b32_e32 v13, 0
	s_addc_u32 s1, s2, 0
	v_mul_u32_u24_e32 v20, 20, v0
	global_load_ushort v16, v13, s[0:1]
	ds_write2_b32 v20, v13, v13 offset0:8 offset1:9
	ds_write2_b32 v20, v13, v13 offset0:10 offset1:11
	ds_write_b32 v20, v13 offset:48
	v_mad_u32_u24 v22, v2, s3, v1
	global_load_dwordx2 v[11:12], v[14:15], off offset:512
	global_load_dwordx2 v[9:10], v[14:15], off offset:1024
	;; [unrolled: 1-line block ×5, first 2 shown]
	s_lshl_b32 s0, -1, s49
	s_not_b32 s14, s0
	s_waitcnt vmcnt(0) lgkmcnt(0)
	s_barrier
	; wave barrier
	v_xor_b32_e32 v4, 0x80000000, v4
	v_lshrrev_b64 v[14:15], s48, v[3:4]
	v_and_b32_e32 v23, s14, v14
	v_lshlrev_b32_e32 v14, 30, v23
	v_mad_u64_u32 v[15:16], s[0:1], v22, v16, v[0:1]
	v_and_b32_e32 v16, 1, v23
	v_add_co_u32_e32 v24, vcc, -1, v16
	v_addc_co_u32_e64 v25, s[0:1], 0, -1, vcc
	v_cmp_ne_u32_e32 vcc, 0, v16
	v_cmp_gt_i64_e64 s[0:1], 0, v[13:14]
	v_not_b32_e32 v16, v14
	v_lshlrev_b32_e32 v14, 29, v23
	v_xor_b32_e32 v25, vcc_hi, v25
	v_xor_b32_e32 v24, vcc_lo, v24
	v_ashrrev_i32_e32 v26, 31, v16
	v_cmp_gt_i64_e32 vcc, 0, v[13:14]
	v_not_b32_e32 v27, v14
	v_lshlrev_b32_e32 v14, 28, v23
	v_lshrrev_b32_e32 v16, 6, v15
	v_and_b32_e32 v15, exec_hi, v25
	v_and_b32_e32 v24, exec_lo, v24
	v_xor_b32_e32 v25, s1, v26
	v_xor_b32_e32 v26, s0, v26
	v_ashrrev_i32_e32 v27, 31, v27
	v_cmp_gt_i64_e64 s[0:1], 0, v[13:14]
	v_not_b32_e32 v28, v14
	v_lshlrev_b32_e32 v14, 27, v23
	v_and_b32_e32 v15, v15, v25
	v_and_b32_e32 v24, v24, v26
	v_xor_b32_e32 v25, vcc_hi, v27
	v_xor_b32_e32 v26, vcc_lo, v27
	v_ashrrev_i32_e32 v27, 31, v28
	v_cmp_gt_i64_e32 vcc, 0, v[13:14]
	v_not_b32_e32 v28, v14
	v_lshlrev_b32_e32 v14, 26, v23
	v_and_b32_e32 v15, v15, v25
	v_and_b32_e32 v24, v24, v26
	v_xor_b32_e32 v25, s1, v27
	v_xor_b32_e32 v26, s0, v27
	v_ashrrev_i32_e32 v27, 31, v28
	v_cmp_gt_i64_e64 s[0:1], 0, v[13:14]
	v_not_b32_e32 v14, v14
	v_and_b32_e32 v15, v15, v25
	v_and_b32_e32 v24, v24, v26
	v_xor_b32_e32 v25, vcc_hi, v27
	v_xor_b32_e32 v26, vcc_lo, v27
	v_ashrrev_i32_e32 v14, 31, v14
	v_and_b32_e32 v15, v15, v25
	v_and_b32_e32 v24, v24, v26
	v_xor_b32_e32 v25, s1, v14
	v_xor_b32_e32 v14, s0, v14
	v_and_b32_e32 v24, v24, v14
	v_lshlrev_b32_e32 v14, 25, v23
	v_cmp_gt_i64_e32 vcc, 0, v[13:14]
	v_not_b32_e32 v14, v14
	v_ashrrev_i32_e32 v14, 31, v14
	v_and_b32_e32 v15, v15, v25
	v_xor_b32_e32 v25, vcc_hi, v14
	v_xor_b32_e32 v14, vcc_lo, v14
	v_and_b32_e32 v24, v24, v14
	v_lshlrev_b32_e32 v14, 24, v23
	v_cmp_gt_i64_e32 vcc, 0, v[13:14]
	v_not_b32_e32 v14, v14
	v_ashrrev_i32_e32 v14, 31, v14
	v_mul_lo_u32 v22, v23, 36
	v_xor_b32_e32 v23, vcc_hi, v14
	v_xor_b32_e32 v14, vcc_lo, v14
	v_and_b32_e32 v15, v15, v25
	v_and_b32_e32 v14, v24, v14
	;; [unrolled: 1-line block ×3, first 2 shown]
	v_mbcnt_lo_u32_b32 v23, v14, 0
	v_mbcnt_hi_u32_b32 v23, v15, v23
	v_cmp_ne_u64_e32 vcc, 0, v[14:15]
	v_cmp_eq_u32_e64 s[0:1], 0, v23
	v_lshl_add_u32 v22, v16, 2, v22
	s_and_b64 s[2:3], vcc, s[0:1]
	s_and_saveexec_b64 s[0:1], s[2:3]
; %bb.98:
	v_bcnt_u32_b32 v14, v14, 0
	v_bcnt_u32_b32 v14, v15, v14
	ds_write_b32 v22, v14 offset:32
; %bb.99:
	s_or_b64 exec, exec, s[0:1]
	v_xor_b32_e32 v12, 0x80000000, v12
	v_lshrrev_b64 v[14:15], s48, v[11:12]
	v_and_b32_e32 v15, s14, v14
	v_mul_lo_u32 v14, v15, 36
	v_and_b32_e32 v26, 1, v15
	; wave barrier
	v_lshl_add_u32 v25, v16, 2, v14
	v_add_co_u32_e32 v14, vcc, -1, v26
	v_addc_co_u32_e64 v27, s[0:1], 0, -1, vcc
	v_cmp_ne_u32_e32 vcc, 0, v26
	v_xor_b32_e32 v14, vcc_lo, v14
	v_xor_b32_e32 v26, vcc_hi, v27
	v_and_b32_e32 v27, exec_lo, v14
	v_lshlrev_b32_e32 v14, 30, v15
	v_cmp_gt_i64_e32 vcc, 0, v[13:14]
	v_not_b32_e32 v14, v14
	v_ashrrev_i32_e32 v14, 31, v14
	v_xor_b32_e32 v28, vcc_hi, v14
	v_xor_b32_e32 v14, vcc_lo, v14
	v_and_b32_e32 v27, v27, v14
	v_lshlrev_b32_e32 v14, 29, v15
	v_cmp_gt_i64_e32 vcc, 0, v[13:14]
	v_not_b32_e32 v14, v14
	v_and_b32_e32 v26, exec_hi, v26
	v_ashrrev_i32_e32 v14, 31, v14
	v_and_b32_e32 v26, v26, v28
	v_xor_b32_e32 v28, vcc_hi, v14
	v_xor_b32_e32 v14, vcc_lo, v14
	v_and_b32_e32 v27, v27, v14
	v_lshlrev_b32_e32 v14, 28, v15
	v_cmp_gt_i64_e32 vcc, 0, v[13:14]
	v_not_b32_e32 v14, v14
	v_ashrrev_i32_e32 v14, 31, v14
	v_and_b32_e32 v26, v26, v28
	v_xor_b32_e32 v28, vcc_hi, v14
	v_xor_b32_e32 v14, vcc_lo, v14
	v_and_b32_e32 v27, v27, v14
	v_lshlrev_b32_e32 v14, 27, v15
	v_cmp_gt_i64_e32 vcc, 0, v[13:14]
	v_not_b32_e32 v14, v14
	;; [unrolled: 8-line block ×5, first 2 shown]
	v_ashrrev_i32_e32 v13, 31, v13
	v_xor_b32_e32 v14, vcc_hi, v13
	v_xor_b32_e32 v13, vcc_lo, v13
	ds_read_b32 v24, v25 offset:32
	v_and_b32_e32 v26, v26, v28
	v_and_b32_e32 v13, v27, v13
	;; [unrolled: 1-line block ×3, first 2 shown]
	v_mbcnt_lo_u32_b32 v15, v13, 0
	v_mbcnt_hi_u32_b32 v26, v14, v15
	v_cmp_ne_u64_e32 vcc, 0, v[13:14]
	v_cmp_eq_u32_e64 s[0:1], 0, v26
	s_and_b64 s[2:3], vcc, s[0:1]
	; wave barrier
	s_and_saveexec_b64 s[0:1], s[2:3]
	s_cbranch_execz .LBB120_101
; %bb.100:
	v_bcnt_u32_b32 v13, v13, 0
	v_bcnt_u32_b32 v13, v14, v13
	s_waitcnt lgkmcnt(0)
	v_add_u32_e32 v13, v24, v13
	ds_write_b32 v25, v13 offset:32
.LBB120_101:
	s_or_b64 exec, exec, s[0:1]
	v_xor_b32_e32 v10, 0x80000000, v10
	v_lshrrev_b64 v[13:14], s48, v[9:10]
	v_and_b32_e32 v15, s14, v13
	v_mul_lo_u32 v14, v15, 36
	v_and_b32_e32 v29, 1, v15
	v_mov_b32_e32 v13, 0
	; wave barrier
	v_lshl_add_u32 v28, v16, 2, v14
	v_add_co_u32_e32 v14, vcc, -1, v29
	v_addc_co_u32_e64 v30, s[0:1], 0, -1, vcc
	v_cmp_ne_u32_e32 vcc, 0, v29
	v_xor_b32_e32 v14, vcc_lo, v14
	v_xor_b32_e32 v29, vcc_hi, v30
	v_and_b32_e32 v30, exec_lo, v14
	v_lshlrev_b32_e32 v14, 30, v15
	v_cmp_gt_i64_e32 vcc, 0, v[13:14]
	v_not_b32_e32 v14, v14
	v_ashrrev_i32_e32 v14, 31, v14
	v_xor_b32_e32 v31, vcc_hi, v14
	v_xor_b32_e32 v14, vcc_lo, v14
	v_and_b32_e32 v30, v30, v14
	v_lshlrev_b32_e32 v14, 29, v15
	v_cmp_gt_i64_e32 vcc, 0, v[13:14]
	v_not_b32_e32 v14, v14
	v_and_b32_e32 v29, exec_hi, v29
	v_ashrrev_i32_e32 v14, 31, v14
	v_and_b32_e32 v29, v29, v31
	v_xor_b32_e32 v31, vcc_hi, v14
	v_xor_b32_e32 v14, vcc_lo, v14
	v_and_b32_e32 v30, v30, v14
	v_lshlrev_b32_e32 v14, 28, v15
	v_cmp_gt_i64_e32 vcc, 0, v[13:14]
	v_not_b32_e32 v14, v14
	v_ashrrev_i32_e32 v14, 31, v14
	v_and_b32_e32 v29, v29, v31
	v_xor_b32_e32 v31, vcc_hi, v14
	v_xor_b32_e32 v14, vcc_lo, v14
	v_and_b32_e32 v30, v30, v14
	v_lshlrev_b32_e32 v14, 27, v15
	v_cmp_gt_i64_e32 vcc, 0, v[13:14]
	v_not_b32_e32 v14, v14
	;; [unrolled: 8-line block ×5, first 2 shown]
	v_ashrrev_i32_e32 v14, 31, v14
	v_xor_b32_e32 v15, vcc_hi, v14
	v_xor_b32_e32 v14, vcc_lo, v14
	ds_read_b32 v27, v28 offset:32
	v_and_b32_e32 v29, v29, v31
	v_and_b32_e32 v14, v30, v14
	;; [unrolled: 1-line block ×3, first 2 shown]
	v_mbcnt_lo_u32_b32 v29, v14, 0
	v_mbcnt_hi_u32_b32 v29, v15, v29
	v_cmp_ne_u64_e32 vcc, 0, v[14:15]
	v_cmp_eq_u32_e64 s[0:1], 0, v29
	s_and_b64 s[2:3], vcc, s[0:1]
	; wave barrier
	s_and_saveexec_b64 s[0:1], s[2:3]
	s_cbranch_execz .LBB120_103
; %bb.102:
	v_bcnt_u32_b32 v14, v14, 0
	v_bcnt_u32_b32 v14, v15, v14
	s_waitcnt lgkmcnt(0)
	v_add_u32_e32 v14, v27, v14
	ds_write_b32 v28, v14 offset:32
.LBB120_103:
	s_or_b64 exec, exec, s[0:1]
	v_xor_b32_e32 v8, 0x80000000, v8
	v_lshrrev_b64 v[14:15], s48, v[7:8]
	v_and_b32_e32 v15, s14, v14
	v_mul_lo_u32 v14, v15, 36
	v_and_b32_e32 v32, 1, v15
	; wave barrier
	v_lshl_add_u32 v31, v16, 2, v14
	v_add_co_u32_e32 v14, vcc, -1, v32
	v_addc_co_u32_e64 v33, s[0:1], 0, -1, vcc
	v_cmp_ne_u32_e32 vcc, 0, v32
	v_xor_b32_e32 v14, vcc_lo, v14
	v_xor_b32_e32 v32, vcc_hi, v33
	v_and_b32_e32 v33, exec_lo, v14
	v_lshlrev_b32_e32 v14, 30, v15
	v_cmp_gt_i64_e32 vcc, 0, v[13:14]
	v_not_b32_e32 v14, v14
	v_ashrrev_i32_e32 v14, 31, v14
	v_xor_b32_e32 v34, vcc_hi, v14
	v_xor_b32_e32 v14, vcc_lo, v14
	v_and_b32_e32 v33, v33, v14
	v_lshlrev_b32_e32 v14, 29, v15
	v_cmp_gt_i64_e32 vcc, 0, v[13:14]
	v_not_b32_e32 v14, v14
	v_and_b32_e32 v32, exec_hi, v32
	v_ashrrev_i32_e32 v14, 31, v14
	v_and_b32_e32 v32, v32, v34
	v_xor_b32_e32 v34, vcc_hi, v14
	v_xor_b32_e32 v14, vcc_lo, v14
	v_and_b32_e32 v33, v33, v14
	v_lshlrev_b32_e32 v14, 28, v15
	v_cmp_gt_i64_e32 vcc, 0, v[13:14]
	v_not_b32_e32 v14, v14
	v_ashrrev_i32_e32 v14, 31, v14
	v_and_b32_e32 v32, v32, v34
	v_xor_b32_e32 v34, vcc_hi, v14
	v_xor_b32_e32 v14, vcc_lo, v14
	v_and_b32_e32 v33, v33, v14
	v_lshlrev_b32_e32 v14, 27, v15
	v_cmp_gt_i64_e32 vcc, 0, v[13:14]
	v_not_b32_e32 v14, v14
	;; [unrolled: 8-line block ×5, first 2 shown]
	v_ashrrev_i32_e32 v13, 31, v13
	v_xor_b32_e32 v14, vcc_hi, v13
	v_xor_b32_e32 v13, vcc_lo, v13
	ds_read_b32 v30, v31 offset:32
	v_and_b32_e32 v32, v32, v34
	v_and_b32_e32 v13, v33, v13
	;; [unrolled: 1-line block ×3, first 2 shown]
	v_mbcnt_lo_u32_b32 v15, v13, 0
	v_mbcnt_hi_u32_b32 v32, v14, v15
	v_cmp_ne_u64_e32 vcc, 0, v[13:14]
	v_cmp_eq_u32_e64 s[0:1], 0, v32
	s_and_b64 s[2:3], vcc, s[0:1]
	; wave barrier
	s_and_saveexec_b64 s[0:1], s[2:3]
	s_cbranch_execz .LBB120_105
; %bb.104:
	v_bcnt_u32_b32 v13, v13, 0
	v_bcnt_u32_b32 v13, v14, v13
	s_waitcnt lgkmcnt(0)
	v_add_u32_e32 v13, v30, v13
	ds_write_b32 v31, v13 offset:32
.LBB120_105:
	s_or_b64 exec, exec, s[0:1]
	v_xor_b32_e32 v6, 0x80000000, v6
	v_lshrrev_b64 v[13:14], s48, v[5:6]
	v_and_b32_e32 v15, s14, v13
	v_mul_lo_u32 v14, v15, 36
	v_and_b32_e32 v35, 1, v15
	v_mov_b32_e32 v13, 0
	; wave barrier
	v_lshl_add_u32 v34, v16, 2, v14
	v_add_co_u32_e32 v14, vcc, -1, v35
	v_addc_co_u32_e64 v36, s[0:1], 0, -1, vcc
	v_cmp_ne_u32_e32 vcc, 0, v35
	v_xor_b32_e32 v14, vcc_lo, v14
	v_xor_b32_e32 v35, vcc_hi, v36
	v_and_b32_e32 v36, exec_lo, v14
	v_lshlrev_b32_e32 v14, 30, v15
	v_cmp_gt_i64_e32 vcc, 0, v[13:14]
	v_not_b32_e32 v14, v14
	v_ashrrev_i32_e32 v14, 31, v14
	v_xor_b32_e32 v37, vcc_hi, v14
	v_xor_b32_e32 v14, vcc_lo, v14
	v_and_b32_e32 v36, v36, v14
	v_lshlrev_b32_e32 v14, 29, v15
	v_cmp_gt_i64_e32 vcc, 0, v[13:14]
	v_not_b32_e32 v14, v14
	v_and_b32_e32 v35, exec_hi, v35
	v_ashrrev_i32_e32 v14, 31, v14
	v_and_b32_e32 v35, v35, v37
	v_xor_b32_e32 v37, vcc_hi, v14
	v_xor_b32_e32 v14, vcc_lo, v14
	v_and_b32_e32 v36, v36, v14
	v_lshlrev_b32_e32 v14, 28, v15
	v_cmp_gt_i64_e32 vcc, 0, v[13:14]
	v_not_b32_e32 v14, v14
	v_ashrrev_i32_e32 v14, 31, v14
	v_and_b32_e32 v35, v35, v37
	v_xor_b32_e32 v37, vcc_hi, v14
	v_xor_b32_e32 v14, vcc_lo, v14
	v_and_b32_e32 v36, v36, v14
	v_lshlrev_b32_e32 v14, 27, v15
	v_cmp_gt_i64_e32 vcc, 0, v[13:14]
	v_not_b32_e32 v14, v14
	;; [unrolled: 8-line block ×5, first 2 shown]
	v_ashrrev_i32_e32 v14, 31, v14
	v_xor_b32_e32 v15, vcc_hi, v14
	v_xor_b32_e32 v14, vcc_lo, v14
	ds_read_b32 v33, v34 offset:32
	v_and_b32_e32 v35, v35, v37
	v_and_b32_e32 v14, v36, v14
	;; [unrolled: 1-line block ×3, first 2 shown]
	v_mbcnt_lo_u32_b32 v35, v14, 0
	v_mbcnt_hi_u32_b32 v35, v15, v35
	v_cmp_ne_u64_e32 vcc, 0, v[14:15]
	v_cmp_eq_u32_e64 s[0:1], 0, v35
	s_and_b64 s[2:3], vcc, s[0:1]
	; wave barrier
	s_and_saveexec_b64 s[0:1], s[2:3]
	s_cbranch_execz .LBB120_107
; %bb.106:
	v_bcnt_u32_b32 v14, v14, 0
	v_bcnt_u32_b32 v14, v15, v14
	s_waitcnt lgkmcnt(0)
	v_add_u32_e32 v14, v33, v14
	ds_write_b32 v34, v14 offset:32
.LBB120_107:
	s_or_b64 exec, exec, s[0:1]
	v_xor_b32_e32 v2, 0x80000000, v2
	v_lshrrev_b64 v[14:15], s48, v[1:2]
	v_and_b32_e32 v15, s14, v14
	v_mul_lo_u32 v14, v15, 36
	v_and_b32_e32 v38, 1, v15
	; wave barrier
	v_lshl_add_u32 v37, v16, 2, v14
	v_add_co_u32_e32 v14, vcc, -1, v38
	v_addc_co_u32_e64 v16, s[0:1], 0, -1, vcc
	v_cmp_ne_u32_e32 vcc, 0, v38
	v_xor_b32_e32 v14, vcc_lo, v14
	v_and_b32_e32 v38, exec_lo, v14
	v_lshlrev_b32_e32 v14, 30, v15
	v_xor_b32_e32 v16, vcc_hi, v16
	v_cmp_gt_i64_e32 vcc, 0, v[13:14]
	v_not_b32_e32 v14, v14
	v_ashrrev_i32_e32 v14, 31, v14
	v_xor_b32_e32 v39, vcc_hi, v14
	v_xor_b32_e32 v14, vcc_lo, v14
	v_and_b32_e32 v38, v38, v14
	v_lshlrev_b32_e32 v14, 29, v15
	v_cmp_gt_i64_e32 vcc, 0, v[13:14]
	v_not_b32_e32 v14, v14
	v_and_b32_e32 v16, exec_hi, v16
	v_ashrrev_i32_e32 v14, 31, v14
	v_and_b32_e32 v16, v16, v39
	v_xor_b32_e32 v39, vcc_hi, v14
	v_xor_b32_e32 v14, vcc_lo, v14
	v_and_b32_e32 v38, v38, v14
	v_lshlrev_b32_e32 v14, 28, v15
	v_cmp_gt_i64_e32 vcc, 0, v[13:14]
	v_not_b32_e32 v14, v14
	v_ashrrev_i32_e32 v14, 31, v14
	v_and_b32_e32 v16, v16, v39
	v_xor_b32_e32 v39, vcc_hi, v14
	v_xor_b32_e32 v14, vcc_lo, v14
	v_and_b32_e32 v38, v38, v14
	v_lshlrev_b32_e32 v14, 27, v15
	v_cmp_gt_i64_e32 vcc, 0, v[13:14]
	v_not_b32_e32 v14, v14
	;; [unrolled: 8-line block ×5, first 2 shown]
	v_ashrrev_i32_e32 v13, 31, v13
	v_xor_b32_e32 v14, vcc_hi, v13
	v_xor_b32_e32 v13, vcc_lo, v13
	ds_read_b32 v36, v37 offset:32
	v_and_b32_e32 v16, v16, v39
	v_and_b32_e32 v13, v38, v13
	v_and_b32_e32 v14, v16, v14
	v_mbcnt_lo_u32_b32 v15, v13, 0
	v_mbcnt_hi_u32_b32 v38, v14, v15
	v_cmp_ne_u64_e32 vcc, 0, v[13:14]
	v_cmp_eq_u32_e64 s[0:1], 0, v38
	s_and_b64 s[2:3], vcc, s[0:1]
	; wave barrier
	s_and_saveexec_b64 s[0:1], s[2:3]
	s_cbranch_execz .LBB120_109
; %bb.108:
	v_bcnt_u32_b32 v13, v13, 0
	v_bcnt_u32_b32 v13, v14, v13
	s_waitcnt lgkmcnt(0)
	v_add_u32_e32 v13, v36, v13
	ds_write_b32 v37, v13 offset:32
.LBB120_109:
	s_or_b64 exec, exec, s[0:1]
	; wave barrier
	s_waitcnt lgkmcnt(0)
	s_barrier
	ds_read2_b32 v[15:16], v20 offset0:8 offset1:9
	ds_read2_b32 v[13:14], v20 offset0:10 offset1:11
	ds_read_b32 v39, v20 offset:48
	v_min_u32_e32 v21, 0x1c0, v21
	v_or_b32_e32 v21, 63, v21
	s_waitcnt lgkmcnt(1)
	v_add3_u32 v40, v16, v15, v13
	s_waitcnt lgkmcnt(0)
	v_add3_u32 v39, v40, v14, v39
	v_and_b32_e32 v40, 15, v19
	v_cmp_ne_u32_e32 vcc, 0, v40
	v_mov_b32_dpp v41, v39 row_shr:1 row_mask:0xf bank_mask:0xf
	v_cndmask_b32_e32 v41, 0, v41, vcc
	v_add_u32_e32 v39, v41, v39
	v_cmp_lt_u32_e32 vcc, 1, v40
	s_nop 0
	v_mov_b32_dpp v41, v39 row_shr:2 row_mask:0xf bank_mask:0xf
	v_cndmask_b32_e32 v41, 0, v41, vcc
	v_add_u32_e32 v39, v39, v41
	v_cmp_lt_u32_e32 vcc, 3, v40
	s_nop 0
	;; [unrolled: 5-line block ×3, first 2 shown]
	v_mov_b32_dpp v41, v39 row_shr:8 row_mask:0xf bank_mask:0xf
	v_cndmask_b32_e32 v40, 0, v41, vcc
	v_add_u32_e32 v39, v39, v40
	v_bfe_i32 v41, v19, 4, 1
	v_cmp_lt_u32_e32 vcc, 31, v19
	v_mov_b32_dpp v40, v39 row_bcast:15 row_mask:0xf bank_mask:0xf
	v_and_b32_e32 v40, v41, v40
	v_add_u32_e32 v39, v39, v40
	s_nop 1
	v_mov_b32_dpp v40, v39 row_bcast:31 row_mask:0xf bank_mask:0xf
	v_cndmask_b32_e32 v40, 0, v40, vcc
	v_add_u32_e32 v39, v39, v40
	v_lshrrev_b32_e32 v40, 6, v0
	v_cmp_eq_u32_e32 vcc, v0, v21
	s_and_saveexec_b64 s[0:1], vcc
; %bb.110:
	v_lshlrev_b32_e32 v21, 2, v40
	ds_write_b32 v21, v39
; %bb.111:
	s_or_b64 exec, exec, s[0:1]
	v_cmp_gt_u32_e32 vcc, 8, v0
	s_waitcnt lgkmcnt(0)
	s_barrier
	s_and_saveexec_b64 s[0:1], vcc
	s_cbranch_execz .LBB120_113
; %bb.112:
	v_lshlrev_b32_e32 v21, 2, v0
	ds_read_b32 v41, v21
	v_and_b32_e32 v42, 7, v19
	v_cmp_ne_u32_e32 vcc, 0, v42
	s_waitcnt lgkmcnt(0)
	v_mov_b32_dpp v43, v41 row_shr:1 row_mask:0xf bank_mask:0xf
	v_cndmask_b32_e32 v43, 0, v43, vcc
	v_add_u32_e32 v41, v43, v41
	v_cmp_lt_u32_e32 vcc, 1, v42
	s_nop 0
	v_mov_b32_dpp v43, v41 row_shr:2 row_mask:0xf bank_mask:0xf
	v_cndmask_b32_e32 v43, 0, v43, vcc
	v_add_u32_e32 v41, v41, v43
	v_cmp_lt_u32_e32 vcc, 3, v42
	s_nop 0
	v_mov_b32_dpp v43, v41 row_shr:4 row_mask:0xf bank_mask:0xf
	v_cndmask_b32_e32 v42, 0, v43, vcc
	v_add_u32_e32 v41, v41, v42
	ds_write_b32 v21, v41
.LBB120_113:
	s_or_b64 exec, exec, s[0:1]
	v_cmp_lt_u32_e32 vcc, 63, v0
	v_mov_b32_e32 v21, 0
	s_waitcnt lgkmcnt(0)
	s_barrier
	s_and_saveexec_b64 s[0:1], vcc
; %bb.114:
	v_lshl_add_u32 v21, v40, 2, -4
	ds_read_b32 v21, v21
; %bb.115:
	s_or_b64 exec, exec, s[0:1]
	v_add_u32_e32 v40, -1, v19
	v_and_b32_e32 v41, 64, v19
	v_cmp_lt_i32_e32 vcc, v40, v41
	v_cndmask_b32_e32 v40, v40, v19, vcc
	s_waitcnt lgkmcnt(0)
	v_add_u32_e32 v39, v21, v39
	v_lshlrev_b32_e32 v40, 2, v40
	ds_bpermute_b32 v39, v40, v39
	v_cmp_eq_u32_e32 vcc, 0, v19
	s_movk_i32 s0, 0xff
	s_movk_i32 s2, 0x100
	s_waitcnt lgkmcnt(0)
	v_cndmask_b32_e32 v19, v39, v21, vcc
	v_cmp_ne_u32_e32 vcc, 0, v0
	v_cndmask_b32_e32 v19, 0, v19, vcc
	v_add_u32_e32 v15, v19, v15
	v_add_u32_e32 v16, v15, v16
	;; [unrolled: 1-line block ×4, first 2 shown]
	ds_write2_b32 v20, v19, v15 offset0:8 offset1:9
	ds_write2_b32 v20, v16, v13 offset0:10 offset1:11
	ds_write_b32 v20, v14 offset:48
	s_waitcnt lgkmcnt(0)
	s_barrier
	ds_read_b32 v16, v22 offset:32
	ds_read_b32 v19, v25 offset:32
	;; [unrolled: 1-line block ×6, first 2 shown]
	v_mov_b32_e32 v13, 0
	v_cmp_lt_u32_e32 vcc, s0, v0
	v_mov_b32_e32 v14, 0
	v_cmp_gt_u32_e64 s[0:1], s2, v0
                                        ; implicit-def: $vgpr15
	s_and_saveexec_b64 s[4:5], s[0:1]
	s_cbranch_execz .LBB120_119
; %bb.116:
	v_mul_u32_u24_e32 v13, 36, v0
	ds_read_b32 v13, v13 offset:32
	v_add_u32_e32 v15, 1, v0
	v_cmp_ne_u32_e64 s[2:3], s2, v15
	v_mov_b32_e32 v14, 0xc00
	s_and_saveexec_b64 s[10:11], s[2:3]
; %bb.117:
	v_mul_u32_u24_e32 v14, 36, v15
	ds_read_b32 v14, v14 offset:32
; %bb.118:
	s_or_b64 exec, exec, s[10:11]
	s_waitcnt lgkmcnt(0)
	v_sub_u32_e32 v15, v14, v13
	v_mov_b32_e32 v14, 0
.LBB120_119:
	s_or_b64 exec, exec, s[4:5]
	v_lshlrev_b32_e32 v23, 3, v23
	s_waitcnt lgkmcnt(5)
	v_lshl_add_u32 v16, v16, 3, v23
	s_waitcnt lgkmcnt(0)
	s_barrier
	ds_write_b64 v16, v[3:4] offset:2048
	v_lshlrev_b32_e32 v3, 3, v26
	v_lshlrev_b32_e32 v4, 3, v24
	v_lshlrev_b32_e32 v19, 3, v19
	v_add3_u32 v19, v3, v4, v19
	ds_write_b64 v19, v[11:12] offset:2048
	v_lshlrev_b32_e32 v3, 3, v29
	v_lshlrev_b32_e32 v4, 3, v27
	v_lshlrev_b32_e32 v11, 3, v25
	v_add3_u32 v11, v3, v4, v11
	;; [unrolled: 5-line block ×5, first 2 shown]
	ds_write_b64 v10, v[1:2] offset:2048
	v_mov_b32_e32 v2, 0
	v_lshlrev_b32_e32 v7, 3, v0
	s_waitcnt lgkmcnt(0)
	s_barrier
	s_and_saveexec_b64 s[2:3], s[0:1]
	s_cbranch_execz .LBB120_129
; %bb.120:
	v_lshl_add_u32 v1, s6, 8, v0
	v_lshlrev_b64 v[3:4], 2, v[1:2]
	v_mov_b32_e32 v12, s31
	v_add_co_u32_e64 v3, s[0:1], s30, v3
	v_addc_co_u32_e64 v4, s[0:1], v12, v4, s[0:1]
	v_or_b32_e32 v1, 2.0, v15
	s_mov_b64 s[4:5], 0
	s_brev_b32 s15, -4
	s_mov_b32 s16, s6
	v_mov_b32_e32 v20, 0
	global_store_dword v[3:4], v1, off
                                        ; implicit-def: $sgpr0_sgpr1
	s_branch .LBB120_123
.LBB120_121:                            ;   in Loop: Header=BB120_123 Depth=1
	s_or_b64 exec, exec, s[12:13]
.LBB120_122:                            ;   in Loop: Header=BB120_123 Depth=1
	s_or_b64 exec, exec, s[10:11]
	v_and_b32_e32 v5, 0x3fffffff, v1
	v_add_u32_e32 v20, v5, v20
	v_cmp_gt_i32_e64 s[0:1], -2.0, v1
	s_and_b64 s[10:11], exec, s[0:1]
	s_or_b64 s[4:5], s[10:11], s[4:5]
	s_andn2_b64 exec, exec, s[4:5]
	s_cbranch_execz .LBB120_128
.LBB120_123:                            ; =>This Loop Header: Depth=1
                                        ;     Child Loop BB120_126 Depth 2
	s_or_b64 s[0:1], s[0:1], exec
	s_cmp_eq_u32 s16, 0
	s_cbranch_scc1 .LBB120_127
; %bb.124:                              ;   in Loop: Header=BB120_123 Depth=1
	s_add_i32 s16, s16, -1
	v_lshl_or_b32 v1, s16, 8, v0
	v_lshlrev_b64 v[5:6], 2, v[1:2]
	v_add_co_u32_e64 v5, s[0:1], s30, v5
	v_addc_co_u32_e64 v6, s[0:1], v12, v6, s[0:1]
	global_load_dword v1, v[5:6], off glc
	s_waitcnt vmcnt(0)
	v_cmp_gt_u32_e64 s[0:1], 2.0, v1
	s_and_saveexec_b64 s[10:11], s[0:1]
	s_cbranch_execz .LBB120_122
; %bb.125:                              ;   in Loop: Header=BB120_123 Depth=1
	s_mov_b64 s[12:13], 0
.LBB120_126:                            ;   Parent Loop BB120_123 Depth=1
                                        ; =>  This Inner Loop Header: Depth=2
	global_load_dword v1, v[5:6], off glc
	s_waitcnt vmcnt(0)
	v_cmp_lt_u32_e64 s[0:1], s15, v1
	s_or_b64 s[12:13], s[0:1], s[12:13]
	s_andn2_b64 exec, exec, s[12:13]
	s_cbranch_execnz .LBB120_126
	s_branch .LBB120_121
.LBB120_127:                            ;   in Loop: Header=BB120_123 Depth=1
                                        ; implicit-def: $sgpr16
	s_and_b64 s[10:11], exec, s[0:1]
	s_or_b64 s[4:5], s[10:11], s[4:5]
	s_andn2_b64 exec, exec, s[4:5]
	s_cbranch_execnz .LBB120_123
.LBB120_128:
	s_or_b64 exec, exec, s[4:5]
	v_add_u32_e32 v0, v20, v15
	v_or_b32_e32 v0, 0x80000000, v0
	global_store_dword v[3:4], v0, off
	global_load_dwordx2 v[0:1], v7, s[44:45]
	v_sub_co_u32_e64 v2, s[0:1], v20, v13
	v_subb_co_u32_e64 v3, s[0:1], 0, v14, s[0:1]
	s_waitcnt vmcnt(0)
	v_add_co_u32_e64 v0, s[0:1], v2, v0
	v_addc_co_u32_e64 v1, s[0:1], v3, v1, s[0:1]
	ds_write_b64 v7, v[0:1]
.LBB120_129:
	s_or_b64 exec, exec, s[2:3]
	s_waitcnt lgkmcnt(0)
	s_barrier
	ds_read2st64_b64 v[0:3], v7 offset0:4 offset1:12
	ds_read2st64_b64 v[20:23], v7 offset0:20 offset1:28
	v_or_b32_e32 v33, 0x4000, v7
	v_or_b32_e32 v34, 0x5000, v7
	s_waitcnt lgkmcnt(1)
	v_lshrrev_b64 v[4:5], s48, v[0:1]
	s_waitcnt lgkmcnt(0)
	v_lshrrev_b64 v[24:25], s48, v[20:21]
	v_and_b32_e32 v4, s14, v4
	v_lshlrev_b32_e32 v12, 3, v4
	v_lshrrev_b64 v[4:5], s48, v[2:3]
	ds_read_b64 v[5:6], v12
	v_and_b32_e32 v4, s14, v4
	v_lshlrev_b32_e32 v30, 3, v4
	v_and_b32_e32 v4, s14, v24
	v_lshrrev_b64 v[24:25], s48, v[22:23]
	v_lshlrev_b32_e32 v31, 3, v4
	v_and_b32_e32 v4, s14, v24
	v_lshlrev_b32_e32 v32, 3, v4
	s_waitcnt lgkmcnt(0)
	v_lshlrev_b64 v[4:5], 3, v[5:6]
	v_mov_b32_e32 v6, s39
	v_add_co_u32_e64 v4, s[0:1], s38, v4
	ds_read_b64 v[24:25], v30
	ds_read_b64 v[26:27], v31
	;; [unrolled: 1-line block ×3, first 2 shown]
	v_addc_co_u32_e64 v5, s[0:1], v6, v5, s[0:1]
	v_add_co_u32_e64 v4, s[0:1], v4, v7
	v_xor_b32_e32 v1, 0x80000000, v1
	v_addc_co_u32_e64 v5, s[0:1], 0, v5, s[0:1]
	global_store_dwordx2 v[4:5], v[0:1], off
	s_waitcnt lgkmcnt(2)
	v_lshlrev_b64 v[0:1], 3, v[24:25]
	v_mov_b32_e32 v4, s39
	v_add_co_u32_e64 v0, s[0:1], s38, v0
	v_addc_co_u32_e64 v1, s[0:1], v4, v1, s[0:1]
	v_or_b32_e32 v6, 0x1000, v7
	v_add_co_u32_e64 v0, s[0:1], v0, v6
	v_xor_b32_e32 v3, 0x80000000, v3
	v_addc_co_u32_e64 v1, s[0:1], 0, v1, s[0:1]
	global_store_dwordx2 v[0:1], v[2:3], off
	s_waitcnt lgkmcnt(1)
	v_lshlrev_b64 v[0:1], 3, v[26:27]
	v_mov_b32_e32 v2, s39
	v_add_co_u32_e64 v0, s[0:1], s38, v0
	v_addc_co_u32_e64 v1, s[0:1], v2, v1, s[0:1]
	v_or_b32_e32 v26, 0x2000, v7
	v_add_co_u32_e64 v0, s[0:1], v0, v26
	v_xor_b32_e32 v21, 0x80000000, v21
	v_addc_co_u32_e64 v1, s[0:1], 0, v1, s[0:1]
	global_store_dwordx2 v[0:1], v[20:21], off
	s_waitcnt lgkmcnt(0)
	v_lshlrev_b64 v[0:1], 3, v[28:29]
	v_or_b32_e32 v27, 0x3000, v7
	v_add_co_u32_e64 v4, s[0:1], s38, v0
	v_addc_co_u32_e64 v5, s[0:1], v2, v1, s[0:1]
	ds_read2st64_b64 v[0:3], v7 offset0:36 offset1:44
	v_add_co_u32_e64 v4, s[0:1], v4, v27
	v_xor_b32_e32 v23, 0x80000000, v23
	v_addc_co_u32_e64 v5, s[0:1], 0, v5, s[0:1]
	s_waitcnt lgkmcnt(0)
	v_lshrrev_b64 v[20:21], s48, v[0:1]
	global_store_dwordx2 v[4:5], v[22:23], off
	v_and_b32_e32 v4, s14, v20
	v_lshlrev_b32_e32 v28, 3, v4
	ds_read_b64 v[4:5], v28
	v_lshrrev_b64 v[20:21], s48, v[2:3]
	v_mov_b32_e32 v22, s39
	v_and_b32_e32 v20, s14, v20
	v_lshlrev_b32_e32 v29, 3, v20
	ds_read_b64 v[20:21], v29
	s_waitcnt lgkmcnt(1)
	v_lshlrev_b64 v[4:5], 3, v[4:5]
	v_xor_b32_e32 v1, 0x80000000, v1
	v_add_co_u32_e64 v4, s[0:1], s38, v4
	v_addc_co_u32_e64 v5, s[0:1], v22, v5, s[0:1]
	v_add_co_u32_e64 v4, s[0:1], v4, v33
	v_addc_co_u32_e64 v5, s[0:1], 0, v5, s[0:1]
	global_store_dwordx2 v[4:5], v[0:1], off
	s_waitcnt lgkmcnt(0)
	v_lshlrev_b64 v[0:1], 3, v[20:21]
	v_mov_b32_e32 v4, s39
	v_add_co_u32_e64 v0, s[0:1], s38, v0
	v_addc_co_u32_e64 v1, s[0:1], v4, v1, s[0:1]
	v_add_co_u32_e64 v0, s[0:1], v0, v34
	v_addc_co_u32_e64 v1, s[0:1], 0, v1, s[0:1]
	s_add_u32 s0, s40, s8
	v_xor_b32_e32 v3, 0x80000000, v3
	s_addc_u32 s1, s41, s9
	global_store_dwordx2 v[0:1], v[2:3], off
	v_mov_b32_e32 v0, s1
	v_add_co_u32_e64 v1, s[0:1], s0, v17
	v_addc_co_u32_e64 v2, s[0:1], 0, v0, s[0:1]
	v_add_co_u32_e64 v0, s[0:1], v1, v18
	v_addc_co_u32_e64 v1, s[0:1], 0, v2, s[0:1]
	global_load_dwordx2 v[2:3], v[0:1], off
	global_load_dwordx2 v[4:5], v[0:1], off offset:512
	global_load_dwordx2 v[17:18], v[0:1], off offset:1024
	;; [unrolled: 1-line block ×5, first 2 shown]
	s_waitcnt vmcnt(0)
	s_barrier
	s_add_i32 s7, s7, -1
	s_cmp_eq_u32 s6, s7
	ds_write_b64 v16, v[2:3] offset:2048
	ds_write_b64 v19, v[4:5] offset:2048
	;; [unrolled: 1-line block ×6, first 2 shown]
	s_waitcnt lgkmcnt(0)
	s_barrier
	ds_read_b64 v[4:5], v12
	ds_read2st64_b64 v[0:3], v7 offset0:4 offset1:12
	ds_read_b64 v[8:9], v30
	ds_read_b64 v[10:11], v31
	;; [unrolled: 1-line block ×3, first 2 shown]
	s_waitcnt lgkmcnt(4)
	v_lshlrev_b64 v[4:5], 3, v[4:5]
	v_mov_b32_e32 v12, s43
	v_add_co_u32_e64 v4, s[0:1], s42, v4
	v_addc_co_u32_e64 v5, s[0:1], v12, v5, s[0:1]
	v_add_co_u32_e64 v4, s[0:1], v4, v7
	v_addc_co_u32_e64 v5, s[0:1], 0, v5, s[0:1]
	s_waitcnt lgkmcnt(3)
	global_store_dwordx2 v[4:5], v[0:1], off
	s_waitcnt lgkmcnt(2)
	v_lshlrev_b64 v[0:1], 3, v[8:9]
	v_mov_b32_e32 v4, s43
	v_add_co_u32_e64 v0, s[0:1], s42, v0
	v_addc_co_u32_e64 v1, s[0:1], v4, v1, s[0:1]
	v_add_co_u32_e64 v0, s[0:1], v0, v6
	v_addc_co_u32_e64 v1, s[0:1], 0, v1, s[0:1]
	s_waitcnt lgkmcnt(1)
	v_lshlrev_b64 v[4:5], 3, v[10:11]
	global_store_dwordx2 v[0:1], v[2:3], off
	ds_read2st64_b64 v[0:3], v7 offset0:20 offset1:28
	v_mov_b32_e32 v6, s43
	v_add_co_u32_e64 v4, s[0:1], s42, v4
	v_addc_co_u32_e64 v5, s[0:1], v6, v5, s[0:1]
	v_add_co_u32_e64 v4, s[0:1], v4, v26
	v_addc_co_u32_e64 v5, s[0:1], 0, v5, s[0:1]
	s_waitcnt lgkmcnt(0)
	global_store_dwordx2 v[4:5], v[0:1], off
	v_lshlrev_b64 v[0:1], 3, v[16:17]
	v_mov_b32_e32 v4, s43
	v_add_co_u32_e64 v0, s[0:1], s42, v0
	v_addc_co_u32_e64 v1, s[0:1], v4, v1, s[0:1]
	ds_read_b64 v[4:5], v28
	v_add_co_u32_e64 v0, s[0:1], v0, v27
	v_addc_co_u32_e64 v1, s[0:1], 0, v1, s[0:1]
	global_store_dwordx2 v[0:1], v[2:3], off
	s_waitcnt lgkmcnt(0)
	v_lshlrev_b64 v[4:5], 3, v[4:5]
	ds_read2st64_b64 v[0:3], v7 offset0:36 offset1:44
	ds_read_b64 v[8:9], v29
	v_add_co_u32_e64 v4, s[0:1], s42, v4
	v_addc_co_u32_e64 v5, s[0:1], v6, v5, s[0:1]
	v_add_co_u32_e64 v4, s[0:1], v4, v33
	v_addc_co_u32_e64 v5, s[0:1], 0, v5, s[0:1]
	s_waitcnt lgkmcnt(1)
	global_store_dwordx2 v[4:5], v[0:1], off
	s_waitcnt lgkmcnt(0)
	v_lshlrev_b64 v[0:1], 3, v[8:9]
	v_mov_b32_e32 v4, s43
	v_add_co_u32_e64 v0, s[0:1], s42, v0
	v_addc_co_u32_e64 v1, s[0:1], v4, v1, s[0:1]
	v_add_co_u32_e64 v0, s[0:1], v0, v34
	v_addc_co_u32_e64 v1, s[0:1], 0, v1, s[0:1]
	s_cselect_b64 s[0:1], -1, 0
	s_xor_b64 s[2:3], vcc, -1
	s_and_b64 s[0:1], s[2:3], s[0:1]
	global_store_dwordx2 v[0:1], v[2:3], off
	s_and_saveexec_b64 s[2:3], s[0:1]
	s_cbranch_execz .LBB120_131
; %bb.130:
	ds_read_b64 v[0:1], v7
	v_add_co_u32_e32 v2, vcc, v13, v15
	v_addc_co_u32_e32 v3, vcc, 0, v14, vcc
	s_waitcnt lgkmcnt(0)
	v_add_co_u32_e32 v0, vcc, v2, v0
	v_addc_co_u32_e32 v1, vcc, v3, v1, vcc
	global_store_dwordx2 v7, v[0:1], s[46:47]
.LBB120_131:
	s_endpgm
	.section	.rodata,"a",@progbits
	.p2align	6, 0x0
	.amdhsa_kernel _ZN7rocprim17ROCPRIM_304000_NS6detail25onesweep_iteration_kernelINS1_34wrapped_radix_sort_onesweep_configINS0_14default_configElN2at4cuda3cub6detail10OpaqueTypeILi8EEEEELb0EPKlPlPKSA_PSA_mNS0_19identity_decomposerEEEvT1_T2_T3_T4_jPT5_SO_PNS1_23onesweep_lookback_stateET6_jjj
		.amdhsa_group_segment_fixed_size 26624
		.amdhsa_private_segment_fixed_size 0
		.amdhsa_kernarg_size 336
		.amdhsa_user_sgpr_count 6
		.amdhsa_user_sgpr_private_segment_buffer 1
		.amdhsa_user_sgpr_dispatch_ptr 0
		.amdhsa_user_sgpr_queue_ptr 0
		.amdhsa_user_sgpr_kernarg_segment_ptr 1
		.amdhsa_user_sgpr_dispatch_id 0
		.amdhsa_user_sgpr_flat_scratch_init 0
		.amdhsa_user_sgpr_private_segment_size 0
		.amdhsa_uses_dynamic_stack 0
		.amdhsa_system_sgpr_private_segment_wavefront_offset 0
		.amdhsa_system_sgpr_workgroup_id_x 1
		.amdhsa_system_sgpr_workgroup_id_y 0
		.amdhsa_system_sgpr_workgroup_id_z 0
		.amdhsa_system_sgpr_workgroup_info 0
		.amdhsa_system_vgpr_workitem_id 2
		.amdhsa_next_free_vgpr 49
		.amdhsa_next_free_sgpr 98
		.amdhsa_reserve_vcc 1
		.amdhsa_reserve_flat_scratch 0
		.amdhsa_float_round_mode_32 0
		.amdhsa_float_round_mode_16_64 0
		.amdhsa_float_denorm_mode_32 3
		.amdhsa_float_denorm_mode_16_64 3
		.amdhsa_dx10_clamp 1
		.amdhsa_ieee_mode 1
		.amdhsa_fp16_overflow 0
		.amdhsa_exception_fp_ieee_invalid_op 0
		.amdhsa_exception_fp_denorm_src 0
		.amdhsa_exception_fp_ieee_div_zero 0
		.amdhsa_exception_fp_ieee_overflow 0
		.amdhsa_exception_fp_ieee_underflow 0
		.amdhsa_exception_fp_ieee_inexact 0
		.amdhsa_exception_int_div_zero 0
	.end_amdhsa_kernel
	.section	.text._ZN7rocprim17ROCPRIM_304000_NS6detail25onesweep_iteration_kernelINS1_34wrapped_radix_sort_onesweep_configINS0_14default_configElN2at4cuda3cub6detail10OpaqueTypeILi8EEEEELb0EPKlPlPKSA_PSA_mNS0_19identity_decomposerEEEvT1_T2_T3_T4_jPT5_SO_PNS1_23onesweep_lookback_stateET6_jjj,"axG",@progbits,_ZN7rocprim17ROCPRIM_304000_NS6detail25onesweep_iteration_kernelINS1_34wrapped_radix_sort_onesweep_configINS0_14default_configElN2at4cuda3cub6detail10OpaqueTypeILi8EEEEELb0EPKlPlPKSA_PSA_mNS0_19identity_decomposerEEEvT1_T2_T3_T4_jPT5_SO_PNS1_23onesweep_lookback_stateET6_jjj,comdat
.Lfunc_end120:
	.size	_ZN7rocprim17ROCPRIM_304000_NS6detail25onesweep_iteration_kernelINS1_34wrapped_radix_sort_onesweep_configINS0_14default_configElN2at4cuda3cub6detail10OpaqueTypeILi8EEEEELb0EPKlPlPKSA_PSA_mNS0_19identity_decomposerEEEvT1_T2_T3_T4_jPT5_SO_PNS1_23onesweep_lookback_stateET6_jjj, .Lfunc_end120-_ZN7rocprim17ROCPRIM_304000_NS6detail25onesweep_iteration_kernelINS1_34wrapped_radix_sort_onesweep_configINS0_14default_configElN2at4cuda3cub6detail10OpaqueTypeILi8EEEEELb0EPKlPlPKSA_PSA_mNS0_19identity_decomposerEEEvT1_T2_T3_T4_jPT5_SO_PNS1_23onesweep_lookback_stateET6_jjj
                                        ; -- End function
	.set _ZN7rocprim17ROCPRIM_304000_NS6detail25onesweep_iteration_kernelINS1_34wrapped_radix_sort_onesweep_configINS0_14default_configElN2at4cuda3cub6detail10OpaqueTypeILi8EEEEELb0EPKlPlPKSA_PSA_mNS0_19identity_decomposerEEEvT1_T2_T3_T4_jPT5_SO_PNS1_23onesweep_lookback_stateET6_jjj.num_vgpr, 47
	.set _ZN7rocprim17ROCPRIM_304000_NS6detail25onesweep_iteration_kernelINS1_34wrapped_radix_sort_onesweep_configINS0_14default_configElN2at4cuda3cub6detail10OpaqueTypeILi8EEEEELb0EPKlPlPKSA_PSA_mNS0_19identity_decomposerEEEvT1_T2_T3_T4_jPT5_SO_PNS1_23onesweep_lookback_stateET6_jjj.num_agpr, 0
	.set _ZN7rocprim17ROCPRIM_304000_NS6detail25onesweep_iteration_kernelINS1_34wrapped_radix_sort_onesweep_configINS0_14default_configElN2at4cuda3cub6detail10OpaqueTypeILi8EEEEELb0EPKlPlPKSA_PSA_mNS0_19identity_decomposerEEEvT1_T2_T3_T4_jPT5_SO_PNS1_23onesweep_lookback_stateET6_jjj.numbered_sgpr, 54
	.set _ZN7rocprim17ROCPRIM_304000_NS6detail25onesweep_iteration_kernelINS1_34wrapped_radix_sort_onesweep_configINS0_14default_configElN2at4cuda3cub6detail10OpaqueTypeILi8EEEEELb0EPKlPlPKSA_PSA_mNS0_19identity_decomposerEEEvT1_T2_T3_T4_jPT5_SO_PNS1_23onesweep_lookback_stateET6_jjj.num_named_barrier, 0
	.set _ZN7rocprim17ROCPRIM_304000_NS6detail25onesweep_iteration_kernelINS1_34wrapped_radix_sort_onesweep_configINS0_14default_configElN2at4cuda3cub6detail10OpaqueTypeILi8EEEEELb0EPKlPlPKSA_PSA_mNS0_19identity_decomposerEEEvT1_T2_T3_T4_jPT5_SO_PNS1_23onesweep_lookback_stateET6_jjj.private_seg_size, 0
	.set _ZN7rocprim17ROCPRIM_304000_NS6detail25onesweep_iteration_kernelINS1_34wrapped_radix_sort_onesweep_configINS0_14default_configElN2at4cuda3cub6detail10OpaqueTypeILi8EEEEELb0EPKlPlPKSA_PSA_mNS0_19identity_decomposerEEEvT1_T2_T3_T4_jPT5_SO_PNS1_23onesweep_lookback_stateET6_jjj.uses_vcc, 1
	.set _ZN7rocprim17ROCPRIM_304000_NS6detail25onesweep_iteration_kernelINS1_34wrapped_radix_sort_onesweep_configINS0_14default_configElN2at4cuda3cub6detail10OpaqueTypeILi8EEEEELb0EPKlPlPKSA_PSA_mNS0_19identity_decomposerEEEvT1_T2_T3_T4_jPT5_SO_PNS1_23onesweep_lookback_stateET6_jjj.uses_flat_scratch, 0
	.set _ZN7rocprim17ROCPRIM_304000_NS6detail25onesweep_iteration_kernelINS1_34wrapped_radix_sort_onesweep_configINS0_14default_configElN2at4cuda3cub6detail10OpaqueTypeILi8EEEEELb0EPKlPlPKSA_PSA_mNS0_19identity_decomposerEEEvT1_T2_T3_T4_jPT5_SO_PNS1_23onesweep_lookback_stateET6_jjj.has_dyn_sized_stack, 0
	.set _ZN7rocprim17ROCPRIM_304000_NS6detail25onesweep_iteration_kernelINS1_34wrapped_radix_sort_onesweep_configINS0_14default_configElN2at4cuda3cub6detail10OpaqueTypeILi8EEEEELb0EPKlPlPKSA_PSA_mNS0_19identity_decomposerEEEvT1_T2_T3_T4_jPT5_SO_PNS1_23onesweep_lookback_stateET6_jjj.has_recursion, 0
	.set _ZN7rocprim17ROCPRIM_304000_NS6detail25onesweep_iteration_kernelINS1_34wrapped_radix_sort_onesweep_configINS0_14default_configElN2at4cuda3cub6detail10OpaqueTypeILi8EEEEELb0EPKlPlPKSA_PSA_mNS0_19identity_decomposerEEEvT1_T2_T3_T4_jPT5_SO_PNS1_23onesweep_lookback_stateET6_jjj.has_indirect_call, 0
	.section	.AMDGPU.csdata,"",@progbits
; Kernel info:
; codeLenInByte = 11208
; TotalNumSgprs: 58
; NumVgprs: 47
; ScratchSize: 0
; MemoryBound: 1
; FloatMode: 240
; IeeeMode: 1
; LDSByteSize: 26624 bytes/workgroup (compile time only)
; SGPRBlocks: 12
; VGPRBlocks: 12
; NumSGPRsForWavesPerEU: 102
; NumVGPRsForWavesPerEU: 49
; Occupancy: 4
; WaveLimiterHint : 1
; COMPUTE_PGM_RSRC2:SCRATCH_EN: 0
; COMPUTE_PGM_RSRC2:USER_SGPR: 6
; COMPUTE_PGM_RSRC2:TRAP_HANDLER: 0
; COMPUTE_PGM_RSRC2:TGID_X_EN: 1
; COMPUTE_PGM_RSRC2:TGID_Y_EN: 0
; COMPUTE_PGM_RSRC2:TGID_Z_EN: 0
; COMPUTE_PGM_RSRC2:TIDIG_COMP_CNT: 2
	.section	.text._ZN7rocprim17ROCPRIM_304000_NS6detail25onesweep_iteration_kernelINS1_34wrapped_radix_sort_onesweep_configINS0_14default_configElN2at4cuda3cub6detail10OpaqueTypeILi8EEEEELb0EPlSC_PSA_SD_mNS0_19identity_decomposerEEEvT1_T2_T3_T4_jPT5_SK_PNS1_23onesweep_lookback_stateET6_jjj,"axG",@progbits,_ZN7rocprim17ROCPRIM_304000_NS6detail25onesweep_iteration_kernelINS1_34wrapped_radix_sort_onesweep_configINS0_14default_configElN2at4cuda3cub6detail10OpaqueTypeILi8EEEEELb0EPlSC_PSA_SD_mNS0_19identity_decomposerEEEvT1_T2_T3_T4_jPT5_SK_PNS1_23onesweep_lookback_stateET6_jjj,comdat
	.protected	_ZN7rocprim17ROCPRIM_304000_NS6detail25onesweep_iteration_kernelINS1_34wrapped_radix_sort_onesweep_configINS0_14default_configElN2at4cuda3cub6detail10OpaqueTypeILi8EEEEELb0EPlSC_PSA_SD_mNS0_19identity_decomposerEEEvT1_T2_T3_T4_jPT5_SK_PNS1_23onesweep_lookback_stateET6_jjj ; -- Begin function _ZN7rocprim17ROCPRIM_304000_NS6detail25onesweep_iteration_kernelINS1_34wrapped_radix_sort_onesweep_configINS0_14default_configElN2at4cuda3cub6detail10OpaqueTypeILi8EEEEELb0EPlSC_PSA_SD_mNS0_19identity_decomposerEEEvT1_T2_T3_T4_jPT5_SK_PNS1_23onesweep_lookback_stateET6_jjj
	.globl	_ZN7rocprim17ROCPRIM_304000_NS6detail25onesweep_iteration_kernelINS1_34wrapped_radix_sort_onesweep_configINS0_14default_configElN2at4cuda3cub6detail10OpaqueTypeILi8EEEEELb0EPlSC_PSA_SD_mNS0_19identity_decomposerEEEvT1_T2_T3_T4_jPT5_SK_PNS1_23onesweep_lookback_stateET6_jjj
	.p2align	8
	.type	_ZN7rocprim17ROCPRIM_304000_NS6detail25onesweep_iteration_kernelINS1_34wrapped_radix_sort_onesweep_configINS0_14default_configElN2at4cuda3cub6detail10OpaqueTypeILi8EEEEELb0EPlSC_PSA_SD_mNS0_19identity_decomposerEEEvT1_T2_T3_T4_jPT5_SK_PNS1_23onesweep_lookback_stateET6_jjj,@function
_ZN7rocprim17ROCPRIM_304000_NS6detail25onesweep_iteration_kernelINS1_34wrapped_radix_sort_onesweep_configINS0_14default_configElN2at4cuda3cub6detail10OpaqueTypeILi8EEEEELb0EPlSC_PSA_SD_mNS0_19identity_decomposerEEEvT1_T2_T3_T4_jPT5_SK_PNS1_23onesweep_lookback_stateET6_jjj: ; @_ZN7rocprim17ROCPRIM_304000_NS6detail25onesweep_iteration_kernelINS1_34wrapped_radix_sort_onesweep_configINS0_14default_configElN2at4cuda3cub6detail10OpaqueTypeILi8EEEEELb0EPlSC_PSA_SD_mNS0_19identity_decomposerEEEvT1_T2_T3_T4_jPT5_SK_PNS1_23onesweep_lookback_stateET6_jjj
; %bb.0:
	s_load_dwordx4 s[48:51], s[4:5], 0x44
	s_load_dwordx8 s[36:43], s[4:5], 0x0
	s_load_dwordx4 s[44:47], s[4:5], 0x28
	s_load_dwordx2 s[30:31], s[4:5], 0x38
	s_mov_b64 s[0:1], -1
	s_waitcnt lgkmcnt(0)
	s_cmp_ge_u32 s6, s50
	s_mul_i32 s34, s6, 0xc00
	v_mbcnt_lo_u32_b32 v19, -1, 0
	s_cbranch_scc0 .LBB121_96
; %bb.1:
	s_load_dword s0, s[4:5], 0x20
	s_mul_i32 s1, s50, 0xfffff400
	s_mov_b32 s35, 0
	s_lshl_b64 s[50:51], s[34:35], 3
	v_mbcnt_hi_u32_b32 v22, -1, v19
	s_waitcnt lgkmcnt(0)
	s_add_i32 s35, s1, s0
	s_add_u32 s0, s36, s50
	s_addc_u32 s1, s37, s51
	v_and_b32_e32 v23, 0x1c0, v0
	v_lshlrev_b32_e32 v20, 3, v22
	v_mul_u32_u24_e32 v3, 6, v23
	v_mov_b32_e32 v4, s1
	v_add_co_u32_e32 v5, vcc, s0, v20
	v_addc_co_u32_e32 v4, vcc, 0, v4, vcc
	v_lshlrev_b32_e32 v21, 3, v3
	v_add_co_u32_e32 v15, vcc, v5, v21
	v_addc_co_u32_e32 v16, vcc, 0, v4, vcc
	v_or_b32_e32 v17, v22, v3
	v_mov_b32_e32 v3, -1
	v_mov_b32_e32 v5, -1
	;; [unrolled: 1-line block ×4, first 2 shown]
	v_cmp_gt_u32_e32 vcc, s35, v17
	s_and_saveexec_b64 s[0:1], vcc
	s_cbranch_execz .LBB121_3
; %bb.2:
	global_load_dwordx2 v[5:6], v[15:16], off
	s_waitcnt vmcnt(0)
	v_xor_b32_e32 v6, 0x80000000, v6
.LBB121_3:
	s_or_b64 exec, exec, s[0:1]
	v_add_u32_e32 v7, 64, v17
	v_cmp_gt_u32_e64 s[0:1], s35, v7
	s_and_saveexec_b64 s[2:3], s[0:1]
	s_cbranch_execz .LBB121_5
; %bb.4:
	global_load_dwordx2 v[3:4], v[15:16], off offset:512
	s_waitcnt vmcnt(0)
	v_xor_b32_e32 v4, 0x80000000, v4
.LBB121_5:
	s_or_b64 exec, exec, s[2:3]
	v_add_u32_e32 v11, 0x80, v17
	v_mov_b32_e32 v7, -1
	v_mov_b32_e32 v9, -1
	;; [unrolled: 1-line block ×4, first 2 shown]
	v_cmp_gt_u32_e64 s[2:3], s35, v11
	s_and_saveexec_b64 s[8:9], s[2:3]
	s_cbranch_execz .LBB121_7
; %bb.6:
	global_load_dwordx2 v[9:10], v[15:16], off offset:1024
	s_waitcnt vmcnt(0)
	v_xor_b32_e32 v10, 0x80000000, v10
.LBB121_7:
	s_or_b64 exec, exec, s[8:9]
	v_add_u32_e32 v11, 0xc0, v17
	v_cmp_gt_u32_e64 s[26:27], s35, v11
	s_and_saveexec_b64 s[8:9], s[26:27]
	s_cbranch_execz .LBB121_9
; %bb.8:
	global_load_dwordx2 v[7:8], v[15:16], off offset:1536
	s_waitcnt vmcnt(0)
	v_xor_b32_e32 v8, 0x80000000, v8
.LBB121_9:
	s_or_b64 exec, exec, s[8:9]
	v_add_u32_e32 v18, 0x100, v17
	v_mov_b32_e32 v11, -1
	v_mov_b32_e32 v13, -1
	;; [unrolled: 1-line block ×4, first 2 shown]
	v_cmp_gt_u32_e64 s[8:9], s35, v18
	s_and_saveexec_b64 s[10:11], s[8:9]
	s_cbranch_execz .LBB121_11
; %bb.10:
	global_load_dwordx2 v[13:14], v[15:16], off offset:2048
	s_waitcnt vmcnt(0)
	v_xor_b32_e32 v14, 0x80000000, v14
.LBB121_11:
	s_or_b64 exec, exec, s[10:11]
	v_add_u32_e32 v17, 0x140, v17
	v_cmp_gt_u32_e64 s[10:11], s35, v17
	s_and_saveexec_b64 s[12:13], s[10:11]
	s_cbranch_execz .LBB121_13
; %bb.12:
	global_load_dwordx2 v[11:12], v[15:16], off offset:2560
	s_waitcnt vmcnt(0)
	v_xor_b32_e32 v12, 0x80000000, v12
.LBB121_13:
	s_or_b64 exec, exec, s[12:13]
	s_load_dword s12, s[4:5], 0x5c
	s_load_dword s7, s[4:5], 0x50
	s_add_u32 s13, s4, 0x50
	s_addc_u32 s14, s5, 0
	v_mov_b32_e32 v15, 0
	s_waitcnt lgkmcnt(0)
	s_lshr_b32 s15, s12, 16
	s_cmp_lt_u32 s6, s7
	s_cselect_b32 s12, 12, 18
	s_add_u32 s12, s13, s12
	s_addc_u32 s13, s14, 0
	global_load_ushort v18, v15, s[12:13]
	v_lshrrev_b64 v[16:17], s48, v[5:6]
	s_lshl_b32 s12, -1, s49
	s_not_b32 s33, s12
	v_and_b32_e32 v25, s33, v16
	v_and_b32_e32 v26, 1, v25
	v_add_co_u32_e64 v28, s[12:13], -1, v26
	v_lshlrev_b32_e32 v16, 30, v25
	v_addc_co_u32_e64 v29, s[12:13], 0, -1, s[12:13]
	v_mad_u32_u24 v17, v2, s15, v1
	v_cmp_ne_u32_e64 s[12:13], 0, v26
	v_cmp_gt_i64_e64 s[14:15], 0, v[15:16]
	v_not_b32_e32 v26, v16
	v_lshlrev_b32_e32 v16, 29, v25
	v_xor_b32_e32 v29, s13, v29
	v_xor_b32_e32 v28, s12, v28
	v_ashrrev_i32_e32 v26, 31, v26
	v_cmp_gt_i64_e64 s[12:13], 0, v[15:16]
	v_not_b32_e32 v30, v16
	v_lshlrev_b32_e32 v16, 28, v25
	v_and_b32_e32 v29, exec_hi, v29
	v_and_b32_e32 v28, exec_lo, v28
	v_xor_b32_e32 v31, s15, v26
	v_xor_b32_e32 v26, s14, v26
	v_ashrrev_i32_e32 v30, 31, v30
	v_cmp_gt_i64_e64 s[14:15], 0, v[15:16]
	v_not_b32_e32 v32, v16
	v_lshlrev_b32_e32 v16, 27, v25
	v_and_b32_e32 v29, v29, v31
	v_and_b32_e32 v26, v28, v26
	v_xor_b32_e32 v28, s13, v30
	v_xor_b32_e32 v30, s12, v30
	v_ashrrev_i32_e32 v31, 31, v32
	v_cmp_gt_i64_e64 s[12:13], 0, v[15:16]
	v_not_b32_e32 v32, v16
	v_lshlrev_b32_e32 v16, 26, v25
	v_and_b32_e32 v28, v29, v28
	v_and_b32_e32 v26, v26, v30
	;; [unrolled: 8-line block ×3, first 2 shown]
	v_xor_b32_e32 v29, s13, v31
	v_xor_b32_e32 v30, s12, v31
	v_ashrrev_i32_e32 v31, 31, v32
	v_cmp_gt_i64_e64 s[12:13], 0, v[15:16]
	v_not_b32_e32 v32, v16
	v_mul_lo_u32 v27, v25, 36
	v_lshlrev_b32_e32 v16, 24, v25
	v_and_b32_e32 v25, v28, v29
	v_and_b32_e32 v26, v26, v30
	v_xor_b32_e32 v28, s15, v31
	v_xor_b32_e32 v29, s14, v31
	v_ashrrev_i32_e32 v30, 31, v32
	v_and_b32_e32 v25, v25, v28
	v_and_b32_e32 v26, v26, v29
	v_xor_b32_e32 v28, s13, v30
	v_xor_b32_e32 v29, s12, v30
	v_cmp_gt_i64_e64 s[14:15], 0, v[15:16]
	v_not_b32_e32 v16, v16
	v_and_b32_e32 v28, v25, v28
	v_and_b32_e32 v29, v26, v29
	v_ashrrev_i32_e32 v16, 31, v16
	v_xor_b32_e32 v30, s15, v16
	v_xor_b32_e32 v16, s14, v16
	v_and_b32_e32 v16, v29, v16
	v_mul_u32_u24_e32 v24, 20, v0
	ds_write2_b32 v24, v15, v15 offset0:8 offset1:9
	ds_write2_b32 v24, v15, v15 offset0:10 offset1:11
	ds_write_b32 v24, v15 offset:48
	s_waitcnt vmcnt(0) lgkmcnt(0)
	s_barrier
	; wave barrier
	v_mad_u64_u32 v[25:26], s[12:13], v17, v18, v[0:1]
	v_and_b32_e32 v17, v28, v30
	v_cmp_ne_u64_e64 s[12:13], 0, v[16:17]
	v_lshrrev_b32_e32 v18, 6, v25
	v_mbcnt_lo_u32_b32 v25, v16, 0
	v_mbcnt_hi_u32_b32 v25, v17, v25
	v_cmp_eq_u32_e64 s[14:15], 0, v25
	v_lshl_add_u32 v27, v18, 2, v27
	s_and_b64 s[14:15], s[12:13], s[14:15]
	s_and_saveexec_b64 s[12:13], s[14:15]
; %bb.14:
	v_bcnt_u32_b32 v16, v16, 0
	v_bcnt_u32_b32 v16, v17, v16
	ds_write_b32 v27, v16 offset:32
; %bb.15:
	s_or_b64 exec, exec, s[12:13]
	v_lshrrev_b64 v[16:17], s48, v[3:4]
	v_and_b32_e32 v17, s33, v16
	v_mul_lo_u32 v16, v17, 36
	v_and_b32_e32 v29, 1, v17
	; wave barrier
	v_lshl_add_u32 v28, v18, 2, v16
	v_add_co_u32_e64 v16, s[12:13], -1, v29
	v_addc_co_u32_e64 v30, s[12:13], 0, -1, s[12:13]
	v_cmp_ne_u32_e64 s[12:13], 0, v29
	v_xor_b32_e32 v16, s12, v16
	v_xor_b32_e32 v29, s13, v30
	v_and_b32_e32 v30, exec_lo, v16
	v_lshlrev_b32_e32 v16, 30, v17
	v_cmp_gt_i64_e64 s[12:13], 0, v[15:16]
	v_not_b32_e32 v16, v16
	v_ashrrev_i32_e32 v16, 31, v16
	v_xor_b32_e32 v31, s13, v16
	v_xor_b32_e32 v16, s12, v16
	v_and_b32_e32 v30, v30, v16
	v_lshlrev_b32_e32 v16, 29, v17
	v_cmp_gt_i64_e64 s[12:13], 0, v[15:16]
	v_not_b32_e32 v16, v16
	v_and_b32_e32 v29, exec_hi, v29
	v_ashrrev_i32_e32 v16, 31, v16
	v_and_b32_e32 v29, v29, v31
	v_xor_b32_e32 v31, s13, v16
	v_xor_b32_e32 v16, s12, v16
	v_and_b32_e32 v30, v30, v16
	v_lshlrev_b32_e32 v16, 28, v17
	v_cmp_gt_i64_e64 s[12:13], 0, v[15:16]
	v_not_b32_e32 v16, v16
	v_ashrrev_i32_e32 v16, 31, v16
	v_and_b32_e32 v29, v29, v31
	v_xor_b32_e32 v31, s13, v16
	v_xor_b32_e32 v16, s12, v16
	v_and_b32_e32 v30, v30, v16
	v_lshlrev_b32_e32 v16, 27, v17
	v_cmp_gt_i64_e64 s[12:13], 0, v[15:16]
	v_not_b32_e32 v16, v16
	;; [unrolled: 8-line block ×5, first 2 shown]
	v_ashrrev_i32_e32 v15, 31, v15
	v_xor_b32_e32 v16, s13, v15
	v_xor_b32_e32 v15, s12, v15
	ds_read_b32 v26, v28 offset:32
	v_and_b32_e32 v29, v29, v31
	v_and_b32_e32 v15, v30, v15
	;; [unrolled: 1-line block ×3, first 2 shown]
	v_mbcnt_lo_u32_b32 v17, v15, 0
	v_mbcnt_hi_u32_b32 v29, v16, v17
	v_cmp_ne_u64_e64 s[12:13], 0, v[15:16]
	v_cmp_eq_u32_e64 s[14:15], 0, v29
	s_and_b64 s[14:15], s[12:13], s[14:15]
	; wave barrier
	s_and_saveexec_b64 s[12:13], s[14:15]
	s_cbranch_execz .LBB121_17
; %bb.16:
	v_bcnt_u32_b32 v15, v15, 0
	v_bcnt_u32_b32 v15, v16, v15
	s_waitcnt lgkmcnt(0)
	v_add_u32_e32 v15, v26, v15
	ds_write_b32 v28, v15 offset:32
.LBB121_17:
	s_or_b64 exec, exec, s[12:13]
	v_lshrrev_b64 v[15:16], s48, v[9:10]
	v_and_b32_e32 v17, s33, v15
	v_mul_lo_u32 v16, v17, 36
	v_and_b32_e32 v32, 1, v17
	v_mov_b32_e32 v15, 0
	; wave barrier
	v_lshl_add_u32 v31, v18, 2, v16
	v_add_co_u32_e64 v16, s[12:13], -1, v32
	v_addc_co_u32_e64 v33, s[12:13], 0, -1, s[12:13]
	v_cmp_ne_u32_e64 s[12:13], 0, v32
	v_xor_b32_e32 v16, s12, v16
	v_xor_b32_e32 v32, s13, v33
	v_and_b32_e32 v33, exec_lo, v16
	v_lshlrev_b32_e32 v16, 30, v17
	v_cmp_gt_i64_e64 s[12:13], 0, v[15:16]
	v_not_b32_e32 v16, v16
	v_ashrrev_i32_e32 v16, 31, v16
	v_xor_b32_e32 v34, s13, v16
	v_xor_b32_e32 v16, s12, v16
	v_and_b32_e32 v33, v33, v16
	v_lshlrev_b32_e32 v16, 29, v17
	v_cmp_gt_i64_e64 s[12:13], 0, v[15:16]
	v_not_b32_e32 v16, v16
	v_and_b32_e32 v32, exec_hi, v32
	v_ashrrev_i32_e32 v16, 31, v16
	v_and_b32_e32 v32, v32, v34
	v_xor_b32_e32 v34, s13, v16
	v_xor_b32_e32 v16, s12, v16
	v_and_b32_e32 v33, v33, v16
	v_lshlrev_b32_e32 v16, 28, v17
	v_cmp_gt_i64_e64 s[12:13], 0, v[15:16]
	v_not_b32_e32 v16, v16
	v_ashrrev_i32_e32 v16, 31, v16
	v_and_b32_e32 v32, v32, v34
	v_xor_b32_e32 v34, s13, v16
	v_xor_b32_e32 v16, s12, v16
	v_and_b32_e32 v33, v33, v16
	v_lshlrev_b32_e32 v16, 27, v17
	v_cmp_gt_i64_e64 s[12:13], 0, v[15:16]
	v_not_b32_e32 v16, v16
	;; [unrolled: 8-line block ×5, first 2 shown]
	v_ashrrev_i32_e32 v16, 31, v16
	v_xor_b32_e32 v17, s13, v16
	v_xor_b32_e32 v16, s12, v16
	ds_read_b32 v30, v31 offset:32
	v_and_b32_e32 v32, v32, v34
	v_and_b32_e32 v16, v33, v16
	v_and_b32_e32 v17, v32, v17
	v_mbcnt_lo_u32_b32 v32, v16, 0
	v_mbcnt_hi_u32_b32 v32, v17, v32
	v_cmp_ne_u64_e64 s[12:13], 0, v[16:17]
	v_cmp_eq_u32_e64 s[14:15], 0, v32
	s_and_b64 s[14:15], s[12:13], s[14:15]
	; wave barrier
	s_and_saveexec_b64 s[12:13], s[14:15]
	s_cbranch_execz .LBB121_19
; %bb.18:
	v_bcnt_u32_b32 v16, v16, 0
	v_bcnt_u32_b32 v16, v17, v16
	s_waitcnt lgkmcnt(0)
	v_add_u32_e32 v16, v30, v16
	ds_write_b32 v31, v16 offset:32
.LBB121_19:
	s_or_b64 exec, exec, s[12:13]
	v_lshrrev_b64 v[16:17], s48, v[7:8]
	v_and_b32_e32 v17, s33, v16
	v_mul_lo_u32 v16, v17, 36
	v_and_b32_e32 v35, 1, v17
	; wave barrier
	v_lshl_add_u32 v34, v18, 2, v16
	v_add_co_u32_e64 v16, s[12:13], -1, v35
	v_addc_co_u32_e64 v36, s[12:13], 0, -1, s[12:13]
	v_cmp_ne_u32_e64 s[12:13], 0, v35
	v_xor_b32_e32 v16, s12, v16
	v_xor_b32_e32 v35, s13, v36
	v_and_b32_e32 v36, exec_lo, v16
	v_lshlrev_b32_e32 v16, 30, v17
	v_cmp_gt_i64_e64 s[12:13], 0, v[15:16]
	v_not_b32_e32 v16, v16
	v_ashrrev_i32_e32 v16, 31, v16
	v_xor_b32_e32 v37, s13, v16
	v_xor_b32_e32 v16, s12, v16
	v_and_b32_e32 v36, v36, v16
	v_lshlrev_b32_e32 v16, 29, v17
	v_cmp_gt_i64_e64 s[12:13], 0, v[15:16]
	v_not_b32_e32 v16, v16
	v_and_b32_e32 v35, exec_hi, v35
	v_ashrrev_i32_e32 v16, 31, v16
	v_and_b32_e32 v35, v35, v37
	v_xor_b32_e32 v37, s13, v16
	v_xor_b32_e32 v16, s12, v16
	v_and_b32_e32 v36, v36, v16
	v_lshlrev_b32_e32 v16, 28, v17
	v_cmp_gt_i64_e64 s[12:13], 0, v[15:16]
	v_not_b32_e32 v16, v16
	v_ashrrev_i32_e32 v16, 31, v16
	v_and_b32_e32 v35, v35, v37
	v_xor_b32_e32 v37, s13, v16
	v_xor_b32_e32 v16, s12, v16
	v_and_b32_e32 v36, v36, v16
	v_lshlrev_b32_e32 v16, 27, v17
	v_cmp_gt_i64_e64 s[12:13], 0, v[15:16]
	v_not_b32_e32 v16, v16
	;; [unrolled: 8-line block ×5, first 2 shown]
	v_ashrrev_i32_e32 v15, 31, v15
	v_xor_b32_e32 v16, s13, v15
	v_xor_b32_e32 v15, s12, v15
	ds_read_b32 v33, v34 offset:32
	v_and_b32_e32 v35, v35, v37
	v_and_b32_e32 v15, v36, v15
	;; [unrolled: 1-line block ×3, first 2 shown]
	v_mbcnt_lo_u32_b32 v17, v15, 0
	v_mbcnt_hi_u32_b32 v35, v16, v17
	v_cmp_ne_u64_e64 s[12:13], 0, v[15:16]
	v_cmp_eq_u32_e64 s[14:15], 0, v35
	s_and_b64 s[14:15], s[12:13], s[14:15]
	; wave barrier
	s_and_saveexec_b64 s[12:13], s[14:15]
	s_cbranch_execz .LBB121_21
; %bb.20:
	v_bcnt_u32_b32 v15, v15, 0
	v_bcnt_u32_b32 v15, v16, v15
	s_waitcnt lgkmcnt(0)
	v_add_u32_e32 v15, v33, v15
	ds_write_b32 v34, v15 offset:32
.LBB121_21:
	s_or_b64 exec, exec, s[12:13]
	v_lshrrev_b64 v[15:16], s48, v[13:14]
	v_and_b32_e32 v17, s33, v15
	v_mul_lo_u32 v16, v17, 36
	v_and_b32_e32 v38, 1, v17
	v_mov_b32_e32 v15, 0
	; wave barrier
	v_lshl_add_u32 v37, v18, 2, v16
	v_add_co_u32_e64 v16, s[12:13], -1, v38
	v_addc_co_u32_e64 v39, s[12:13], 0, -1, s[12:13]
	v_cmp_ne_u32_e64 s[12:13], 0, v38
	v_xor_b32_e32 v16, s12, v16
	v_xor_b32_e32 v38, s13, v39
	v_and_b32_e32 v39, exec_lo, v16
	v_lshlrev_b32_e32 v16, 30, v17
	v_cmp_gt_i64_e64 s[12:13], 0, v[15:16]
	v_not_b32_e32 v16, v16
	v_ashrrev_i32_e32 v16, 31, v16
	v_xor_b32_e32 v40, s13, v16
	v_xor_b32_e32 v16, s12, v16
	v_and_b32_e32 v39, v39, v16
	v_lshlrev_b32_e32 v16, 29, v17
	v_cmp_gt_i64_e64 s[12:13], 0, v[15:16]
	v_not_b32_e32 v16, v16
	v_and_b32_e32 v38, exec_hi, v38
	v_ashrrev_i32_e32 v16, 31, v16
	v_and_b32_e32 v38, v38, v40
	v_xor_b32_e32 v40, s13, v16
	v_xor_b32_e32 v16, s12, v16
	v_and_b32_e32 v39, v39, v16
	v_lshlrev_b32_e32 v16, 28, v17
	v_cmp_gt_i64_e64 s[12:13], 0, v[15:16]
	v_not_b32_e32 v16, v16
	v_ashrrev_i32_e32 v16, 31, v16
	v_and_b32_e32 v38, v38, v40
	v_xor_b32_e32 v40, s13, v16
	v_xor_b32_e32 v16, s12, v16
	v_and_b32_e32 v39, v39, v16
	v_lshlrev_b32_e32 v16, 27, v17
	v_cmp_gt_i64_e64 s[12:13], 0, v[15:16]
	v_not_b32_e32 v16, v16
	;; [unrolled: 8-line block ×5, first 2 shown]
	v_ashrrev_i32_e32 v16, 31, v16
	v_xor_b32_e32 v17, s13, v16
	v_xor_b32_e32 v16, s12, v16
	ds_read_b32 v36, v37 offset:32
	v_and_b32_e32 v38, v38, v40
	v_and_b32_e32 v16, v39, v16
	;; [unrolled: 1-line block ×3, first 2 shown]
	v_mbcnt_lo_u32_b32 v38, v16, 0
	v_mbcnt_hi_u32_b32 v38, v17, v38
	v_cmp_ne_u64_e64 s[12:13], 0, v[16:17]
	v_cmp_eq_u32_e64 s[14:15], 0, v38
	s_and_b64 s[14:15], s[12:13], s[14:15]
	; wave barrier
	s_and_saveexec_b64 s[12:13], s[14:15]
	s_cbranch_execz .LBB121_23
; %bb.22:
	v_bcnt_u32_b32 v16, v16, 0
	v_bcnt_u32_b32 v16, v17, v16
	s_waitcnt lgkmcnt(0)
	v_add_u32_e32 v16, v36, v16
	ds_write_b32 v37, v16 offset:32
.LBB121_23:
	s_or_b64 exec, exec, s[12:13]
	v_lshrrev_b64 v[16:17], s48, v[11:12]
	v_and_b32_e32 v17, s33, v16
	v_mul_lo_u32 v16, v17, 36
	v_and_b32_e32 v41, 1, v17
	; wave barrier
	v_lshl_add_u32 v40, v18, 2, v16
	v_add_co_u32_e64 v16, s[12:13], -1, v41
	v_addc_co_u32_e64 v18, s[12:13], 0, -1, s[12:13]
	v_cmp_ne_u32_e64 s[12:13], 0, v41
	v_xor_b32_e32 v16, s12, v16
	v_and_b32_e32 v41, exec_lo, v16
	v_lshlrev_b32_e32 v16, 30, v17
	v_xor_b32_e32 v18, s13, v18
	v_cmp_gt_i64_e64 s[12:13], 0, v[15:16]
	v_not_b32_e32 v16, v16
	v_ashrrev_i32_e32 v16, 31, v16
	v_xor_b32_e32 v42, s13, v16
	v_xor_b32_e32 v16, s12, v16
	v_and_b32_e32 v41, v41, v16
	v_lshlrev_b32_e32 v16, 29, v17
	v_cmp_gt_i64_e64 s[12:13], 0, v[15:16]
	v_not_b32_e32 v16, v16
	v_and_b32_e32 v18, exec_hi, v18
	v_ashrrev_i32_e32 v16, 31, v16
	v_and_b32_e32 v18, v18, v42
	v_xor_b32_e32 v42, s13, v16
	v_xor_b32_e32 v16, s12, v16
	v_and_b32_e32 v41, v41, v16
	v_lshlrev_b32_e32 v16, 28, v17
	v_cmp_gt_i64_e64 s[12:13], 0, v[15:16]
	v_not_b32_e32 v16, v16
	v_ashrrev_i32_e32 v16, 31, v16
	v_and_b32_e32 v18, v18, v42
	v_xor_b32_e32 v42, s13, v16
	v_xor_b32_e32 v16, s12, v16
	v_and_b32_e32 v41, v41, v16
	v_lshlrev_b32_e32 v16, 27, v17
	v_cmp_gt_i64_e64 s[12:13], 0, v[15:16]
	v_not_b32_e32 v16, v16
	v_ashrrev_i32_e32 v16, 31, v16
	v_and_b32_e32 v18, v18, v42
	v_xor_b32_e32 v42, s13, v16
	v_xor_b32_e32 v16, s12, v16
	v_and_b32_e32 v41, v41, v16
	v_lshlrev_b32_e32 v16, 26, v17
	v_cmp_gt_i64_e64 s[12:13], 0, v[15:16]
	v_not_b32_e32 v16, v16
	v_ashrrev_i32_e32 v16, 31, v16
	v_and_b32_e32 v18, v18, v42
	v_xor_b32_e32 v42, s13, v16
	v_xor_b32_e32 v16, s12, v16
	v_and_b32_e32 v41, v41, v16
	v_lshlrev_b32_e32 v16, 25, v17
	v_cmp_gt_i64_e64 s[12:13], 0, v[15:16]
	v_not_b32_e32 v16, v16
	v_ashrrev_i32_e32 v16, 31, v16
	v_and_b32_e32 v18, v18, v42
	v_xor_b32_e32 v42, s13, v16
	v_xor_b32_e32 v16, s12, v16
	v_and_b32_e32 v41, v41, v16
	v_lshlrev_b32_e32 v16, 24, v17
	v_cmp_gt_i64_e64 s[12:13], 0, v[15:16]
	v_not_b32_e32 v15, v16
	v_ashrrev_i32_e32 v15, 31, v15
	v_xor_b32_e32 v16, s13, v15
	v_xor_b32_e32 v15, s12, v15
	ds_read_b32 v39, v40 offset:32
	v_and_b32_e32 v18, v18, v42
	v_and_b32_e32 v15, v41, v15
	;; [unrolled: 1-line block ×3, first 2 shown]
	v_mbcnt_lo_u32_b32 v17, v15, 0
	v_mbcnt_hi_u32_b32 v41, v16, v17
	v_cmp_ne_u64_e64 s[12:13], 0, v[15:16]
	v_cmp_eq_u32_e64 s[14:15], 0, v41
	s_and_b64 s[14:15], s[12:13], s[14:15]
	; wave barrier
	s_and_saveexec_b64 s[12:13], s[14:15]
	s_cbranch_execz .LBB121_25
; %bb.24:
	v_bcnt_u32_b32 v15, v15, 0
	v_bcnt_u32_b32 v15, v16, v15
	s_waitcnt lgkmcnt(0)
	v_add_u32_e32 v15, v39, v15
	ds_write_b32 v40, v15 offset:32
.LBB121_25:
	s_or_b64 exec, exec, s[12:13]
	; wave barrier
	s_waitcnt lgkmcnt(0)
	s_barrier
	ds_read2_b32 v[17:18], v24 offset0:8 offset1:9
	ds_read2_b32 v[15:16], v24 offset0:10 offset1:11
	ds_read_b32 v42, v24 offset:48
	v_min_u32_e32 v23, 0x1c0, v23
	v_or_b32_e32 v23, 63, v23
	s_waitcnt lgkmcnt(1)
	v_add3_u32 v43, v18, v17, v15
	s_waitcnt lgkmcnt(0)
	v_add3_u32 v42, v43, v16, v42
	v_and_b32_e32 v43, 15, v22
	v_cmp_ne_u32_e64 s[12:13], 0, v43
	v_mov_b32_dpp v44, v42 row_shr:1 row_mask:0xf bank_mask:0xf
	v_cndmask_b32_e64 v44, 0, v44, s[12:13]
	v_add_u32_e32 v42, v44, v42
	v_cmp_lt_u32_e64 s[12:13], 1, v43
	s_nop 0
	v_mov_b32_dpp v44, v42 row_shr:2 row_mask:0xf bank_mask:0xf
	v_cndmask_b32_e64 v44, 0, v44, s[12:13]
	v_add_u32_e32 v42, v42, v44
	v_cmp_lt_u32_e64 s[12:13], 3, v43
	s_nop 0
	;; [unrolled: 5-line block ×3, first 2 shown]
	v_mov_b32_dpp v44, v42 row_shr:8 row_mask:0xf bank_mask:0xf
	v_cndmask_b32_e64 v43, 0, v44, s[12:13]
	v_add_u32_e32 v42, v42, v43
	v_bfe_i32 v44, v22, 4, 1
	v_cmp_lt_u32_e64 s[12:13], 31, v22
	v_mov_b32_dpp v43, v42 row_bcast:15 row_mask:0xf bank_mask:0xf
	v_and_b32_e32 v43, v44, v43
	v_add_u32_e32 v42, v42, v43
	s_nop 1
	v_mov_b32_dpp v43, v42 row_bcast:31 row_mask:0xf bank_mask:0xf
	v_cndmask_b32_e64 v43, 0, v43, s[12:13]
	v_add_u32_e32 v42, v42, v43
	v_lshrrev_b32_e32 v43, 6, v0
	v_cmp_eq_u32_e64 s[12:13], v0, v23
	s_and_saveexec_b64 s[14:15], s[12:13]
; %bb.26:
	v_lshlrev_b32_e32 v23, 2, v43
	ds_write_b32 v23, v42
; %bb.27:
	s_or_b64 exec, exec, s[14:15]
	v_cmp_gt_u32_e64 s[12:13], 8, v0
	s_waitcnt lgkmcnt(0)
	s_barrier
	s_and_saveexec_b64 s[14:15], s[12:13]
	s_cbranch_execz .LBB121_29
; %bb.28:
	v_lshlrev_b32_e32 v23, 2, v0
	ds_read_b32 v44, v23
	v_and_b32_e32 v45, 7, v22
	v_cmp_ne_u32_e64 s[12:13], 0, v45
	s_waitcnt lgkmcnt(0)
	v_mov_b32_dpp v46, v44 row_shr:1 row_mask:0xf bank_mask:0xf
	v_cndmask_b32_e64 v46, 0, v46, s[12:13]
	v_add_u32_e32 v44, v46, v44
	v_cmp_lt_u32_e64 s[12:13], 1, v45
	s_nop 0
	v_mov_b32_dpp v46, v44 row_shr:2 row_mask:0xf bank_mask:0xf
	v_cndmask_b32_e64 v46, 0, v46, s[12:13]
	v_add_u32_e32 v44, v44, v46
	v_cmp_lt_u32_e64 s[12:13], 3, v45
	s_nop 0
	v_mov_b32_dpp v46, v44 row_shr:4 row_mask:0xf bank_mask:0xf
	v_cndmask_b32_e64 v45, 0, v46, s[12:13]
	v_add_u32_e32 v44, v44, v45
	ds_write_b32 v23, v44
.LBB121_29:
	s_or_b64 exec, exec, s[14:15]
	v_cmp_lt_u32_e64 s[12:13], 63, v0
	v_mov_b32_e32 v23, 0
	s_waitcnt lgkmcnt(0)
	s_barrier
	s_and_saveexec_b64 s[14:15], s[12:13]
; %bb.30:
	v_lshl_add_u32 v23, v43, 2, -4
	ds_read_b32 v23, v23
; %bb.31:
	s_or_b64 exec, exec, s[14:15]
	v_add_u32_e32 v43, -1, v22
	v_and_b32_e32 v44, 64, v22
	v_cmp_lt_i32_e64 s[12:13], v43, v44
	v_cndmask_b32_e64 v43, v43, v22, s[12:13]
	s_waitcnt lgkmcnt(0)
	v_add_u32_e32 v42, v23, v42
	v_lshlrev_b32_e32 v43, 2, v43
	ds_bpermute_b32 v42, v43, v42
	v_cmp_eq_u32_e64 s[12:13], 0, v22
	s_movk_i32 s16, 0x100
	v_cmp_gt_u32_e64 s[14:15], s16, v0
	s_waitcnt lgkmcnt(0)
	v_cndmask_b32_e64 v22, v42, v23, s[12:13]
	v_cmp_ne_u32_e64 s[12:13], 0, v0
	v_cndmask_b32_e64 v22, 0, v22, s[12:13]
	v_add_u32_e32 v17, v22, v17
	v_add_u32_e32 v18, v17, v18
	v_add_u32_e32 v15, v18, v15
	v_add_u32_e32 v16, v15, v16
	ds_write2_b32 v24, v22, v17 offset0:8 offset1:9
	ds_write2_b32 v24, v18, v15 offset0:10 offset1:11
	ds_write_b32 v24, v16 offset:48
	s_waitcnt lgkmcnt(0)
	s_barrier
	ds_read_b32 v24, v27 offset:32
	ds_read_b32 v28, v28 offset:32
	;; [unrolled: 1-line block ×6, first 2 shown]
	s_movk_i32 s12, 0xff
	v_mov_b32_e32 v15, 0
	v_cmp_lt_u32_e64 s[12:13], s12, v0
	v_mov_b32_e32 v16, 0
                                        ; implicit-def: $vgpr22
	s_and_saveexec_b64 s[18:19], s[14:15]
	s_cbranch_execz .LBB121_35
; %bb.32:
	v_mul_u32_u24_e32 v15, 36, v0
	ds_read_b32 v15, v15 offset:32
	v_add_u32_e32 v22, 1, v0
	v_cmp_ne_u32_e64 s[16:17], s16, v22
	v_mov_b32_e32 v16, 0xc00
	s_and_saveexec_b64 s[20:21], s[16:17]
; %bb.33:
	v_mul_u32_u24_e32 v16, 36, v22
	ds_read_b32 v16, v16 offset:32
; %bb.34:
	s_or_b64 exec, exec, s[20:21]
	s_waitcnt lgkmcnt(0)
	v_sub_u32_e32 v22, v16, v15
	v_mov_b32_e32 v16, 0
.LBB121_35:
	s_or_b64 exec, exec, s[18:19]
	v_lshlrev_b32_e32 v25, 3, v25
	s_waitcnt lgkmcnt(5)
	v_lshl_add_u32 v24, v24, 3, v25
	s_waitcnt lgkmcnt(0)
	s_barrier
	ds_write_b64 v24, v[5:6] offset:2048
	v_lshlrev_b32_e32 v5, 3, v28
	v_lshlrev_b32_e32 v6, 3, v29
	;; [unrolled: 1-line block ×3, first 2 shown]
	v_add3_u32 v25, v5, v6, v25
	ds_write_b64 v25, v[3:4] offset:2048
	v_lshlrev_b32_e32 v3, 3, v27
	v_lshlrev_b32_e32 v4, 3, v32
	v_lshlrev_b32_e32 v5, 3, v30
	v_add3_u32 v26, v3, v4, v5
	v_lshlrev_b32_e32 v3, 3, v23
	v_lshlrev_b32_e32 v4, 3, v35
	v_lshlrev_b32_e32 v5, 3, v33
	v_add3_u32 v27, v3, v4, v5
	;; [unrolled: 4-line block ×4, first 2 shown]
	v_mov_b32_e32 v4, 0
	v_lshlrev_b32_e32 v23, 3, v0
	ds_write_b64 v26, v[9:10] offset:2048
	ds_write_b64 v27, v[7:8] offset:2048
	;; [unrolled: 1-line block ×4, first 2 shown]
	s_waitcnt lgkmcnt(0)
	s_barrier
	s_and_saveexec_b64 s[16:17], s[14:15]
	s_cbranch_execz .LBB121_45
; %bb.36:
	v_lshl_add_u32 v3, s6, 8, v0
	v_lshlrev_b64 v[5:6], 2, v[3:4]
	v_mov_b32_e32 v9, s31
	v_add_co_u32_e64 v5, s[14:15], s30, v5
	v_addc_co_u32_e64 v6, s[14:15], v9, v6, s[14:15]
	v_or_b32_e32 v3, 2.0, v22
	s_mov_b64 s[18:19], 0
	s_brev_b32 s24, -4
	s_mov_b32 s25, s6
	v_mov_b32_e32 v10, 0
	global_store_dword v[5:6], v3, off
                                        ; implicit-def: $sgpr14_sgpr15
	s_branch .LBB121_39
.LBB121_37:                             ;   in Loop: Header=BB121_39 Depth=1
	s_or_b64 exec, exec, s[22:23]
.LBB121_38:                             ;   in Loop: Header=BB121_39 Depth=1
	s_or_b64 exec, exec, s[20:21]
	v_and_b32_e32 v7, 0x3fffffff, v3
	v_add_u32_e32 v10, v7, v10
	v_cmp_gt_i32_e64 s[14:15], -2.0, v3
	s_and_b64 s[20:21], exec, s[14:15]
	s_or_b64 s[18:19], s[20:21], s[18:19]
	s_andn2_b64 exec, exec, s[18:19]
	s_cbranch_execz .LBB121_44
.LBB121_39:                             ; =>This Loop Header: Depth=1
                                        ;     Child Loop BB121_42 Depth 2
	s_or_b64 s[14:15], s[14:15], exec
	s_cmp_eq_u32 s25, 0
	s_cbranch_scc1 .LBB121_43
; %bb.40:                               ;   in Loop: Header=BB121_39 Depth=1
	s_add_i32 s25, s25, -1
	v_lshl_or_b32 v3, s25, 8, v0
	v_lshlrev_b64 v[7:8], 2, v[3:4]
	v_add_co_u32_e64 v7, s[14:15], s30, v7
	v_addc_co_u32_e64 v8, s[14:15], v9, v8, s[14:15]
	global_load_dword v3, v[7:8], off glc
	s_waitcnt vmcnt(0)
	v_cmp_gt_u32_e64 s[14:15], 2.0, v3
	s_and_saveexec_b64 s[20:21], s[14:15]
	s_cbranch_execz .LBB121_38
; %bb.41:                               ;   in Loop: Header=BB121_39 Depth=1
	s_mov_b64 s[22:23], 0
.LBB121_42:                             ;   Parent Loop BB121_39 Depth=1
                                        ; =>  This Inner Loop Header: Depth=2
	global_load_dword v3, v[7:8], off glc
	s_waitcnt vmcnt(0)
	v_cmp_lt_u32_e64 s[14:15], s24, v3
	s_or_b64 s[22:23], s[14:15], s[22:23]
	s_andn2_b64 exec, exec, s[22:23]
	s_cbranch_execnz .LBB121_42
	s_branch .LBB121_37
.LBB121_43:                             ;   in Loop: Header=BB121_39 Depth=1
                                        ; implicit-def: $sgpr25
	s_and_b64 s[20:21], exec, s[14:15]
	s_or_b64 s[18:19], s[20:21], s[18:19]
	s_andn2_b64 exec, exec, s[18:19]
	s_cbranch_execnz .LBB121_39
.LBB121_44:
	s_or_b64 exec, exec, s[18:19]
	v_add_u32_e32 v3, v10, v22
	v_or_b32_e32 v3, 0x80000000, v3
	global_store_dword v[5:6], v3, off
	global_load_dwordx2 v[3:4], v23, s[44:45]
	v_sub_co_u32_e64 v5, s[14:15], v10, v15
	v_subb_co_u32_e64 v6, s[14:15], 0, v16, s[14:15]
	s_waitcnt vmcnt(0)
	v_add_co_u32_e64 v3, s[14:15], v5, v3
	v_addc_co_u32_e64 v4, s[14:15], v6, v4, s[14:15]
	ds_write_b64 v23, v[3:4]
.LBB121_45:
	s_or_b64 exec, exec, s[16:17]
	v_cmp_gt_u32_e64 s[14:15], s35, v0
	s_waitcnt lgkmcnt(0)
	s_barrier
	s_and_saveexec_b64 s[18:19], s[14:15]
	s_cbranch_execz .LBB121_47
; %bb.46:
	ds_read_b64 v[3:4], v23 offset:2048
	v_mov_b32_e32 v7, s39
	s_waitcnt lgkmcnt(0)
	v_lshrrev_b64 v[5:6], s48, v[3:4]
	v_xor_b32_e32 v4, 0x80000000, v4
	v_and_b32_e32 v5, s33, v5
	v_lshlrev_b32_e32 v5, 3, v5
	ds_read_b64 v[5:6], v5
	s_waitcnt lgkmcnt(0)
	v_lshlrev_b64 v[5:6], 3, v[5:6]
	v_add_co_u32_e64 v5, s[16:17], s38, v5
	v_addc_co_u32_e64 v6, s[16:17], v7, v6, s[16:17]
	v_add_co_u32_e64 v5, s[16:17], v5, v23
	v_addc_co_u32_e64 v6, s[16:17], 0, v6, s[16:17]
	global_store_dwordx2 v[5:6], v[3:4], off
.LBB121_47:
	s_or_b64 exec, exec, s[18:19]
	v_or_b32_e32 v3, 0x200, v0
	v_cmp_gt_u32_e64 s[16:17], s35, v3
	v_lshlrev_b32_e32 v30, 3, v3
	s_and_saveexec_b64 s[20:21], s[16:17]
	s_cbranch_execz .LBB121_49
; %bb.48:
	ds_read_b64 v[3:4], v23 offset:6144
	v_mov_b32_e32 v7, s39
	s_waitcnt lgkmcnt(0)
	v_lshrrev_b64 v[5:6], s48, v[3:4]
	v_xor_b32_e32 v4, 0x80000000, v4
	v_and_b32_e32 v5, s33, v5
	v_lshlrev_b32_e32 v5, 3, v5
	ds_read_b64 v[5:6], v5
	s_waitcnt lgkmcnt(0)
	v_lshlrev_b64 v[5:6], 3, v[5:6]
	v_add_co_u32_e64 v5, s[18:19], s38, v5
	v_addc_co_u32_e64 v6, s[18:19], v7, v6, s[18:19]
	v_add_co_u32_e64 v5, s[18:19], v5, v30
	v_addc_co_u32_e64 v6, s[18:19], 0, v6, s[18:19]
	global_store_dwordx2 v[5:6], v[3:4], off
.LBB121_49:
	s_or_b64 exec, exec, s[20:21]
	v_or_b32_e32 v3, 0x400, v0
	v_cmp_gt_u32_e64 s[18:19], s35, v3
	v_lshlrev_b32_e32 v31, 3, v3
	;; [unrolled: 23-line block ×5, first 2 shown]
	s_and_saveexec_b64 s[52:53], s[24:25]
	s_cbranch_execz .LBB121_57
; %bb.56:
	ds_read_b64 v[3:4], v23 offset:22528
	v_mov_b32_e32 v7, s39
	s_waitcnt lgkmcnt(0)
	v_lshrrev_b64 v[5:6], s48, v[3:4]
	v_xor_b32_e32 v4, 0x80000000, v4
	v_and_b32_e32 v5, s33, v5
	v_lshlrev_b32_e32 v5, 3, v5
	ds_read_b64 v[5:6], v5
	s_waitcnt lgkmcnt(0)
	v_lshlrev_b64 v[5:6], 3, v[5:6]
	v_add_co_u32_e64 v5, s[28:29], s38, v5
	v_addc_co_u32_e64 v6, s[28:29], v7, v6, s[28:29]
	v_add_co_u32_e64 v5, s[28:29], v5, v34
	v_addc_co_u32_e64 v6, s[28:29], 0, v6, s[28:29]
	global_store_dwordx2 v[5:6], v[3:4], off
.LBB121_57:
	s_or_b64 exec, exec, s[52:53]
	s_add_u32 s28, s40, s50
	s_addc_u32 s29, s41, s51
	v_mov_b32_e32 v3, s29
	v_add_co_u32_e64 v4, s[28:29], s28, v20
	v_addc_co_u32_e64 v3, s[28:29], 0, v3, s[28:29]
	v_add_co_u32_e64 v17, s[28:29], v4, v21
	v_addc_co_u32_e64 v18, s[28:29], 0, v3, s[28:29]
                                        ; implicit-def: $vgpr3_vgpr4
	s_and_saveexec_b64 s[28:29], vcc
	s_xor_b64 s[28:29], exec, s[28:29]
	s_cbranch_execz .LBB121_63
; %bb.58:
	global_load_dwordx2 v[3:4], v[17:18], off
	s_or_b64 exec, exec, s[28:29]
                                        ; implicit-def: $vgpr5_vgpr6
	s_and_saveexec_b64 s[28:29], s[0:1]
	s_cbranch_execnz .LBB121_64
.LBB121_59:
	s_or_b64 exec, exec, s[28:29]
                                        ; implicit-def: $vgpr7_vgpr8
	s_and_saveexec_b64 s[0:1], s[2:3]
	s_cbranch_execz .LBB121_65
.LBB121_60:
	global_load_dwordx2 v[7:8], v[17:18], off offset:1024
	s_or_b64 exec, exec, s[0:1]
                                        ; implicit-def: $vgpr9_vgpr10
	s_and_saveexec_b64 s[0:1], s[26:27]
	s_cbranch_execnz .LBB121_66
.LBB121_61:
	s_or_b64 exec, exec, s[0:1]
                                        ; implicit-def: $vgpr11_vgpr12
	s_and_saveexec_b64 s[0:1], s[8:9]
	s_cbranch_execz .LBB121_67
.LBB121_62:
	global_load_dwordx2 v[11:12], v[17:18], off offset:2048
	s_or_b64 exec, exec, s[0:1]
                                        ; implicit-def: $vgpr13_vgpr14
	s_and_saveexec_b64 s[0:1], s[10:11]
	s_cbranch_execnz .LBB121_68
	s_branch .LBB121_69
.LBB121_63:
	s_or_b64 exec, exec, s[28:29]
                                        ; implicit-def: $vgpr5_vgpr6
	s_and_saveexec_b64 s[28:29], s[0:1]
	s_cbranch_execz .LBB121_59
.LBB121_64:
	global_load_dwordx2 v[5:6], v[17:18], off offset:512
	s_or_b64 exec, exec, s[28:29]
                                        ; implicit-def: $vgpr7_vgpr8
	s_and_saveexec_b64 s[0:1], s[2:3]
	s_cbranch_execnz .LBB121_60
.LBB121_65:
	s_or_b64 exec, exec, s[0:1]
                                        ; implicit-def: $vgpr9_vgpr10
	s_and_saveexec_b64 s[0:1], s[26:27]
	s_cbranch_execz .LBB121_61
.LBB121_66:
	global_load_dwordx2 v[9:10], v[17:18], off offset:1536
	s_or_b64 exec, exec, s[0:1]
                                        ; implicit-def: $vgpr11_vgpr12
	s_and_saveexec_b64 s[0:1], s[8:9]
	s_cbranch_execnz .LBB121_62
.LBB121_67:
	s_or_b64 exec, exec, s[0:1]
                                        ; implicit-def: $vgpr13_vgpr14
	s_and_saveexec_b64 s[0:1], s[10:11]
	s_cbranch_execz .LBB121_69
.LBB121_68:
	global_load_dwordx2 v[13:14], v[17:18], off offset:2560
.LBB121_69:
	s_or_b64 exec, exec, s[0:1]
	v_mov_b32_e32 v21, 0
	v_mov_b32_e32 v36, 0
	s_and_saveexec_b64 s[0:1], s[14:15]
	s_cbranch_execz .LBB121_71
; %bb.70:
	ds_read_b64 v[17:18], v23 offset:2048
	s_waitcnt lgkmcnt(0)
	v_lshrrev_b64 v[17:18], s48, v[17:18]
	v_and_b32_e32 v36, s33, v17
.LBB121_71:
	s_or_b64 exec, exec, s[0:1]
	s_and_saveexec_b64 s[0:1], s[16:17]
	s_cbranch_execz .LBB121_73
; %bb.72:
	ds_read_b64 v[17:18], v23 offset:6144
	s_waitcnt lgkmcnt(0)
	v_lshrrev_b64 v[17:18], s48, v[17:18]
	v_and_b32_e32 v21, s33, v17
.LBB121_73:
	s_or_b64 exec, exec, s[0:1]
	v_mov_b32_e32 v18, 0
	v_mov_b32_e32 v35, 0
	s_and_saveexec_b64 s[0:1], s[18:19]
	s_cbranch_execz .LBB121_75
; %bb.74:
	ds_read_b64 v[37:38], v23 offset:10240
	s_waitcnt lgkmcnt(0)
	v_lshrrev_b64 v[37:38], s48, v[37:38]
	v_and_b32_e32 v35, s33, v37
.LBB121_75:
	s_or_b64 exec, exec, s[0:1]
	s_and_saveexec_b64 s[0:1], s[20:21]
	s_cbranch_execz .LBB121_77
; %bb.76:
	ds_read_b64 v[17:18], v23 offset:14336
	s_waitcnt lgkmcnt(0)
	v_lshrrev_b64 v[17:18], s48, v[17:18]
	v_and_b32_e32 v18, s33, v17
.LBB121_77:
	s_or_b64 exec, exec, s[0:1]
	v_mov_b32_e32 v17, 0
	v_mov_b32_e32 v20, 0
	s_and_saveexec_b64 s[0:1], s[22:23]
	s_cbranch_execz .LBB121_79
; %bb.78:
	ds_read_b64 v[37:38], v23 offset:18432
	s_waitcnt lgkmcnt(0)
	v_lshrrev_b64 v[37:38], s48, v[37:38]
	v_and_b32_e32 v20, s33, v37
.LBB121_79:
	s_or_b64 exec, exec, s[0:1]
	s_and_saveexec_b64 s[0:1], s[24:25]
	s_cbranch_execz .LBB121_81
; %bb.80:
	ds_read_b64 v[37:38], v23 offset:22528
	s_waitcnt lgkmcnt(0)
	v_lshrrev_b64 v[37:38], s48, v[37:38]
	v_and_b32_e32 v17, s33, v37
.LBB121_81:
	s_or_b64 exec, exec, s[0:1]
	s_waitcnt vmcnt(0)
	s_barrier
	ds_write_b64 v24, v[3:4] offset:2048
	ds_write_b64 v25, v[5:6] offset:2048
	;; [unrolled: 1-line block ×6, first 2 shown]
	s_waitcnt lgkmcnt(0)
	s_barrier
	s_and_saveexec_b64 s[0:1], s[14:15]
	s_cbranch_execz .LBB121_87
; %bb.82:
	v_lshlrev_b32_e32 v3, 3, v36
	ds_read_b64 v[3:4], v3
	ds_read_b64 v[5:6], v23 offset:2048
	v_mov_b32_e32 v7, s43
	s_waitcnt lgkmcnt(1)
	v_lshlrev_b64 v[3:4], 3, v[3:4]
	v_add_co_u32_e32 v3, vcc, s42, v3
	v_addc_co_u32_e32 v4, vcc, v7, v4, vcc
	v_add_co_u32_e32 v3, vcc, v3, v23
	v_addc_co_u32_e32 v4, vcc, 0, v4, vcc
	s_waitcnt lgkmcnt(0)
	global_store_dwordx2 v[3:4], v[5:6], off
	s_or_b64 exec, exec, s[0:1]
	s_and_saveexec_b64 s[0:1], s[16:17]
	s_cbranch_execnz .LBB121_88
.LBB121_83:
	s_or_b64 exec, exec, s[0:1]
	s_and_saveexec_b64 s[0:1], s[18:19]
	s_cbranch_execz .LBB121_89
.LBB121_84:
	v_lshlrev_b32_e32 v3, 3, v35
	ds_read_b64 v[3:4], v3
	ds_read_b64 v[5:6], v23 offset:10240
	v_mov_b32_e32 v7, s43
	s_waitcnt lgkmcnt(1)
	v_lshlrev_b64 v[3:4], 3, v[3:4]
	v_add_co_u32_e32 v3, vcc, s42, v3
	v_addc_co_u32_e32 v4, vcc, v7, v4, vcc
	v_add_co_u32_e32 v3, vcc, v3, v31
	v_addc_co_u32_e32 v4, vcc, 0, v4, vcc
	s_waitcnt lgkmcnt(0)
	global_store_dwordx2 v[3:4], v[5:6], off
	s_or_b64 exec, exec, s[0:1]
	s_and_saveexec_b64 s[0:1], s[20:21]
	s_cbranch_execnz .LBB121_90
.LBB121_85:
	s_or_b64 exec, exec, s[0:1]
	s_and_saveexec_b64 s[0:1], s[22:23]
	s_cbranch_execz .LBB121_91
.LBB121_86:
	v_lshlrev_b32_e32 v3, 3, v20
	ds_read_b64 v[3:4], v3
	ds_read_b64 v[5:6], v23 offset:18432
	v_mov_b32_e32 v7, s43
	s_waitcnt lgkmcnt(1)
	v_lshlrev_b64 v[3:4], 3, v[3:4]
	v_add_co_u32_e32 v3, vcc, s42, v3
	v_addc_co_u32_e32 v4, vcc, v7, v4, vcc
	v_add_co_u32_e32 v3, vcc, v3, v33
	v_addc_co_u32_e32 v4, vcc, 0, v4, vcc
	s_waitcnt lgkmcnt(0)
	global_store_dwordx2 v[3:4], v[5:6], off
	s_or_b64 exec, exec, s[0:1]
	s_and_saveexec_b64 s[0:1], s[24:25]
	s_cbranch_execnz .LBB121_92
	s_branch .LBB121_93
.LBB121_87:
	s_or_b64 exec, exec, s[0:1]
	s_and_saveexec_b64 s[0:1], s[16:17]
	s_cbranch_execz .LBB121_83
.LBB121_88:
	v_lshlrev_b32_e32 v3, 3, v21
	ds_read_b64 v[3:4], v3
	ds_read_b64 v[5:6], v23 offset:6144
	v_mov_b32_e32 v7, s43
	s_waitcnt lgkmcnt(1)
	v_lshlrev_b64 v[3:4], 3, v[3:4]
	v_add_co_u32_e32 v3, vcc, s42, v3
	v_addc_co_u32_e32 v4, vcc, v7, v4, vcc
	v_add_co_u32_e32 v3, vcc, v3, v30
	v_addc_co_u32_e32 v4, vcc, 0, v4, vcc
	s_waitcnt lgkmcnt(0)
	global_store_dwordx2 v[3:4], v[5:6], off
	s_or_b64 exec, exec, s[0:1]
	s_and_saveexec_b64 s[0:1], s[18:19]
	s_cbranch_execnz .LBB121_84
.LBB121_89:
	s_or_b64 exec, exec, s[0:1]
	s_and_saveexec_b64 s[0:1], s[20:21]
	s_cbranch_execz .LBB121_85
.LBB121_90:
	v_lshlrev_b32_e32 v3, 3, v18
	ds_read_b64 v[3:4], v3
	ds_read_b64 v[5:6], v23 offset:14336
	v_mov_b32_e32 v7, s43
	s_waitcnt lgkmcnt(1)
	v_lshlrev_b64 v[3:4], 3, v[3:4]
	v_add_co_u32_e32 v3, vcc, s42, v3
	v_addc_co_u32_e32 v4, vcc, v7, v4, vcc
	v_add_co_u32_e32 v3, vcc, v3, v32
	v_addc_co_u32_e32 v4, vcc, 0, v4, vcc
	s_waitcnt lgkmcnt(0)
	global_store_dwordx2 v[3:4], v[5:6], off
	s_or_b64 exec, exec, s[0:1]
	s_and_saveexec_b64 s[0:1], s[22:23]
	s_cbranch_execnz .LBB121_86
.LBB121_91:
	s_or_b64 exec, exec, s[0:1]
	s_and_saveexec_b64 s[0:1], s[24:25]
	s_cbranch_execz .LBB121_93
.LBB121_92:
	v_lshlrev_b32_e32 v3, 3, v17
	ds_read_b64 v[3:4], v3
	ds_read_b64 v[5:6], v23 offset:22528
	v_mov_b32_e32 v7, s43
	s_waitcnt lgkmcnt(1)
	v_lshlrev_b64 v[3:4], 3, v[3:4]
	v_add_co_u32_e32 v3, vcc, s42, v3
	v_addc_co_u32_e32 v4, vcc, v7, v4, vcc
	v_add_co_u32_e32 v3, vcc, v3, v34
	v_addc_co_u32_e32 v4, vcc, 0, v4, vcc
	s_waitcnt lgkmcnt(0)
	global_store_dwordx2 v[3:4], v[5:6], off
.LBB121_93:
	s_or_b64 exec, exec, s[0:1]
	s_add_i32 s7, s7, -1
	s_cmp_eq_u32 s6, s7
	s_cselect_b64 s[0:1], -1, 0
	s_xor_b64 s[2:3], s[12:13], -1
	s_and_b64 s[2:3], s[2:3], s[0:1]
	s_and_saveexec_b64 s[0:1], s[2:3]
	s_cbranch_execz .LBB121_95
; %bb.94:
	ds_read_b64 v[3:4], v23
	v_add_co_u32_e32 v5, vcc, v15, v22
	v_addc_co_u32_e32 v6, vcc, 0, v16, vcc
	s_waitcnt lgkmcnt(0)
	v_add_co_u32_e32 v3, vcc, v5, v3
	v_addc_co_u32_e32 v4, vcc, v6, v4, vcc
	global_store_dwordx2 v23, v[3:4], s[46:47]
.LBB121_95:
	s_or_b64 exec, exec, s[0:1]
	s_mov_b64 s[0:1], 0
.LBB121_96:
	s_and_b64 vcc, exec, s[0:1]
	s_cbranch_vccz .LBB121_131
; %bb.97:
	s_mov_b32 s35, 0
	s_lshl_b64 s[8:9], s[34:35], 3
	v_mbcnt_hi_u32_b32 v19, -1, v19
	s_add_u32 s0, s36, s8
	v_lshlrev_b32_e32 v17, 3, v19
	v_add_co_u32_e32 v5, vcc, s0, v17
	s_load_dword s7, s[4:5], 0x50
	s_load_dword s0, s[4:5], 0x5c
	s_addc_u32 s1, s37, s9
	v_and_b32_e32 v21, 0x1c0, v0
	v_mul_u32_u24_e32 v3, 6, v21
	v_mov_b32_e32 v4, s1
	s_add_u32 s1, s4, 0x50
	v_addc_co_u32_e32 v4, vcc, 0, v4, vcc
	v_lshlrev_b32_e32 v18, 3, v3
	s_addc_u32 s2, s5, 0
	s_waitcnt lgkmcnt(0)
	s_lshr_b32 s3, s0, 16
	v_add_co_u32_e32 v14, vcc, v5, v18
	s_cmp_lt_u32 s6, s7
	v_addc_co_u32_e32 v15, vcc, 0, v4, vcc
	s_cselect_b32 s0, 12, 18
	global_load_dwordx2 v[3:4], v[14:15], off
	s_add_u32 s0, s1, s0
	v_mov_b32_e32 v13, 0
	s_addc_u32 s1, s2, 0
	v_mul_u32_u24_e32 v20, 20, v0
	global_load_ushort v16, v13, s[0:1]
	ds_write2_b32 v20, v13, v13 offset0:8 offset1:9
	ds_write2_b32 v20, v13, v13 offset0:10 offset1:11
	ds_write_b32 v20, v13 offset:48
	v_mad_u32_u24 v22, v2, s3, v1
	global_load_dwordx2 v[11:12], v[14:15], off offset:512
	global_load_dwordx2 v[9:10], v[14:15], off offset:1024
	;; [unrolled: 1-line block ×5, first 2 shown]
	s_lshl_b32 s0, -1, s49
	s_not_b32 s14, s0
	s_waitcnt vmcnt(0) lgkmcnt(0)
	s_barrier
	; wave barrier
	v_xor_b32_e32 v4, 0x80000000, v4
	v_lshrrev_b64 v[14:15], s48, v[3:4]
	v_and_b32_e32 v23, s14, v14
	v_lshlrev_b32_e32 v14, 30, v23
	v_mad_u64_u32 v[15:16], s[0:1], v22, v16, v[0:1]
	v_and_b32_e32 v16, 1, v23
	v_add_co_u32_e32 v24, vcc, -1, v16
	v_addc_co_u32_e64 v25, s[0:1], 0, -1, vcc
	v_cmp_ne_u32_e32 vcc, 0, v16
	v_cmp_gt_i64_e64 s[0:1], 0, v[13:14]
	v_not_b32_e32 v16, v14
	v_lshlrev_b32_e32 v14, 29, v23
	v_xor_b32_e32 v25, vcc_hi, v25
	v_xor_b32_e32 v24, vcc_lo, v24
	v_ashrrev_i32_e32 v26, 31, v16
	v_cmp_gt_i64_e32 vcc, 0, v[13:14]
	v_not_b32_e32 v27, v14
	v_lshlrev_b32_e32 v14, 28, v23
	v_lshrrev_b32_e32 v16, 6, v15
	v_and_b32_e32 v15, exec_hi, v25
	v_and_b32_e32 v24, exec_lo, v24
	v_xor_b32_e32 v25, s1, v26
	v_xor_b32_e32 v26, s0, v26
	v_ashrrev_i32_e32 v27, 31, v27
	v_cmp_gt_i64_e64 s[0:1], 0, v[13:14]
	v_not_b32_e32 v28, v14
	v_lshlrev_b32_e32 v14, 27, v23
	v_and_b32_e32 v15, v15, v25
	v_and_b32_e32 v24, v24, v26
	v_xor_b32_e32 v25, vcc_hi, v27
	v_xor_b32_e32 v26, vcc_lo, v27
	v_ashrrev_i32_e32 v27, 31, v28
	v_cmp_gt_i64_e32 vcc, 0, v[13:14]
	v_not_b32_e32 v28, v14
	v_lshlrev_b32_e32 v14, 26, v23
	v_and_b32_e32 v15, v15, v25
	v_and_b32_e32 v24, v24, v26
	v_xor_b32_e32 v25, s1, v27
	v_xor_b32_e32 v26, s0, v27
	v_ashrrev_i32_e32 v27, 31, v28
	v_cmp_gt_i64_e64 s[0:1], 0, v[13:14]
	v_not_b32_e32 v14, v14
	v_and_b32_e32 v15, v15, v25
	v_and_b32_e32 v24, v24, v26
	v_xor_b32_e32 v25, vcc_hi, v27
	v_xor_b32_e32 v26, vcc_lo, v27
	v_ashrrev_i32_e32 v14, 31, v14
	v_and_b32_e32 v15, v15, v25
	v_and_b32_e32 v24, v24, v26
	v_xor_b32_e32 v25, s1, v14
	v_xor_b32_e32 v14, s0, v14
	v_and_b32_e32 v24, v24, v14
	v_lshlrev_b32_e32 v14, 25, v23
	v_cmp_gt_i64_e32 vcc, 0, v[13:14]
	v_not_b32_e32 v14, v14
	v_ashrrev_i32_e32 v14, 31, v14
	v_and_b32_e32 v15, v15, v25
	v_xor_b32_e32 v25, vcc_hi, v14
	v_xor_b32_e32 v14, vcc_lo, v14
	v_and_b32_e32 v24, v24, v14
	v_lshlrev_b32_e32 v14, 24, v23
	v_cmp_gt_i64_e32 vcc, 0, v[13:14]
	v_not_b32_e32 v14, v14
	v_ashrrev_i32_e32 v14, 31, v14
	v_mul_lo_u32 v22, v23, 36
	v_xor_b32_e32 v23, vcc_hi, v14
	v_xor_b32_e32 v14, vcc_lo, v14
	v_and_b32_e32 v15, v15, v25
	v_and_b32_e32 v14, v24, v14
	;; [unrolled: 1-line block ×3, first 2 shown]
	v_mbcnt_lo_u32_b32 v23, v14, 0
	v_mbcnt_hi_u32_b32 v23, v15, v23
	v_cmp_ne_u64_e32 vcc, 0, v[14:15]
	v_cmp_eq_u32_e64 s[0:1], 0, v23
	v_lshl_add_u32 v22, v16, 2, v22
	s_and_b64 s[2:3], vcc, s[0:1]
	s_and_saveexec_b64 s[0:1], s[2:3]
; %bb.98:
	v_bcnt_u32_b32 v14, v14, 0
	v_bcnt_u32_b32 v14, v15, v14
	ds_write_b32 v22, v14 offset:32
; %bb.99:
	s_or_b64 exec, exec, s[0:1]
	v_xor_b32_e32 v12, 0x80000000, v12
	v_lshrrev_b64 v[14:15], s48, v[11:12]
	v_and_b32_e32 v15, s14, v14
	v_mul_lo_u32 v14, v15, 36
	v_and_b32_e32 v26, 1, v15
	; wave barrier
	v_lshl_add_u32 v25, v16, 2, v14
	v_add_co_u32_e32 v14, vcc, -1, v26
	v_addc_co_u32_e64 v27, s[0:1], 0, -1, vcc
	v_cmp_ne_u32_e32 vcc, 0, v26
	v_xor_b32_e32 v14, vcc_lo, v14
	v_xor_b32_e32 v26, vcc_hi, v27
	v_and_b32_e32 v27, exec_lo, v14
	v_lshlrev_b32_e32 v14, 30, v15
	v_cmp_gt_i64_e32 vcc, 0, v[13:14]
	v_not_b32_e32 v14, v14
	v_ashrrev_i32_e32 v14, 31, v14
	v_xor_b32_e32 v28, vcc_hi, v14
	v_xor_b32_e32 v14, vcc_lo, v14
	v_and_b32_e32 v27, v27, v14
	v_lshlrev_b32_e32 v14, 29, v15
	v_cmp_gt_i64_e32 vcc, 0, v[13:14]
	v_not_b32_e32 v14, v14
	v_and_b32_e32 v26, exec_hi, v26
	v_ashrrev_i32_e32 v14, 31, v14
	v_and_b32_e32 v26, v26, v28
	v_xor_b32_e32 v28, vcc_hi, v14
	v_xor_b32_e32 v14, vcc_lo, v14
	v_and_b32_e32 v27, v27, v14
	v_lshlrev_b32_e32 v14, 28, v15
	v_cmp_gt_i64_e32 vcc, 0, v[13:14]
	v_not_b32_e32 v14, v14
	v_ashrrev_i32_e32 v14, 31, v14
	v_and_b32_e32 v26, v26, v28
	v_xor_b32_e32 v28, vcc_hi, v14
	v_xor_b32_e32 v14, vcc_lo, v14
	v_and_b32_e32 v27, v27, v14
	v_lshlrev_b32_e32 v14, 27, v15
	v_cmp_gt_i64_e32 vcc, 0, v[13:14]
	v_not_b32_e32 v14, v14
	;; [unrolled: 8-line block ×5, first 2 shown]
	v_ashrrev_i32_e32 v13, 31, v13
	v_xor_b32_e32 v14, vcc_hi, v13
	v_xor_b32_e32 v13, vcc_lo, v13
	ds_read_b32 v24, v25 offset:32
	v_and_b32_e32 v26, v26, v28
	v_and_b32_e32 v13, v27, v13
	v_and_b32_e32 v14, v26, v14
	v_mbcnt_lo_u32_b32 v15, v13, 0
	v_mbcnt_hi_u32_b32 v26, v14, v15
	v_cmp_ne_u64_e32 vcc, 0, v[13:14]
	v_cmp_eq_u32_e64 s[0:1], 0, v26
	s_and_b64 s[2:3], vcc, s[0:1]
	; wave barrier
	s_and_saveexec_b64 s[0:1], s[2:3]
	s_cbranch_execz .LBB121_101
; %bb.100:
	v_bcnt_u32_b32 v13, v13, 0
	v_bcnt_u32_b32 v13, v14, v13
	s_waitcnt lgkmcnt(0)
	v_add_u32_e32 v13, v24, v13
	ds_write_b32 v25, v13 offset:32
.LBB121_101:
	s_or_b64 exec, exec, s[0:1]
	v_xor_b32_e32 v10, 0x80000000, v10
	v_lshrrev_b64 v[13:14], s48, v[9:10]
	v_and_b32_e32 v15, s14, v13
	v_mul_lo_u32 v14, v15, 36
	v_and_b32_e32 v29, 1, v15
	v_mov_b32_e32 v13, 0
	; wave barrier
	v_lshl_add_u32 v28, v16, 2, v14
	v_add_co_u32_e32 v14, vcc, -1, v29
	v_addc_co_u32_e64 v30, s[0:1], 0, -1, vcc
	v_cmp_ne_u32_e32 vcc, 0, v29
	v_xor_b32_e32 v14, vcc_lo, v14
	v_xor_b32_e32 v29, vcc_hi, v30
	v_and_b32_e32 v30, exec_lo, v14
	v_lshlrev_b32_e32 v14, 30, v15
	v_cmp_gt_i64_e32 vcc, 0, v[13:14]
	v_not_b32_e32 v14, v14
	v_ashrrev_i32_e32 v14, 31, v14
	v_xor_b32_e32 v31, vcc_hi, v14
	v_xor_b32_e32 v14, vcc_lo, v14
	v_and_b32_e32 v30, v30, v14
	v_lshlrev_b32_e32 v14, 29, v15
	v_cmp_gt_i64_e32 vcc, 0, v[13:14]
	v_not_b32_e32 v14, v14
	v_and_b32_e32 v29, exec_hi, v29
	v_ashrrev_i32_e32 v14, 31, v14
	v_and_b32_e32 v29, v29, v31
	v_xor_b32_e32 v31, vcc_hi, v14
	v_xor_b32_e32 v14, vcc_lo, v14
	v_and_b32_e32 v30, v30, v14
	v_lshlrev_b32_e32 v14, 28, v15
	v_cmp_gt_i64_e32 vcc, 0, v[13:14]
	v_not_b32_e32 v14, v14
	v_ashrrev_i32_e32 v14, 31, v14
	v_and_b32_e32 v29, v29, v31
	v_xor_b32_e32 v31, vcc_hi, v14
	v_xor_b32_e32 v14, vcc_lo, v14
	v_and_b32_e32 v30, v30, v14
	v_lshlrev_b32_e32 v14, 27, v15
	v_cmp_gt_i64_e32 vcc, 0, v[13:14]
	v_not_b32_e32 v14, v14
	;; [unrolled: 8-line block ×5, first 2 shown]
	v_ashrrev_i32_e32 v14, 31, v14
	v_xor_b32_e32 v15, vcc_hi, v14
	v_xor_b32_e32 v14, vcc_lo, v14
	ds_read_b32 v27, v28 offset:32
	v_and_b32_e32 v29, v29, v31
	v_and_b32_e32 v14, v30, v14
	;; [unrolled: 1-line block ×3, first 2 shown]
	v_mbcnt_lo_u32_b32 v29, v14, 0
	v_mbcnt_hi_u32_b32 v29, v15, v29
	v_cmp_ne_u64_e32 vcc, 0, v[14:15]
	v_cmp_eq_u32_e64 s[0:1], 0, v29
	s_and_b64 s[2:3], vcc, s[0:1]
	; wave barrier
	s_and_saveexec_b64 s[0:1], s[2:3]
	s_cbranch_execz .LBB121_103
; %bb.102:
	v_bcnt_u32_b32 v14, v14, 0
	v_bcnt_u32_b32 v14, v15, v14
	s_waitcnt lgkmcnt(0)
	v_add_u32_e32 v14, v27, v14
	ds_write_b32 v28, v14 offset:32
.LBB121_103:
	s_or_b64 exec, exec, s[0:1]
	v_xor_b32_e32 v8, 0x80000000, v8
	v_lshrrev_b64 v[14:15], s48, v[7:8]
	v_and_b32_e32 v15, s14, v14
	v_mul_lo_u32 v14, v15, 36
	v_and_b32_e32 v32, 1, v15
	; wave barrier
	v_lshl_add_u32 v31, v16, 2, v14
	v_add_co_u32_e32 v14, vcc, -1, v32
	v_addc_co_u32_e64 v33, s[0:1], 0, -1, vcc
	v_cmp_ne_u32_e32 vcc, 0, v32
	v_xor_b32_e32 v14, vcc_lo, v14
	v_xor_b32_e32 v32, vcc_hi, v33
	v_and_b32_e32 v33, exec_lo, v14
	v_lshlrev_b32_e32 v14, 30, v15
	v_cmp_gt_i64_e32 vcc, 0, v[13:14]
	v_not_b32_e32 v14, v14
	v_ashrrev_i32_e32 v14, 31, v14
	v_xor_b32_e32 v34, vcc_hi, v14
	v_xor_b32_e32 v14, vcc_lo, v14
	v_and_b32_e32 v33, v33, v14
	v_lshlrev_b32_e32 v14, 29, v15
	v_cmp_gt_i64_e32 vcc, 0, v[13:14]
	v_not_b32_e32 v14, v14
	v_and_b32_e32 v32, exec_hi, v32
	v_ashrrev_i32_e32 v14, 31, v14
	v_and_b32_e32 v32, v32, v34
	v_xor_b32_e32 v34, vcc_hi, v14
	v_xor_b32_e32 v14, vcc_lo, v14
	v_and_b32_e32 v33, v33, v14
	v_lshlrev_b32_e32 v14, 28, v15
	v_cmp_gt_i64_e32 vcc, 0, v[13:14]
	v_not_b32_e32 v14, v14
	v_ashrrev_i32_e32 v14, 31, v14
	v_and_b32_e32 v32, v32, v34
	v_xor_b32_e32 v34, vcc_hi, v14
	v_xor_b32_e32 v14, vcc_lo, v14
	v_and_b32_e32 v33, v33, v14
	v_lshlrev_b32_e32 v14, 27, v15
	v_cmp_gt_i64_e32 vcc, 0, v[13:14]
	v_not_b32_e32 v14, v14
	;; [unrolled: 8-line block ×5, first 2 shown]
	v_ashrrev_i32_e32 v13, 31, v13
	v_xor_b32_e32 v14, vcc_hi, v13
	v_xor_b32_e32 v13, vcc_lo, v13
	ds_read_b32 v30, v31 offset:32
	v_and_b32_e32 v32, v32, v34
	v_and_b32_e32 v13, v33, v13
	;; [unrolled: 1-line block ×3, first 2 shown]
	v_mbcnt_lo_u32_b32 v15, v13, 0
	v_mbcnt_hi_u32_b32 v32, v14, v15
	v_cmp_ne_u64_e32 vcc, 0, v[13:14]
	v_cmp_eq_u32_e64 s[0:1], 0, v32
	s_and_b64 s[2:3], vcc, s[0:1]
	; wave barrier
	s_and_saveexec_b64 s[0:1], s[2:3]
	s_cbranch_execz .LBB121_105
; %bb.104:
	v_bcnt_u32_b32 v13, v13, 0
	v_bcnt_u32_b32 v13, v14, v13
	s_waitcnt lgkmcnt(0)
	v_add_u32_e32 v13, v30, v13
	ds_write_b32 v31, v13 offset:32
.LBB121_105:
	s_or_b64 exec, exec, s[0:1]
	v_xor_b32_e32 v6, 0x80000000, v6
	v_lshrrev_b64 v[13:14], s48, v[5:6]
	v_and_b32_e32 v15, s14, v13
	v_mul_lo_u32 v14, v15, 36
	v_and_b32_e32 v35, 1, v15
	v_mov_b32_e32 v13, 0
	; wave barrier
	v_lshl_add_u32 v34, v16, 2, v14
	v_add_co_u32_e32 v14, vcc, -1, v35
	v_addc_co_u32_e64 v36, s[0:1], 0, -1, vcc
	v_cmp_ne_u32_e32 vcc, 0, v35
	v_xor_b32_e32 v14, vcc_lo, v14
	v_xor_b32_e32 v35, vcc_hi, v36
	v_and_b32_e32 v36, exec_lo, v14
	v_lshlrev_b32_e32 v14, 30, v15
	v_cmp_gt_i64_e32 vcc, 0, v[13:14]
	v_not_b32_e32 v14, v14
	v_ashrrev_i32_e32 v14, 31, v14
	v_xor_b32_e32 v37, vcc_hi, v14
	v_xor_b32_e32 v14, vcc_lo, v14
	v_and_b32_e32 v36, v36, v14
	v_lshlrev_b32_e32 v14, 29, v15
	v_cmp_gt_i64_e32 vcc, 0, v[13:14]
	v_not_b32_e32 v14, v14
	v_and_b32_e32 v35, exec_hi, v35
	v_ashrrev_i32_e32 v14, 31, v14
	v_and_b32_e32 v35, v35, v37
	v_xor_b32_e32 v37, vcc_hi, v14
	v_xor_b32_e32 v14, vcc_lo, v14
	v_and_b32_e32 v36, v36, v14
	v_lshlrev_b32_e32 v14, 28, v15
	v_cmp_gt_i64_e32 vcc, 0, v[13:14]
	v_not_b32_e32 v14, v14
	v_ashrrev_i32_e32 v14, 31, v14
	v_and_b32_e32 v35, v35, v37
	v_xor_b32_e32 v37, vcc_hi, v14
	v_xor_b32_e32 v14, vcc_lo, v14
	v_and_b32_e32 v36, v36, v14
	v_lshlrev_b32_e32 v14, 27, v15
	v_cmp_gt_i64_e32 vcc, 0, v[13:14]
	v_not_b32_e32 v14, v14
	;; [unrolled: 8-line block ×5, first 2 shown]
	v_ashrrev_i32_e32 v14, 31, v14
	v_xor_b32_e32 v15, vcc_hi, v14
	v_xor_b32_e32 v14, vcc_lo, v14
	ds_read_b32 v33, v34 offset:32
	v_and_b32_e32 v35, v35, v37
	v_and_b32_e32 v14, v36, v14
	;; [unrolled: 1-line block ×3, first 2 shown]
	v_mbcnt_lo_u32_b32 v35, v14, 0
	v_mbcnt_hi_u32_b32 v35, v15, v35
	v_cmp_ne_u64_e32 vcc, 0, v[14:15]
	v_cmp_eq_u32_e64 s[0:1], 0, v35
	s_and_b64 s[2:3], vcc, s[0:1]
	; wave barrier
	s_and_saveexec_b64 s[0:1], s[2:3]
	s_cbranch_execz .LBB121_107
; %bb.106:
	v_bcnt_u32_b32 v14, v14, 0
	v_bcnt_u32_b32 v14, v15, v14
	s_waitcnt lgkmcnt(0)
	v_add_u32_e32 v14, v33, v14
	ds_write_b32 v34, v14 offset:32
.LBB121_107:
	s_or_b64 exec, exec, s[0:1]
	v_xor_b32_e32 v2, 0x80000000, v2
	v_lshrrev_b64 v[14:15], s48, v[1:2]
	v_and_b32_e32 v15, s14, v14
	v_mul_lo_u32 v14, v15, 36
	v_and_b32_e32 v38, 1, v15
	; wave barrier
	v_lshl_add_u32 v37, v16, 2, v14
	v_add_co_u32_e32 v14, vcc, -1, v38
	v_addc_co_u32_e64 v16, s[0:1], 0, -1, vcc
	v_cmp_ne_u32_e32 vcc, 0, v38
	v_xor_b32_e32 v14, vcc_lo, v14
	v_and_b32_e32 v38, exec_lo, v14
	v_lshlrev_b32_e32 v14, 30, v15
	v_xor_b32_e32 v16, vcc_hi, v16
	v_cmp_gt_i64_e32 vcc, 0, v[13:14]
	v_not_b32_e32 v14, v14
	v_ashrrev_i32_e32 v14, 31, v14
	v_xor_b32_e32 v39, vcc_hi, v14
	v_xor_b32_e32 v14, vcc_lo, v14
	v_and_b32_e32 v38, v38, v14
	v_lshlrev_b32_e32 v14, 29, v15
	v_cmp_gt_i64_e32 vcc, 0, v[13:14]
	v_not_b32_e32 v14, v14
	v_and_b32_e32 v16, exec_hi, v16
	v_ashrrev_i32_e32 v14, 31, v14
	v_and_b32_e32 v16, v16, v39
	v_xor_b32_e32 v39, vcc_hi, v14
	v_xor_b32_e32 v14, vcc_lo, v14
	v_and_b32_e32 v38, v38, v14
	v_lshlrev_b32_e32 v14, 28, v15
	v_cmp_gt_i64_e32 vcc, 0, v[13:14]
	v_not_b32_e32 v14, v14
	v_ashrrev_i32_e32 v14, 31, v14
	v_and_b32_e32 v16, v16, v39
	v_xor_b32_e32 v39, vcc_hi, v14
	v_xor_b32_e32 v14, vcc_lo, v14
	v_and_b32_e32 v38, v38, v14
	v_lshlrev_b32_e32 v14, 27, v15
	v_cmp_gt_i64_e32 vcc, 0, v[13:14]
	v_not_b32_e32 v14, v14
	;; [unrolled: 8-line block ×5, first 2 shown]
	v_ashrrev_i32_e32 v13, 31, v13
	v_xor_b32_e32 v14, vcc_hi, v13
	v_xor_b32_e32 v13, vcc_lo, v13
	ds_read_b32 v36, v37 offset:32
	v_and_b32_e32 v16, v16, v39
	v_and_b32_e32 v13, v38, v13
	;; [unrolled: 1-line block ×3, first 2 shown]
	v_mbcnt_lo_u32_b32 v15, v13, 0
	v_mbcnt_hi_u32_b32 v38, v14, v15
	v_cmp_ne_u64_e32 vcc, 0, v[13:14]
	v_cmp_eq_u32_e64 s[0:1], 0, v38
	s_and_b64 s[2:3], vcc, s[0:1]
	; wave barrier
	s_and_saveexec_b64 s[0:1], s[2:3]
	s_cbranch_execz .LBB121_109
; %bb.108:
	v_bcnt_u32_b32 v13, v13, 0
	v_bcnt_u32_b32 v13, v14, v13
	s_waitcnt lgkmcnt(0)
	v_add_u32_e32 v13, v36, v13
	ds_write_b32 v37, v13 offset:32
.LBB121_109:
	s_or_b64 exec, exec, s[0:1]
	; wave barrier
	s_waitcnt lgkmcnt(0)
	s_barrier
	ds_read2_b32 v[15:16], v20 offset0:8 offset1:9
	ds_read2_b32 v[13:14], v20 offset0:10 offset1:11
	ds_read_b32 v39, v20 offset:48
	v_min_u32_e32 v21, 0x1c0, v21
	v_or_b32_e32 v21, 63, v21
	s_waitcnt lgkmcnt(1)
	v_add3_u32 v40, v16, v15, v13
	s_waitcnt lgkmcnt(0)
	v_add3_u32 v39, v40, v14, v39
	v_and_b32_e32 v40, 15, v19
	v_cmp_ne_u32_e32 vcc, 0, v40
	v_mov_b32_dpp v41, v39 row_shr:1 row_mask:0xf bank_mask:0xf
	v_cndmask_b32_e32 v41, 0, v41, vcc
	v_add_u32_e32 v39, v41, v39
	v_cmp_lt_u32_e32 vcc, 1, v40
	s_nop 0
	v_mov_b32_dpp v41, v39 row_shr:2 row_mask:0xf bank_mask:0xf
	v_cndmask_b32_e32 v41, 0, v41, vcc
	v_add_u32_e32 v39, v39, v41
	v_cmp_lt_u32_e32 vcc, 3, v40
	s_nop 0
	;; [unrolled: 5-line block ×3, first 2 shown]
	v_mov_b32_dpp v41, v39 row_shr:8 row_mask:0xf bank_mask:0xf
	v_cndmask_b32_e32 v40, 0, v41, vcc
	v_add_u32_e32 v39, v39, v40
	v_bfe_i32 v41, v19, 4, 1
	v_cmp_lt_u32_e32 vcc, 31, v19
	v_mov_b32_dpp v40, v39 row_bcast:15 row_mask:0xf bank_mask:0xf
	v_and_b32_e32 v40, v41, v40
	v_add_u32_e32 v39, v39, v40
	s_nop 1
	v_mov_b32_dpp v40, v39 row_bcast:31 row_mask:0xf bank_mask:0xf
	v_cndmask_b32_e32 v40, 0, v40, vcc
	v_add_u32_e32 v39, v39, v40
	v_lshrrev_b32_e32 v40, 6, v0
	v_cmp_eq_u32_e32 vcc, v0, v21
	s_and_saveexec_b64 s[0:1], vcc
; %bb.110:
	v_lshlrev_b32_e32 v21, 2, v40
	ds_write_b32 v21, v39
; %bb.111:
	s_or_b64 exec, exec, s[0:1]
	v_cmp_gt_u32_e32 vcc, 8, v0
	s_waitcnt lgkmcnt(0)
	s_barrier
	s_and_saveexec_b64 s[0:1], vcc
	s_cbranch_execz .LBB121_113
; %bb.112:
	v_lshlrev_b32_e32 v21, 2, v0
	ds_read_b32 v41, v21
	v_and_b32_e32 v42, 7, v19
	v_cmp_ne_u32_e32 vcc, 0, v42
	s_waitcnt lgkmcnt(0)
	v_mov_b32_dpp v43, v41 row_shr:1 row_mask:0xf bank_mask:0xf
	v_cndmask_b32_e32 v43, 0, v43, vcc
	v_add_u32_e32 v41, v43, v41
	v_cmp_lt_u32_e32 vcc, 1, v42
	s_nop 0
	v_mov_b32_dpp v43, v41 row_shr:2 row_mask:0xf bank_mask:0xf
	v_cndmask_b32_e32 v43, 0, v43, vcc
	v_add_u32_e32 v41, v41, v43
	v_cmp_lt_u32_e32 vcc, 3, v42
	s_nop 0
	v_mov_b32_dpp v43, v41 row_shr:4 row_mask:0xf bank_mask:0xf
	v_cndmask_b32_e32 v42, 0, v43, vcc
	v_add_u32_e32 v41, v41, v42
	ds_write_b32 v21, v41
.LBB121_113:
	s_or_b64 exec, exec, s[0:1]
	v_cmp_lt_u32_e32 vcc, 63, v0
	v_mov_b32_e32 v21, 0
	s_waitcnt lgkmcnt(0)
	s_barrier
	s_and_saveexec_b64 s[0:1], vcc
; %bb.114:
	v_lshl_add_u32 v21, v40, 2, -4
	ds_read_b32 v21, v21
; %bb.115:
	s_or_b64 exec, exec, s[0:1]
	v_add_u32_e32 v40, -1, v19
	v_and_b32_e32 v41, 64, v19
	v_cmp_lt_i32_e32 vcc, v40, v41
	v_cndmask_b32_e32 v40, v40, v19, vcc
	s_waitcnt lgkmcnt(0)
	v_add_u32_e32 v39, v21, v39
	v_lshlrev_b32_e32 v40, 2, v40
	ds_bpermute_b32 v39, v40, v39
	v_cmp_eq_u32_e32 vcc, 0, v19
	s_movk_i32 s0, 0xff
	s_movk_i32 s2, 0x100
	s_waitcnt lgkmcnt(0)
	v_cndmask_b32_e32 v19, v39, v21, vcc
	v_cmp_ne_u32_e32 vcc, 0, v0
	v_cndmask_b32_e32 v19, 0, v19, vcc
	v_add_u32_e32 v15, v19, v15
	v_add_u32_e32 v16, v15, v16
	;; [unrolled: 1-line block ×4, first 2 shown]
	ds_write2_b32 v20, v19, v15 offset0:8 offset1:9
	ds_write2_b32 v20, v16, v13 offset0:10 offset1:11
	ds_write_b32 v20, v14 offset:48
	s_waitcnt lgkmcnt(0)
	s_barrier
	ds_read_b32 v16, v22 offset:32
	ds_read_b32 v19, v25 offset:32
	;; [unrolled: 1-line block ×6, first 2 shown]
	v_mov_b32_e32 v13, 0
	v_cmp_lt_u32_e32 vcc, s0, v0
	v_mov_b32_e32 v14, 0
	v_cmp_gt_u32_e64 s[0:1], s2, v0
                                        ; implicit-def: $vgpr15
	s_and_saveexec_b64 s[4:5], s[0:1]
	s_cbranch_execz .LBB121_119
; %bb.116:
	v_mul_u32_u24_e32 v13, 36, v0
	ds_read_b32 v13, v13 offset:32
	v_add_u32_e32 v15, 1, v0
	v_cmp_ne_u32_e64 s[2:3], s2, v15
	v_mov_b32_e32 v14, 0xc00
	s_and_saveexec_b64 s[10:11], s[2:3]
; %bb.117:
	v_mul_u32_u24_e32 v14, 36, v15
	ds_read_b32 v14, v14 offset:32
; %bb.118:
	s_or_b64 exec, exec, s[10:11]
	s_waitcnt lgkmcnt(0)
	v_sub_u32_e32 v15, v14, v13
	v_mov_b32_e32 v14, 0
.LBB121_119:
	s_or_b64 exec, exec, s[4:5]
	v_lshlrev_b32_e32 v23, 3, v23
	s_waitcnt lgkmcnt(5)
	v_lshl_add_u32 v16, v16, 3, v23
	s_waitcnt lgkmcnt(0)
	s_barrier
	ds_write_b64 v16, v[3:4] offset:2048
	v_lshlrev_b32_e32 v3, 3, v26
	v_lshlrev_b32_e32 v4, 3, v24
	v_lshlrev_b32_e32 v19, 3, v19
	v_add3_u32 v19, v3, v4, v19
	ds_write_b64 v19, v[11:12] offset:2048
	v_lshlrev_b32_e32 v3, 3, v29
	v_lshlrev_b32_e32 v4, 3, v27
	v_lshlrev_b32_e32 v11, 3, v25
	v_add3_u32 v11, v3, v4, v11
	;; [unrolled: 5-line block ×5, first 2 shown]
	ds_write_b64 v10, v[1:2] offset:2048
	v_mov_b32_e32 v2, 0
	v_lshlrev_b32_e32 v7, 3, v0
	s_waitcnt lgkmcnt(0)
	s_barrier
	s_and_saveexec_b64 s[2:3], s[0:1]
	s_cbranch_execz .LBB121_129
; %bb.120:
	v_lshl_add_u32 v1, s6, 8, v0
	v_lshlrev_b64 v[3:4], 2, v[1:2]
	v_mov_b32_e32 v12, s31
	v_add_co_u32_e64 v3, s[0:1], s30, v3
	v_addc_co_u32_e64 v4, s[0:1], v12, v4, s[0:1]
	v_or_b32_e32 v1, 2.0, v15
	s_mov_b64 s[4:5], 0
	s_brev_b32 s15, -4
	s_mov_b32 s16, s6
	v_mov_b32_e32 v20, 0
	global_store_dword v[3:4], v1, off
                                        ; implicit-def: $sgpr0_sgpr1
	s_branch .LBB121_123
.LBB121_121:                            ;   in Loop: Header=BB121_123 Depth=1
	s_or_b64 exec, exec, s[12:13]
.LBB121_122:                            ;   in Loop: Header=BB121_123 Depth=1
	s_or_b64 exec, exec, s[10:11]
	v_and_b32_e32 v5, 0x3fffffff, v1
	v_add_u32_e32 v20, v5, v20
	v_cmp_gt_i32_e64 s[0:1], -2.0, v1
	s_and_b64 s[10:11], exec, s[0:1]
	s_or_b64 s[4:5], s[10:11], s[4:5]
	s_andn2_b64 exec, exec, s[4:5]
	s_cbranch_execz .LBB121_128
.LBB121_123:                            ; =>This Loop Header: Depth=1
                                        ;     Child Loop BB121_126 Depth 2
	s_or_b64 s[0:1], s[0:1], exec
	s_cmp_eq_u32 s16, 0
	s_cbranch_scc1 .LBB121_127
; %bb.124:                              ;   in Loop: Header=BB121_123 Depth=1
	s_add_i32 s16, s16, -1
	v_lshl_or_b32 v1, s16, 8, v0
	v_lshlrev_b64 v[5:6], 2, v[1:2]
	v_add_co_u32_e64 v5, s[0:1], s30, v5
	v_addc_co_u32_e64 v6, s[0:1], v12, v6, s[0:1]
	global_load_dword v1, v[5:6], off glc
	s_waitcnt vmcnt(0)
	v_cmp_gt_u32_e64 s[0:1], 2.0, v1
	s_and_saveexec_b64 s[10:11], s[0:1]
	s_cbranch_execz .LBB121_122
; %bb.125:                              ;   in Loop: Header=BB121_123 Depth=1
	s_mov_b64 s[12:13], 0
.LBB121_126:                            ;   Parent Loop BB121_123 Depth=1
                                        ; =>  This Inner Loop Header: Depth=2
	global_load_dword v1, v[5:6], off glc
	s_waitcnt vmcnt(0)
	v_cmp_lt_u32_e64 s[0:1], s15, v1
	s_or_b64 s[12:13], s[0:1], s[12:13]
	s_andn2_b64 exec, exec, s[12:13]
	s_cbranch_execnz .LBB121_126
	s_branch .LBB121_121
.LBB121_127:                            ;   in Loop: Header=BB121_123 Depth=1
                                        ; implicit-def: $sgpr16
	s_and_b64 s[10:11], exec, s[0:1]
	s_or_b64 s[4:5], s[10:11], s[4:5]
	s_andn2_b64 exec, exec, s[4:5]
	s_cbranch_execnz .LBB121_123
.LBB121_128:
	s_or_b64 exec, exec, s[4:5]
	v_add_u32_e32 v0, v20, v15
	v_or_b32_e32 v0, 0x80000000, v0
	global_store_dword v[3:4], v0, off
	global_load_dwordx2 v[0:1], v7, s[44:45]
	v_sub_co_u32_e64 v2, s[0:1], v20, v13
	v_subb_co_u32_e64 v3, s[0:1], 0, v14, s[0:1]
	s_waitcnt vmcnt(0)
	v_add_co_u32_e64 v0, s[0:1], v2, v0
	v_addc_co_u32_e64 v1, s[0:1], v3, v1, s[0:1]
	ds_write_b64 v7, v[0:1]
.LBB121_129:
	s_or_b64 exec, exec, s[2:3]
	s_waitcnt lgkmcnt(0)
	s_barrier
	ds_read2st64_b64 v[0:3], v7 offset0:4 offset1:12
	ds_read2st64_b64 v[20:23], v7 offset0:20 offset1:28
	v_or_b32_e32 v33, 0x4000, v7
	v_or_b32_e32 v34, 0x5000, v7
	s_waitcnt lgkmcnt(1)
	v_lshrrev_b64 v[4:5], s48, v[0:1]
	s_waitcnt lgkmcnt(0)
	v_lshrrev_b64 v[24:25], s48, v[20:21]
	v_and_b32_e32 v4, s14, v4
	v_lshlrev_b32_e32 v12, 3, v4
	v_lshrrev_b64 v[4:5], s48, v[2:3]
	ds_read_b64 v[5:6], v12
	v_and_b32_e32 v4, s14, v4
	v_lshlrev_b32_e32 v30, 3, v4
	v_and_b32_e32 v4, s14, v24
	v_lshrrev_b64 v[24:25], s48, v[22:23]
	v_lshlrev_b32_e32 v31, 3, v4
	v_and_b32_e32 v4, s14, v24
	v_lshlrev_b32_e32 v32, 3, v4
	s_waitcnt lgkmcnt(0)
	v_lshlrev_b64 v[4:5], 3, v[5:6]
	v_mov_b32_e32 v6, s39
	v_add_co_u32_e64 v4, s[0:1], s38, v4
	ds_read_b64 v[24:25], v30
	ds_read_b64 v[26:27], v31
	;; [unrolled: 1-line block ×3, first 2 shown]
	v_addc_co_u32_e64 v5, s[0:1], v6, v5, s[0:1]
	v_add_co_u32_e64 v4, s[0:1], v4, v7
	v_xor_b32_e32 v1, 0x80000000, v1
	v_addc_co_u32_e64 v5, s[0:1], 0, v5, s[0:1]
	global_store_dwordx2 v[4:5], v[0:1], off
	s_waitcnt lgkmcnt(2)
	v_lshlrev_b64 v[0:1], 3, v[24:25]
	v_mov_b32_e32 v4, s39
	v_add_co_u32_e64 v0, s[0:1], s38, v0
	v_addc_co_u32_e64 v1, s[0:1], v4, v1, s[0:1]
	v_or_b32_e32 v6, 0x1000, v7
	v_add_co_u32_e64 v0, s[0:1], v0, v6
	v_xor_b32_e32 v3, 0x80000000, v3
	v_addc_co_u32_e64 v1, s[0:1], 0, v1, s[0:1]
	global_store_dwordx2 v[0:1], v[2:3], off
	s_waitcnt lgkmcnt(1)
	v_lshlrev_b64 v[0:1], 3, v[26:27]
	v_mov_b32_e32 v2, s39
	v_add_co_u32_e64 v0, s[0:1], s38, v0
	v_addc_co_u32_e64 v1, s[0:1], v2, v1, s[0:1]
	v_or_b32_e32 v26, 0x2000, v7
	v_add_co_u32_e64 v0, s[0:1], v0, v26
	v_xor_b32_e32 v21, 0x80000000, v21
	v_addc_co_u32_e64 v1, s[0:1], 0, v1, s[0:1]
	global_store_dwordx2 v[0:1], v[20:21], off
	s_waitcnt lgkmcnt(0)
	v_lshlrev_b64 v[0:1], 3, v[28:29]
	v_or_b32_e32 v27, 0x3000, v7
	v_add_co_u32_e64 v4, s[0:1], s38, v0
	v_addc_co_u32_e64 v5, s[0:1], v2, v1, s[0:1]
	ds_read2st64_b64 v[0:3], v7 offset0:36 offset1:44
	v_add_co_u32_e64 v4, s[0:1], v4, v27
	v_xor_b32_e32 v23, 0x80000000, v23
	v_addc_co_u32_e64 v5, s[0:1], 0, v5, s[0:1]
	s_waitcnt lgkmcnt(0)
	v_lshrrev_b64 v[20:21], s48, v[0:1]
	global_store_dwordx2 v[4:5], v[22:23], off
	v_and_b32_e32 v4, s14, v20
	v_lshlrev_b32_e32 v28, 3, v4
	ds_read_b64 v[4:5], v28
	v_lshrrev_b64 v[20:21], s48, v[2:3]
	v_mov_b32_e32 v22, s39
	v_and_b32_e32 v20, s14, v20
	v_lshlrev_b32_e32 v29, 3, v20
	ds_read_b64 v[20:21], v29
	s_waitcnt lgkmcnt(1)
	v_lshlrev_b64 v[4:5], 3, v[4:5]
	v_xor_b32_e32 v1, 0x80000000, v1
	v_add_co_u32_e64 v4, s[0:1], s38, v4
	v_addc_co_u32_e64 v5, s[0:1], v22, v5, s[0:1]
	v_add_co_u32_e64 v4, s[0:1], v4, v33
	v_addc_co_u32_e64 v5, s[0:1], 0, v5, s[0:1]
	global_store_dwordx2 v[4:5], v[0:1], off
	s_waitcnt lgkmcnt(0)
	v_lshlrev_b64 v[0:1], 3, v[20:21]
	v_mov_b32_e32 v4, s39
	v_add_co_u32_e64 v0, s[0:1], s38, v0
	v_addc_co_u32_e64 v1, s[0:1], v4, v1, s[0:1]
	v_add_co_u32_e64 v0, s[0:1], v0, v34
	v_addc_co_u32_e64 v1, s[0:1], 0, v1, s[0:1]
	s_add_u32 s0, s40, s8
	v_xor_b32_e32 v3, 0x80000000, v3
	s_addc_u32 s1, s41, s9
	global_store_dwordx2 v[0:1], v[2:3], off
	v_mov_b32_e32 v0, s1
	v_add_co_u32_e64 v1, s[0:1], s0, v17
	v_addc_co_u32_e64 v2, s[0:1], 0, v0, s[0:1]
	v_add_co_u32_e64 v0, s[0:1], v1, v18
	v_addc_co_u32_e64 v1, s[0:1], 0, v2, s[0:1]
	global_load_dwordx2 v[2:3], v[0:1], off
	global_load_dwordx2 v[4:5], v[0:1], off offset:512
	global_load_dwordx2 v[17:18], v[0:1], off offset:1024
	;; [unrolled: 1-line block ×5, first 2 shown]
	s_waitcnt vmcnt(0)
	s_barrier
	s_add_i32 s7, s7, -1
	s_cmp_eq_u32 s6, s7
	ds_write_b64 v16, v[2:3] offset:2048
	ds_write_b64 v19, v[4:5] offset:2048
	;; [unrolled: 1-line block ×6, first 2 shown]
	s_waitcnt lgkmcnt(0)
	s_barrier
	ds_read_b64 v[4:5], v12
	ds_read2st64_b64 v[0:3], v7 offset0:4 offset1:12
	ds_read_b64 v[8:9], v30
	ds_read_b64 v[10:11], v31
	;; [unrolled: 1-line block ×3, first 2 shown]
	s_waitcnt lgkmcnt(4)
	v_lshlrev_b64 v[4:5], 3, v[4:5]
	v_mov_b32_e32 v12, s43
	v_add_co_u32_e64 v4, s[0:1], s42, v4
	v_addc_co_u32_e64 v5, s[0:1], v12, v5, s[0:1]
	v_add_co_u32_e64 v4, s[0:1], v4, v7
	v_addc_co_u32_e64 v5, s[0:1], 0, v5, s[0:1]
	s_waitcnt lgkmcnt(3)
	global_store_dwordx2 v[4:5], v[0:1], off
	s_waitcnt lgkmcnt(2)
	v_lshlrev_b64 v[0:1], 3, v[8:9]
	v_mov_b32_e32 v4, s43
	v_add_co_u32_e64 v0, s[0:1], s42, v0
	v_addc_co_u32_e64 v1, s[0:1], v4, v1, s[0:1]
	v_add_co_u32_e64 v0, s[0:1], v0, v6
	v_addc_co_u32_e64 v1, s[0:1], 0, v1, s[0:1]
	s_waitcnt lgkmcnt(1)
	v_lshlrev_b64 v[4:5], 3, v[10:11]
	global_store_dwordx2 v[0:1], v[2:3], off
	ds_read2st64_b64 v[0:3], v7 offset0:20 offset1:28
	v_mov_b32_e32 v6, s43
	v_add_co_u32_e64 v4, s[0:1], s42, v4
	v_addc_co_u32_e64 v5, s[0:1], v6, v5, s[0:1]
	v_add_co_u32_e64 v4, s[0:1], v4, v26
	v_addc_co_u32_e64 v5, s[0:1], 0, v5, s[0:1]
	s_waitcnt lgkmcnt(0)
	global_store_dwordx2 v[4:5], v[0:1], off
	v_lshlrev_b64 v[0:1], 3, v[16:17]
	v_mov_b32_e32 v4, s43
	v_add_co_u32_e64 v0, s[0:1], s42, v0
	v_addc_co_u32_e64 v1, s[0:1], v4, v1, s[0:1]
	ds_read_b64 v[4:5], v28
	v_add_co_u32_e64 v0, s[0:1], v0, v27
	v_addc_co_u32_e64 v1, s[0:1], 0, v1, s[0:1]
	global_store_dwordx2 v[0:1], v[2:3], off
	s_waitcnt lgkmcnt(0)
	v_lshlrev_b64 v[4:5], 3, v[4:5]
	ds_read2st64_b64 v[0:3], v7 offset0:36 offset1:44
	ds_read_b64 v[8:9], v29
	v_add_co_u32_e64 v4, s[0:1], s42, v4
	v_addc_co_u32_e64 v5, s[0:1], v6, v5, s[0:1]
	v_add_co_u32_e64 v4, s[0:1], v4, v33
	v_addc_co_u32_e64 v5, s[0:1], 0, v5, s[0:1]
	s_waitcnt lgkmcnt(1)
	global_store_dwordx2 v[4:5], v[0:1], off
	s_waitcnt lgkmcnt(0)
	v_lshlrev_b64 v[0:1], 3, v[8:9]
	v_mov_b32_e32 v4, s43
	v_add_co_u32_e64 v0, s[0:1], s42, v0
	v_addc_co_u32_e64 v1, s[0:1], v4, v1, s[0:1]
	v_add_co_u32_e64 v0, s[0:1], v0, v34
	v_addc_co_u32_e64 v1, s[0:1], 0, v1, s[0:1]
	s_cselect_b64 s[0:1], -1, 0
	s_xor_b64 s[2:3], vcc, -1
	s_and_b64 s[0:1], s[2:3], s[0:1]
	global_store_dwordx2 v[0:1], v[2:3], off
	s_and_saveexec_b64 s[2:3], s[0:1]
	s_cbranch_execz .LBB121_131
; %bb.130:
	ds_read_b64 v[0:1], v7
	v_add_co_u32_e32 v2, vcc, v13, v15
	v_addc_co_u32_e32 v3, vcc, 0, v14, vcc
	s_waitcnt lgkmcnt(0)
	v_add_co_u32_e32 v0, vcc, v2, v0
	v_addc_co_u32_e32 v1, vcc, v3, v1, vcc
	global_store_dwordx2 v7, v[0:1], s[46:47]
.LBB121_131:
	s_endpgm
	.section	.rodata,"a",@progbits
	.p2align	6, 0x0
	.amdhsa_kernel _ZN7rocprim17ROCPRIM_304000_NS6detail25onesweep_iteration_kernelINS1_34wrapped_radix_sort_onesweep_configINS0_14default_configElN2at4cuda3cub6detail10OpaqueTypeILi8EEEEELb0EPlSC_PSA_SD_mNS0_19identity_decomposerEEEvT1_T2_T3_T4_jPT5_SK_PNS1_23onesweep_lookback_stateET6_jjj
		.amdhsa_group_segment_fixed_size 26624
		.amdhsa_private_segment_fixed_size 0
		.amdhsa_kernarg_size 336
		.amdhsa_user_sgpr_count 6
		.amdhsa_user_sgpr_private_segment_buffer 1
		.amdhsa_user_sgpr_dispatch_ptr 0
		.amdhsa_user_sgpr_queue_ptr 0
		.amdhsa_user_sgpr_kernarg_segment_ptr 1
		.amdhsa_user_sgpr_dispatch_id 0
		.amdhsa_user_sgpr_flat_scratch_init 0
		.amdhsa_user_sgpr_private_segment_size 0
		.amdhsa_uses_dynamic_stack 0
		.amdhsa_system_sgpr_private_segment_wavefront_offset 0
		.amdhsa_system_sgpr_workgroup_id_x 1
		.amdhsa_system_sgpr_workgroup_id_y 0
		.amdhsa_system_sgpr_workgroup_id_z 0
		.amdhsa_system_sgpr_workgroup_info 0
		.amdhsa_system_vgpr_workitem_id 2
		.amdhsa_next_free_vgpr 49
		.amdhsa_next_free_sgpr 98
		.amdhsa_reserve_vcc 1
		.amdhsa_reserve_flat_scratch 0
		.amdhsa_float_round_mode_32 0
		.amdhsa_float_round_mode_16_64 0
		.amdhsa_float_denorm_mode_32 3
		.amdhsa_float_denorm_mode_16_64 3
		.amdhsa_dx10_clamp 1
		.amdhsa_ieee_mode 1
		.amdhsa_fp16_overflow 0
		.amdhsa_exception_fp_ieee_invalid_op 0
		.amdhsa_exception_fp_denorm_src 0
		.amdhsa_exception_fp_ieee_div_zero 0
		.amdhsa_exception_fp_ieee_overflow 0
		.amdhsa_exception_fp_ieee_underflow 0
		.amdhsa_exception_fp_ieee_inexact 0
		.amdhsa_exception_int_div_zero 0
	.end_amdhsa_kernel
	.section	.text._ZN7rocprim17ROCPRIM_304000_NS6detail25onesweep_iteration_kernelINS1_34wrapped_radix_sort_onesweep_configINS0_14default_configElN2at4cuda3cub6detail10OpaqueTypeILi8EEEEELb0EPlSC_PSA_SD_mNS0_19identity_decomposerEEEvT1_T2_T3_T4_jPT5_SK_PNS1_23onesweep_lookback_stateET6_jjj,"axG",@progbits,_ZN7rocprim17ROCPRIM_304000_NS6detail25onesweep_iteration_kernelINS1_34wrapped_radix_sort_onesweep_configINS0_14default_configElN2at4cuda3cub6detail10OpaqueTypeILi8EEEEELb0EPlSC_PSA_SD_mNS0_19identity_decomposerEEEvT1_T2_T3_T4_jPT5_SK_PNS1_23onesweep_lookback_stateET6_jjj,comdat
.Lfunc_end121:
	.size	_ZN7rocprim17ROCPRIM_304000_NS6detail25onesweep_iteration_kernelINS1_34wrapped_radix_sort_onesweep_configINS0_14default_configElN2at4cuda3cub6detail10OpaqueTypeILi8EEEEELb0EPlSC_PSA_SD_mNS0_19identity_decomposerEEEvT1_T2_T3_T4_jPT5_SK_PNS1_23onesweep_lookback_stateET6_jjj, .Lfunc_end121-_ZN7rocprim17ROCPRIM_304000_NS6detail25onesweep_iteration_kernelINS1_34wrapped_radix_sort_onesweep_configINS0_14default_configElN2at4cuda3cub6detail10OpaqueTypeILi8EEEEELb0EPlSC_PSA_SD_mNS0_19identity_decomposerEEEvT1_T2_T3_T4_jPT5_SK_PNS1_23onesweep_lookback_stateET6_jjj
                                        ; -- End function
	.set _ZN7rocprim17ROCPRIM_304000_NS6detail25onesweep_iteration_kernelINS1_34wrapped_radix_sort_onesweep_configINS0_14default_configElN2at4cuda3cub6detail10OpaqueTypeILi8EEEEELb0EPlSC_PSA_SD_mNS0_19identity_decomposerEEEvT1_T2_T3_T4_jPT5_SK_PNS1_23onesweep_lookback_stateET6_jjj.num_vgpr, 47
	.set _ZN7rocprim17ROCPRIM_304000_NS6detail25onesweep_iteration_kernelINS1_34wrapped_radix_sort_onesweep_configINS0_14default_configElN2at4cuda3cub6detail10OpaqueTypeILi8EEEEELb0EPlSC_PSA_SD_mNS0_19identity_decomposerEEEvT1_T2_T3_T4_jPT5_SK_PNS1_23onesweep_lookback_stateET6_jjj.num_agpr, 0
	.set _ZN7rocprim17ROCPRIM_304000_NS6detail25onesweep_iteration_kernelINS1_34wrapped_radix_sort_onesweep_configINS0_14default_configElN2at4cuda3cub6detail10OpaqueTypeILi8EEEEELb0EPlSC_PSA_SD_mNS0_19identity_decomposerEEEvT1_T2_T3_T4_jPT5_SK_PNS1_23onesweep_lookback_stateET6_jjj.numbered_sgpr, 54
	.set _ZN7rocprim17ROCPRIM_304000_NS6detail25onesweep_iteration_kernelINS1_34wrapped_radix_sort_onesweep_configINS0_14default_configElN2at4cuda3cub6detail10OpaqueTypeILi8EEEEELb0EPlSC_PSA_SD_mNS0_19identity_decomposerEEEvT1_T2_T3_T4_jPT5_SK_PNS1_23onesweep_lookback_stateET6_jjj.num_named_barrier, 0
	.set _ZN7rocprim17ROCPRIM_304000_NS6detail25onesweep_iteration_kernelINS1_34wrapped_radix_sort_onesweep_configINS0_14default_configElN2at4cuda3cub6detail10OpaqueTypeILi8EEEEELb0EPlSC_PSA_SD_mNS0_19identity_decomposerEEEvT1_T2_T3_T4_jPT5_SK_PNS1_23onesweep_lookback_stateET6_jjj.private_seg_size, 0
	.set _ZN7rocprim17ROCPRIM_304000_NS6detail25onesweep_iteration_kernelINS1_34wrapped_radix_sort_onesweep_configINS0_14default_configElN2at4cuda3cub6detail10OpaqueTypeILi8EEEEELb0EPlSC_PSA_SD_mNS0_19identity_decomposerEEEvT1_T2_T3_T4_jPT5_SK_PNS1_23onesweep_lookback_stateET6_jjj.uses_vcc, 1
	.set _ZN7rocprim17ROCPRIM_304000_NS6detail25onesweep_iteration_kernelINS1_34wrapped_radix_sort_onesweep_configINS0_14default_configElN2at4cuda3cub6detail10OpaqueTypeILi8EEEEELb0EPlSC_PSA_SD_mNS0_19identity_decomposerEEEvT1_T2_T3_T4_jPT5_SK_PNS1_23onesweep_lookback_stateET6_jjj.uses_flat_scratch, 0
	.set _ZN7rocprim17ROCPRIM_304000_NS6detail25onesweep_iteration_kernelINS1_34wrapped_radix_sort_onesweep_configINS0_14default_configElN2at4cuda3cub6detail10OpaqueTypeILi8EEEEELb0EPlSC_PSA_SD_mNS0_19identity_decomposerEEEvT1_T2_T3_T4_jPT5_SK_PNS1_23onesweep_lookback_stateET6_jjj.has_dyn_sized_stack, 0
	.set _ZN7rocprim17ROCPRIM_304000_NS6detail25onesweep_iteration_kernelINS1_34wrapped_radix_sort_onesweep_configINS0_14default_configElN2at4cuda3cub6detail10OpaqueTypeILi8EEEEELb0EPlSC_PSA_SD_mNS0_19identity_decomposerEEEvT1_T2_T3_T4_jPT5_SK_PNS1_23onesweep_lookback_stateET6_jjj.has_recursion, 0
	.set _ZN7rocprim17ROCPRIM_304000_NS6detail25onesweep_iteration_kernelINS1_34wrapped_radix_sort_onesweep_configINS0_14default_configElN2at4cuda3cub6detail10OpaqueTypeILi8EEEEELb0EPlSC_PSA_SD_mNS0_19identity_decomposerEEEvT1_T2_T3_T4_jPT5_SK_PNS1_23onesweep_lookback_stateET6_jjj.has_indirect_call, 0
	.section	.AMDGPU.csdata,"",@progbits
; Kernel info:
; codeLenInByte = 11208
; TotalNumSgprs: 58
; NumVgprs: 47
; ScratchSize: 0
; MemoryBound: 1
; FloatMode: 240
; IeeeMode: 1
; LDSByteSize: 26624 bytes/workgroup (compile time only)
; SGPRBlocks: 12
; VGPRBlocks: 12
; NumSGPRsForWavesPerEU: 102
; NumVGPRsForWavesPerEU: 49
; Occupancy: 4
; WaveLimiterHint : 1
; COMPUTE_PGM_RSRC2:SCRATCH_EN: 0
; COMPUTE_PGM_RSRC2:USER_SGPR: 6
; COMPUTE_PGM_RSRC2:TRAP_HANDLER: 0
; COMPUTE_PGM_RSRC2:TGID_X_EN: 1
; COMPUTE_PGM_RSRC2:TGID_Y_EN: 0
; COMPUTE_PGM_RSRC2:TGID_Z_EN: 0
; COMPUTE_PGM_RSRC2:TIDIG_COMP_CNT: 2
	.section	.text._ZN7rocprim17ROCPRIM_304000_NS6detail28radix_sort_block_sort_kernelINS1_36wrapped_radix_sort_block_sort_configINS0_13kernel_configILj256ELj4ELj4294967295EEEfN2at4cuda3cub6detail10OpaqueTypeILi8EEEEELb1EPKfPfPKSB_PSB_NS0_19identity_decomposerEEEvT1_T2_T3_T4_jT5_jj,"axG",@progbits,_ZN7rocprim17ROCPRIM_304000_NS6detail28radix_sort_block_sort_kernelINS1_36wrapped_radix_sort_block_sort_configINS0_13kernel_configILj256ELj4ELj4294967295EEEfN2at4cuda3cub6detail10OpaqueTypeILi8EEEEELb1EPKfPfPKSB_PSB_NS0_19identity_decomposerEEEvT1_T2_T3_T4_jT5_jj,comdat
	.protected	_ZN7rocprim17ROCPRIM_304000_NS6detail28radix_sort_block_sort_kernelINS1_36wrapped_radix_sort_block_sort_configINS0_13kernel_configILj256ELj4ELj4294967295EEEfN2at4cuda3cub6detail10OpaqueTypeILi8EEEEELb1EPKfPfPKSB_PSB_NS0_19identity_decomposerEEEvT1_T2_T3_T4_jT5_jj ; -- Begin function _ZN7rocprim17ROCPRIM_304000_NS6detail28radix_sort_block_sort_kernelINS1_36wrapped_radix_sort_block_sort_configINS0_13kernel_configILj256ELj4ELj4294967295EEEfN2at4cuda3cub6detail10OpaqueTypeILi8EEEEELb1EPKfPfPKSB_PSB_NS0_19identity_decomposerEEEvT1_T2_T3_T4_jT5_jj
	.globl	_ZN7rocprim17ROCPRIM_304000_NS6detail28radix_sort_block_sort_kernelINS1_36wrapped_radix_sort_block_sort_configINS0_13kernel_configILj256ELj4ELj4294967295EEEfN2at4cuda3cub6detail10OpaqueTypeILi8EEEEELb1EPKfPfPKSB_PSB_NS0_19identity_decomposerEEEvT1_T2_T3_T4_jT5_jj
	.p2align	8
	.type	_ZN7rocprim17ROCPRIM_304000_NS6detail28radix_sort_block_sort_kernelINS1_36wrapped_radix_sort_block_sort_configINS0_13kernel_configILj256ELj4ELj4294967295EEEfN2at4cuda3cub6detail10OpaqueTypeILi8EEEEELb1EPKfPfPKSB_PSB_NS0_19identity_decomposerEEEvT1_T2_T3_T4_jT5_jj,@function
_ZN7rocprim17ROCPRIM_304000_NS6detail28radix_sort_block_sort_kernelINS1_36wrapped_radix_sort_block_sort_configINS0_13kernel_configILj256ELj4ELj4294967295EEEfN2at4cuda3cub6detail10OpaqueTypeILi8EEEEELb1EPKfPfPKSB_PSB_NS0_19identity_decomposerEEEvT1_T2_T3_T4_jT5_jj: ; @_ZN7rocprim17ROCPRIM_304000_NS6detail28radix_sort_block_sort_kernelINS1_36wrapped_radix_sort_block_sort_configINS0_13kernel_configILj256ELj4ELj4294967295EEEfN2at4cuda3cub6detail10OpaqueTypeILi8EEEEELb1EPKfPfPKSB_PSB_NS0_19identity_decomposerEEEvT1_T2_T3_T4_jT5_jj
; %bb.0:
	s_load_dword s2, s[4:5], 0x20
	s_load_dwordx8 s[36:43], s[4:5], 0x0
	s_lshl_b32 s28, s6, 10
	s_mov_b32 s29, 0
	v_mbcnt_lo_u32_b32 v3, -1, 0
	s_waitcnt lgkmcnt(0)
	s_lshr_b32 s0, s2, 10
	s_cmp_lg_u32 s6, s0
	s_cselect_b64 s[30:31], -1, 0
	s_lshl_b64 s[34:35], s[28:29], 2
	s_add_u32 s1, s36, s34
	v_mbcnt_hi_u32_b32 v9, -1, v3
	s_addc_u32 s3, s37, s35
	v_lshlrev_b32_e32 v27, 2, v0
	v_lshlrev_b32_e32 v3, 2, v9
	v_and_b32_e32 v10, 0x300, v27
	v_mov_b32_e32 v4, s3
	v_add_co_u32_e32 v3, vcc, s1, v3
	v_addc_co_u32_e32 v4, vcc, 0, v4, vcc
	v_lshlrev_b32_e32 v5, 2, v10
	v_add_co_u32_e32 v7, vcc, v3, v5
	s_cmp_eq_u32 s6, s0
	v_addc_co_u32_e32 v8, vcc, 0, v4, vcc
	v_lshlrev_b32_e32 v15, 3, v9
	v_lshlrev_b32_e32 v14, 3, v10
	v_add_u32_e32 v12, v9, v10
	s_cbranch_scc1 .LBB122_2
; %bb.1:
	s_lshl_b64 s[0:1], s[28:29], 3
	s_add_u32 s0, s40, s0
	s_addc_u32 s1, s41, s1
	v_mov_b32_e32 v11, s1
	v_add_co_u32_e32 v13, vcc, s0, v15
	v_addc_co_u32_e32 v11, vcc, 0, v11, vcc
	v_add_co_u32_e32 v16, vcc, v13, v14
	v_addc_co_u32_e32 v17, vcc, 0, v11, vcc
	global_load_dword v3, v[7:8], off
	global_load_dword v4, v[7:8], off offset:256
	global_load_dword v5, v[7:8], off offset:512
	;; [unrolled: 1-line block ×3, first 2 shown]
	global_load_dwordx2 v[19:20], v[16:17], off
	global_load_dwordx2 v[21:22], v[16:17], off offset:512
	global_load_dwordx2 v[23:24], v[16:17], off offset:1024
	;; [unrolled: 1-line block ×3, first 2 shown]
	v_add_u32_e32 v16, v9, v10
	v_add_u32_e32 v10, 64, v16
	;; [unrolled: 1-line block ×4, first 2 shown]
	s_sub_i32 s33, s2, s28
	s_cbranch_execz .LBB122_3
	s_branch .LBB122_17
.LBB122_2:
                                        ; implicit-def: $vgpr3_vgpr4_vgpr5_vgpr6
                                        ; implicit-def: $vgpr19_vgpr20
                                        ; implicit-def: $vgpr21_vgpr22
                                        ; implicit-def: $vgpr23_vgpr24
                                        ; implicit-def: $vgpr25_vgpr26
                                        ; implicit-def: $vgpr16
                                        ; implicit-def: $vgpr10
                                        ; implicit-def: $vgpr11
                                        ; implicit-def: $vgpr13
	s_sub_i32 s33, s2, s28
.LBB122_3:
	s_waitcnt vmcnt(7)
	v_mov_b32_e32 v3, -1
	v_cmp_gt_u32_e32 vcc, s33, v12
	s_waitcnt vmcnt(6)
	v_mov_b32_e32 v4, v3
	s_waitcnt vmcnt(5)
	v_mov_b32_e32 v5, v3
	;; [unrolled: 2-line block ×3, first 2 shown]
	s_and_saveexec_b64 s[0:1], vcc
	s_cbranch_execz .LBB122_5
; %bb.4:
	global_load_dword v16, v[7:8], off
	v_mov_b32_e32 v17, v3
	v_mov_b32_e32 v18, v3
	s_waitcnt vmcnt(4)
	v_mov_b32_e32 v19, v3
	s_waitcnt vmcnt(0)
	v_mov_b32_e32 v3, v16
	v_mov_b32_e32 v4, v17
	v_mov_b32_e32 v5, v18
	v_mov_b32_e32 v6, v19
.LBB122_5:
	s_or_b64 exec, exec, s[0:1]
	v_add_u32_e32 v10, 64, v12
	v_cmp_gt_u32_e64 s[0:1], s33, v10
	s_and_saveexec_b64 s[2:3], s[0:1]
	s_cbranch_execz .LBB122_7
; %bb.6:
	global_load_dword v4, v[7:8], off offset:256
.LBB122_7:
	s_or_b64 exec, exec, s[2:3]
	v_add_u32_e32 v11, 0x80, v12
	v_cmp_gt_u32_e64 s[2:3], s33, v11
	s_and_saveexec_b64 s[6:7], s[2:3]
	s_cbranch_execz .LBB122_9
; %bb.8:
	global_load_dword v5, v[7:8], off offset:512
.LBB122_9:
	;; [unrolled: 8-line block ×3, first 2 shown]
	s_or_b64 exec, exec, s[8:9]
	s_lshl_b64 s[8:9], s[28:29], 3
	s_add_u32 s8, s40, s8
	s_addc_u32 s9, s41, s9
	v_mov_b32_e32 v7, s9
	v_add_co_u32_e64 v8, s[8:9], s8, v15
	v_addc_co_u32_e64 v15, s[8:9], 0, v7, s[8:9]
	v_add_co_u32_e64 v7, s[8:9], v8, v14
	v_addc_co_u32_e64 v8, s[8:9], 0, v15, s[8:9]
                                        ; implicit-def: $vgpr19_vgpr20
	s_and_saveexec_b64 s[8:9], vcc
	s_cbranch_execnz .LBB122_54
; %bb.12:
	s_or_b64 exec, exec, s[8:9]
                                        ; implicit-def: $vgpr21_vgpr22
	s_and_saveexec_b64 s[8:9], s[0:1]
	s_cbranch_execnz .LBB122_55
.LBB122_13:
	s_or_b64 exec, exec, s[8:9]
                                        ; implicit-def: $vgpr23_vgpr24
	s_and_saveexec_b64 s[0:1], s[2:3]
	s_cbranch_execnz .LBB122_56
.LBB122_14:
	s_or_b64 exec, exec, s[0:1]
                                        ; implicit-def: $vgpr25_vgpr26
	s_and_saveexec_b64 s[0:1], s[6:7]
	s_cbranch_execz .LBB122_16
.LBB122_15:
	global_load_dwordx2 v[25:26], v[7:8], off offset:1536
.LBB122_16:
	s_or_b64 exec, exec, s[0:1]
	v_mov_b32_e32 v16, v12
.LBB122_17:
	s_load_dwordx2 s[36:37], s[4:5], 0x28
	s_load_dword s0, s[4:5], 0x3c
	v_bfrev_b32_e32 v28, -2
	s_waitcnt vmcnt(7)
	v_cmp_gt_i32_e32 vcc, 0, v3
	v_cndmask_b32_e64 v7, v28, 0, vcc
	s_waitcnt vmcnt(0)
	v_cmp_gt_i32_e32 vcc, 0, v4
	v_xor_b32_e32 v3, v7, v3
	v_cndmask_b32_e64 v7, v28, 0, vcc
	v_cmp_gt_i32_e32 vcc, 0, v5
	s_waitcnt lgkmcnt(0)
	s_lshr_b32 s1, s0, 16
	v_xor_b32_e32 v4, v7, v4
	v_cndmask_b32_e64 v7, v28, 0, vcc
	s_and_b32 s0, s0, 0xffff
	v_mad_u32_u24 v1, v2, s1, v1
	v_xor_b32_e32 v47, v7, v5
	v_mad_u64_u32 v[7:8], s[0:1], v1, s0, v[0:1]
	v_cmp_gt_i32_e32 vcc, 0, v6
	v_and_b32_e32 v5, 64, v9
	v_lshrrev_b32_e32 v2, 4, v7
	v_and_b32_e32 v30, 0xffffffc, v2
	v_and_b32_e32 v2, 15, v9
	v_cmp_eq_u32_e64 s[0:1], 0, v2
	v_cmp_lt_u32_e64 s[2:3], 1, v2
	v_cmp_lt_u32_e64 s[4:5], 3, v2
	;; [unrolled: 1-line block ×3, first 2 shown]
	v_and_b32_e32 v2, 16, v9
	v_cmp_eq_u32_e64 s[8:9], 0, v2
	v_or_b32_e32 v2, 63, v0
	v_cmp_eq_u32_e64 s[12:13], v0, v2
	v_subrev_co_u32_e64 v2, s[18:19], 1, v9
	v_cndmask_b32_e64 v1, v28, 0, vcc
	v_cmp_lt_i32_e32 vcc, v2, v5
	s_mov_b32 s26, 0
	v_cndmask_b32_e32 v2, v2, v9, vcc
	v_lshlrev_b32_e32 v32, 2, v2
	v_lshrrev_b32_e32 v2, 4, v0
	s_mov_b32 s44, s26
	v_xor_b32_e32 v1, v1, v6
	v_and_b32_e32 v33, 12, v2
	v_and_b32_e32 v2, 3, v9
	v_lshlrev_b32_e32 v35, 2, v16
	v_lshlrev_b32_e32 v36, 2, v10
	;; [unrolled: 1-line block ×4, first 2 shown]
	s_mov_b32 s27, s26
	s_mov_b32 s45, s26
	v_mov_b32_e32 v5, s26
	v_mov_b32_e32 v7, s44
	s_add_i32 s40, s37, s36
	v_lshlrev_b32_e32 v29, 2, v27
	v_cmp_lt_u32_e64 s[10:11], 31, v9
	v_cmp_gt_u32_e64 s[14:15], 4, v0
	v_cmp_lt_u32_e64 s[16:17], 63, v0
	v_cmp_eq_u32_e64 s[20:21], 0, v0
	v_mul_i32_i24_e32 v31, -12, v0
	v_cmp_eq_u32_e64 s[22:23], 0, v2
	v_cmp_lt_u32_e64 s[24:25], 1, v2
	v_add_u32_e32 v34, -4, v33
	v_mov_b32_e32 v6, s27
	v_mov_b32_e32 v8, s45
	s_brev_b32 s41, 1
	v_mov_b32_e32 v9, 0
	v_add_u32_e32 v39, v35, v35
	v_add_u32_e32 v40, v36, v36
	;; [unrolled: 1-line block ×4, first 2 shown]
	s_branch .LBB122_19
.LBB122_18:                             ;   in Loop: Header=BB122_19 Depth=1
	s_andn2_b64 vcc, exec, s[26:27]
	s_cbranch_vccz .LBB122_35
.LBB122_19:                             ; =>This Inner Loop Header: Depth=1
	v_mov_b32_e32 v46, v3
	s_min_u32 s26, s37, 8
	v_cmp_ne_u32_e32 vcc, s41, v46
	v_mov_b32_e32 v43, v1
	s_lshl_b32 s26, -1, s26
	v_cndmask_b32_e32 v1, v28, v46, vcc
	s_not_b32 s44, s26
	v_lshrrev_b32_e32 v1, s36, v1
	v_and_b32_e32 v1, s44, v1
	v_and_b32_e32 v2, 1, v1
	v_mov_b32_e32 v45, v4
	v_add_co_u32_e32 v4, vcc, -1, v2
	v_addc_co_u32_e64 v10, s[26:27], 0, -1, vcc
	v_cmp_ne_u32_e32 vcc, 0, v2
	v_xor_b32_e32 v2, vcc_hi, v10
	v_lshlrev_b32_e32 v10, 30, v1
	v_xor_b32_e32 v4, vcc_lo, v4
	v_cmp_gt_i64_e32 vcc, 0, v[9:10]
	v_not_b32_e32 v10, v10
	v_mov_b32_e32 v17, v19
	v_ashrrev_i32_e32 v10, 31, v10
	v_mov_b32_e32 v18, v20
	v_and_b32_e32 v4, exec_lo, v4
	v_xor_b32_e32 v19, vcc_hi, v10
	v_xor_b32_e32 v10, vcc_lo, v10
	v_and_b32_e32 v4, v4, v10
	v_lshlrev_b32_e32 v10, 29, v1
	v_cmp_gt_i64_e32 vcc, 0, v[9:10]
	v_not_b32_e32 v10, v10
	v_and_b32_e32 v2, exec_hi, v2
	v_ashrrev_i32_e32 v10, 31, v10
	v_and_b32_e32 v2, v2, v19
	v_xor_b32_e32 v19, vcc_hi, v10
	v_xor_b32_e32 v10, vcc_lo, v10
	v_and_b32_e32 v4, v4, v10
	v_lshlrev_b32_e32 v10, 28, v1
	v_cmp_gt_i64_e32 vcc, 0, v[9:10]
	v_not_b32_e32 v10, v10
	v_ashrrev_i32_e32 v10, 31, v10
	v_and_b32_e32 v2, v2, v19
	v_xor_b32_e32 v19, vcc_hi, v10
	v_xor_b32_e32 v10, vcc_lo, v10
	v_and_b32_e32 v4, v4, v10
	v_lshlrev_b32_e32 v10, 27, v1
	v_cmp_gt_i64_e32 vcc, 0, v[9:10]
	v_not_b32_e32 v10, v10
	;; [unrolled: 8-line block ×4, first 2 shown]
	v_ashrrev_i32_e32 v10, 31, v10
	v_and_b32_e32 v2, v2, v19
	v_xor_b32_e32 v19, vcc_hi, v10
	v_xor_b32_e32 v10, vcc_lo, v10
	v_and_b32_e32 v4, v4, v10
	v_lshlrev_b32_e32 v10, 24, v1
	v_lshlrev_b32_e32 v3, 4, v1
	v_cmp_gt_i64_e32 vcc, 0, v[9:10]
	v_not_b32_e32 v1, v10
	v_ashrrev_i32_e32 v1, 31, v1
	v_xor_b32_e32 v10, vcc_hi, v1
	v_xor_b32_e32 v1, vcc_lo, v1
	v_and_b32_e32 v2, v2, v19
	v_and_b32_e32 v1, v4, v1
	v_and_b32_e32 v2, v2, v10
	v_mbcnt_lo_u32_b32 v4, v1, 0
	v_mbcnt_hi_u32_b32 v19, v2, v4
	v_cmp_ne_u64_e32 vcc, 0, v[1:2]
	v_mov_b32_e32 v15, v21
	v_mov_b32_e32 v13, v23
	;; [unrolled: 1-line block ×3, first 2 shown]
	v_cmp_eq_u32_e64 s[26:27], 0, v19
	v_mov_b32_e32 v44, v47
	v_mov_b32_e32 v16, v22
	;; [unrolled: 1-line block ×4, first 2 shown]
	s_and_b64 s[46:47], vcc, s[26:27]
	v_add_u32_e32 v20, v30, v3
	ds_write2_b64 v29, v[5:6], v[7:8] offset0:2 offset1:3
	s_waitcnt lgkmcnt(0)
	s_barrier
	; wave barrier
	s_and_saveexec_b64 s[26:27], s[46:47]
; %bb.20:                               ;   in Loop: Header=BB122_19 Depth=1
	v_bcnt_u32_b32 v1, v1, 0
	v_bcnt_u32_b32 v1, v2, v1
	ds_write_b32 v20, v1 offset:16
; %bb.21:                               ;   in Loop: Header=BB122_19 Depth=1
	s_or_b64 exec, exec, s[26:27]
	v_cmp_ne_u32_e32 vcc, s41, v45
	v_cndmask_b32_e32 v1, v28, v45, vcc
	v_lshrrev_b32_e32 v1, s36, v1
	v_and_b32_e32 v1, s44, v1
	v_lshlrev_b32_e32 v2, 4, v1
	v_add_u32_e32 v22, v30, v2
	v_and_b32_e32 v2, 1, v1
	v_add_co_u32_e32 v3, vcc, -1, v2
	v_addc_co_u32_e64 v4, s[26:27], 0, -1, vcc
	v_cmp_ne_u32_e32 vcc, 0, v2
	v_lshlrev_b32_e32 v10, 30, v1
	v_xor_b32_e32 v2, vcc_hi, v4
	v_xor_b32_e32 v3, vcc_lo, v3
	v_cmp_gt_i64_e32 vcc, 0, v[9:10]
	v_not_b32_e32 v4, v10
	v_ashrrev_i32_e32 v4, 31, v4
	v_and_b32_e32 v2, exec_hi, v2
	v_xor_b32_e32 v10, vcc_hi, v4
	v_and_b32_e32 v3, exec_lo, v3
	v_xor_b32_e32 v4, vcc_lo, v4
	v_and_b32_e32 v2, v2, v10
	v_lshlrev_b32_e32 v10, 29, v1
	v_and_b32_e32 v3, v3, v4
	v_cmp_gt_i64_e32 vcc, 0, v[9:10]
	v_not_b32_e32 v4, v10
	v_ashrrev_i32_e32 v4, 31, v4
	v_xor_b32_e32 v10, vcc_hi, v4
	v_xor_b32_e32 v4, vcc_lo, v4
	v_and_b32_e32 v2, v2, v10
	v_lshlrev_b32_e32 v10, 28, v1
	v_and_b32_e32 v3, v3, v4
	v_cmp_gt_i64_e32 vcc, 0, v[9:10]
	v_not_b32_e32 v4, v10
	v_ashrrev_i32_e32 v4, 31, v4
	v_xor_b32_e32 v10, vcc_hi, v4
	v_xor_b32_e32 v4, vcc_lo, v4
	v_and_b32_e32 v2, v2, v10
	v_lshlrev_b32_e32 v10, 27, v1
	v_and_b32_e32 v3, v3, v4
	v_cmp_gt_i64_e32 vcc, 0, v[9:10]
	v_not_b32_e32 v4, v10
	v_ashrrev_i32_e32 v4, 31, v4
	v_xor_b32_e32 v10, vcc_hi, v4
	v_xor_b32_e32 v4, vcc_lo, v4
	v_and_b32_e32 v2, v2, v10
	v_lshlrev_b32_e32 v10, 26, v1
	v_and_b32_e32 v3, v3, v4
	v_cmp_gt_i64_e32 vcc, 0, v[9:10]
	v_not_b32_e32 v4, v10
	v_ashrrev_i32_e32 v4, 31, v4
	v_xor_b32_e32 v10, vcc_hi, v4
	v_xor_b32_e32 v4, vcc_lo, v4
	v_and_b32_e32 v2, v2, v10
	v_lshlrev_b32_e32 v10, 25, v1
	v_and_b32_e32 v3, v3, v4
	v_cmp_gt_i64_e32 vcc, 0, v[9:10]
	v_not_b32_e32 v4, v10
	v_ashrrev_i32_e32 v4, 31, v4
	v_xor_b32_e32 v10, vcc_hi, v4
	v_and_b32_e32 v2, v2, v10
	v_lshlrev_b32_e32 v10, 24, v1
	v_xor_b32_e32 v4, vcc_lo, v4
	v_cmp_gt_i64_e32 vcc, 0, v[9:10]
	v_not_b32_e32 v1, v10
	v_ashrrev_i32_e32 v1, 31, v1
	v_and_b32_e32 v3, v3, v4
	v_xor_b32_e32 v4, vcc_hi, v1
	v_xor_b32_e32 v1, vcc_lo, v1
	; wave barrier
	ds_read_b32 v21, v22 offset:16
	v_and_b32_e32 v1, v3, v1
	v_and_b32_e32 v2, v2, v4
	v_mbcnt_lo_u32_b32 v3, v1, 0
	v_mbcnt_hi_u32_b32 v23, v2, v3
	v_cmp_ne_u64_e32 vcc, 0, v[1:2]
	v_cmp_eq_u32_e64 s[26:27], 0, v23
	s_and_b64 s[46:47], vcc, s[26:27]
	; wave barrier
	s_and_saveexec_b64 s[26:27], s[46:47]
	s_cbranch_execz .LBB122_23
; %bb.22:                               ;   in Loop: Header=BB122_19 Depth=1
	v_bcnt_u32_b32 v1, v1, 0
	v_bcnt_u32_b32 v1, v2, v1
	s_waitcnt lgkmcnt(0)
	v_add_u32_e32 v1, v21, v1
	ds_write_b32 v22, v1 offset:16
.LBB122_23:                             ;   in Loop: Header=BB122_19 Depth=1
	s_or_b64 exec, exec, s[26:27]
	v_cmp_ne_u32_e32 vcc, s41, v44
	v_cndmask_b32_e32 v1, v28, v44, vcc
	v_lshrrev_b32_e32 v1, s36, v1
	v_and_b32_e32 v1, s44, v1
	v_lshlrev_b32_e32 v2, 4, v1
	v_add_u32_e32 v25, v30, v2
	v_and_b32_e32 v2, 1, v1
	v_add_co_u32_e32 v3, vcc, -1, v2
	v_addc_co_u32_e64 v4, s[26:27], 0, -1, vcc
	v_cmp_ne_u32_e32 vcc, 0, v2
	v_lshlrev_b32_e32 v10, 30, v1
	v_xor_b32_e32 v2, vcc_hi, v4
	v_xor_b32_e32 v3, vcc_lo, v3
	v_cmp_gt_i64_e32 vcc, 0, v[9:10]
	v_not_b32_e32 v4, v10
	v_ashrrev_i32_e32 v4, 31, v4
	v_and_b32_e32 v2, exec_hi, v2
	v_xor_b32_e32 v10, vcc_hi, v4
	v_and_b32_e32 v3, exec_lo, v3
	v_xor_b32_e32 v4, vcc_lo, v4
	v_and_b32_e32 v2, v2, v10
	v_lshlrev_b32_e32 v10, 29, v1
	v_and_b32_e32 v3, v3, v4
	v_cmp_gt_i64_e32 vcc, 0, v[9:10]
	v_not_b32_e32 v4, v10
	v_ashrrev_i32_e32 v4, 31, v4
	v_xor_b32_e32 v10, vcc_hi, v4
	v_xor_b32_e32 v4, vcc_lo, v4
	v_and_b32_e32 v2, v2, v10
	v_lshlrev_b32_e32 v10, 28, v1
	v_and_b32_e32 v3, v3, v4
	v_cmp_gt_i64_e32 vcc, 0, v[9:10]
	v_not_b32_e32 v4, v10
	v_ashrrev_i32_e32 v4, 31, v4
	v_xor_b32_e32 v10, vcc_hi, v4
	;; [unrolled: 8-line block ×5, first 2 shown]
	v_and_b32_e32 v2, v2, v10
	v_lshlrev_b32_e32 v10, 24, v1
	v_xor_b32_e32 v4, vcc_lo, v4
	v_cmp_gt_i64_e32 vcc, 0, v[9:10]
	v_not_b32_e32 v1, v10
	v_ashrrev_i32_e32 v1, 31, v1
	v_and_b32_e32 v3, v3, v4
	v_xor_b32_e32 v4, vcc_hi, v1
	v_xor_b32_e32 v1, vcc_lo, v1
	; wave barrier
	ds_read_b32 v24, v25 offset:16
	v_and_b32_e32 v1, v3, v1
	v_and_b32_e32 v2, v2, v4
	v_mbcnt_lo_u32_b32 v3, v1, 0
	v_mbcnt_hi_u32_b32 v26, v2, v3
	v_cmp_ne_u64_e32 vcc, 0, v[1:2]
	v_cmp_eq_u32_e64 s[26:27], 0, v26
	s_and_b64 s[46:47], vcc, s[26:27]
	; wave barrier
	s_and_saveexec_b64 s[26:27], s[46:47]
	s_cbranch_execz .LBB122_25
; %bb.24:                               ;   in Loop: Header=BB122_19 Depth=1
	v_bcnt_u32_b32 v1, v1, 0
	v_bcnt_u32_b32 v1, v2, v1
	s_waitcnt lgkmcnt(0)
	v_add_u32_e32 v1, v24, v1
	ds_write_b32 v25, v1 offset:16
.LBB122_25:                             ;   in Loop: Header=BB122_19 Depth=1
	s_or_b64 exec, exec, s[26:27]
	v_cmp_ne_u32_e32 vcc, s41, v43
	v_cndmask_b32_e32 v1, v28, v43, vcc
	v_lshrrev_b32_e32 v1, s36, v1
	v_and_b32_e32 v1, s44, v1
	v_lshlrev_b32_e32 v2, 4, v1
	v_add_u32_e32 v48, v30, v2
	v_and_b32_e32 v2, 1, v1
	v_add_co_u32_e32 v3, vcc, -1, v2
	v_addc_co_u32_e64 v4, s[26:27], 0, -1, vcc
	v_cmp_ne_u32_e32 vcc, 0, v2
	v_lshlrev_b32_e32 v10, 30, v1
	v_xor_b32_e32 v2, vcc_hi, v4
	v_xor_b32_e32 v3, vcc_lo, v3
	v_cmp_gt_i64_e32 vcc, 0, v[9:10]
	v_not_b32_e32 v4, v10
	v_ashrrev_i32_e32 v4, 31, v4
	v_and_b32_e32 v2, exec_hi, v2
	v_xor_b32_e32 v10, vcc_hi, v4
	v_and_b32_e32 v3, exec_lo, v3
	v_xor_b32_e32 v4, vcc_lo, v4
	v_and_b32_e32 v2, v2, v10
	v_lshlrev_b32_e32 v10, 29, v1
	v_and_b32_e32 v3, v3, v4
	v_cmp_gt_i64_e32 vcc, 0, v[9:10]
	v_not_b32_e32 v4, v10
	v_ashrrev_i32_e32 v4, 31, v4
	v_xor_b32_e32 v10, vcc_hi, v4
	v_xor_b32_e32 v4, vcc_lo, v4
	v_and_b32_e32 v2, v2, v10
	v_lshlrev_b32_e32 v10, 28, v1
	v_and_b32_e32 v3, v3, v4
	v_cmp_gt_i64_e32 vcc, 0, v[9:10]
	v_not_b32_e32 v4, v10
	v_ashrrev_i32_e32 v4, 31, v4
	v_xor_b32_e32 v10, vcc_hi, v4
	v_xor_b32_e32 v4, vcc_lo, v4
	v_and_b32_e32 v2, v2, v10
	v_lshlrev_b32_e32 v10, 27, v1
	v_and_b32_e32 v3, v3, v4
	v_cmp_gt_i64_e32 vcc, 0, v[9:10]
	v_not_b32_e32 v4, v10
	v_ashrrev_i32_e32 v4, 31, v4
	v_xor_b32_e32 v10, vcc_hi, v4
	v_xor_b32_e32 v4, vcc_lo, v4
	v_and_b32_e32 v2, v2, v10
	v_lshlrev_b32_e32 v10, 26, v1
	v_and_b32_e32 v3, v3, v4
	v_cmp_gt_i64_e32 vcc, 0, v[9:10]
	v_not_b32_e32 v4, v10
	v_ashrrev_i32_e32 v4, 31, v4
	v_xor_b32_e32 v10, vcc_hi, v4
	v_xor_b32_e32 v4, vcc_lo, v4
	v_and_b32_e32 v2, v2, v10
	v_lshlrev_b32_e32 v10, 25, v1
	v_and_b32_e32 v3, v3, v4
	v_cmp_gt_i64_e32 vcc, 0, v[9:10]
	v_not_b32_e32 v4, v10
	v_ashrrev_i32_e32 v4, 31, v4
	v_xor_b32_e32 v10, vcc_hi, v4
	v_and_b32_e32 v2, v2, v10
	v_lshlrev_b32_e32 v10, 24, v1
	v_xor_b32_e32 v4, vcc_lo, v4
	v_cmp_gt_i64_e32 vcc, 0, v[9:10]
	v_not_b32_e32 v1, v10
	v_ashrrev_i32_e32 v1, 31, v1
	v_and_b32_e32 v3, v3, v4
	v_xor_b32_e32 v4, vcc_hi, v1
	v_xor_b32_e32 v1, vcc_lo, v1
	; wave barrier
	ds_read_b32 v47, v48 offset:16
	v_and_b32_e32 v1, v3, v1
	v_and_b32_e32 v2, v2, v4
	v_mbcnt_lo_u32_b32 v3, v1, 0
	v_mbcnt_hi_u32_b32 v49, v2, v3
	v_cmp_ne_u64_e32 vcc, 0, v[1:2]
	v_cmp_eq_u32_e64 s[26:27], 0, v49
	s_and_b64 s[44:45], vcc, s[26:27]
	; wave barrier
	s_and_saveexec_b64 s[26:27], s[44:45]
	s_cbranch_execz .LBB122_27
; %bb.26:                               ;   in Loop: Header=BB122_19 Depth=1
	v_bcnt_u32_b32 v1, v1, 0
	v_bcnt_u32_b32 v1, v2, v1
	s_waitcnt lgkmcnt(0)
	v_add_u32_e32 v1, v47, v1
	ds_write_b32 v48, v1 offset:16
.LBB122_27:                             ;   in Loop: Header=BB122_19 Depth=1
	s_or_b64 exec, exec, s[26:27]
	; wave barrier
	s_waitcnt lgkmcnt(0)
	s_barrier
	ds_read2_b64 v[1:4], v29 offset0:2 offset1:3
	s_waitcnt lgkmcnt(0)
	v_add_u32_e32 v10, v2, v1
	v_add3_u32 v4, v10, v3, v4
	s_nop 1
	v_mov_b32_dpp v10, v4 row_shr:1 row_mask:0xf bank_mask:0xf
	v_cndmask_b32_e64 v10, v10, 0, s[0:1]
	v_add_u32_e32 v4, v10, v4
	s_nop 1
	v_mov_b32_dpp v10, v4 row_shr:2 row_mask:0xf bank_mask:0xf
	v_cndmask_b32_e64 v10, 0, v10, s[2:3]
	v_add_u32_e32 v4, v4, v10
	;; [unrolled: 4-line block ×4, first 2 shown]
	s_nop 1
	v_mov_b32_dpp v10, v4 row_bcast:15 row_mask:0xf bank_mask:0xf
	v_cndmask_b32_e64 v10, v10, 0, s[8:9]
	v_add_u32_e32 v4, v4, v10
	s_nop 1
	v_mov_b32_dpp v10, v4 row_bcast:31 row_mask:0xf bank_mask:0xf
	v_cndmask_b32_e64 v10, 0, v10, s[10:11]
	v_add_u32_e32 v4, v4, v10
	s_and_saveexec_b64 s[26:27], s[12:13]
; %bb.28:                               ;   in Loop: Header=BB122_19 Depth=1
	ds_write_b32 v33, v4
; %bb.29:                               ;   in Loop: Header=BB122_19 Depth=1
	s_or_b64 exec, exec, s[26:27]
	s_waitcnt lgkmcnt(0)
	s_barrier
	s_and_saveexec_b64 s[26:27], s[14:15]
	s_cbranch_execz .LBB122_31
; %bb.30:                               ;   in Loop: Header=BB122_19 Depth=1
	v_add_u32_e32 v10, v29, v31
	ds_read_b32 v50, v10
	s_waitcnt lgkmcnt(0)
	s_nop 0
	v_mov_b32_dpp v51, v50 row_shr:1 row_mask:0xf bank_mask:0xf
	v_cndmask_b32_e64 v51, v51, 0, s[22:23]
	v_add_u32_e32 v50, v51, v50
	s_nop 1
	v_mov_b32_dpp v51, v50 row_shr:2 row_mask:0xf bank_mask:0xf
	v_cndmask_b32_e64 v51, 0, v51, s[24:25]
	v_add_u32_e32 v50, v50, v51
	ds_write_b32 v10, v50
.LBB122_31:                             ;   in Loop: Header=BB122_19 Depth=1
	s_or_b64 exec, exec, s[26:27]
	v_mov_b32_e32 v10, 0
	s_waitcnt lgkmcnt(0)
	s_barrier
	s_and_saveexec_b64 s[26:27], s[16:17]
; %bb.32:                               ;   in Loop: Header=BB122_19 Depth=1
	ds_read_b32 v10, v34
; %bb.33:                               ;   in Loop: Header=BB122_19 Depth=1
	s_or_b64 exec, exec, s[26:27]
	s_waitcnt lgkmcnt(0)
	v_add_u32_e32 v4, v10, v4
	ds_bpermute_b32 v4, v32, v4
	s_add_i32 s36, s36, 8
	s_cmp_ge_u32 s36, s40
	s_mov_b64 s[26:27], -1
	s_waitcnt lgkmcnt(0)
	v_cndmask_b32_e64 v4, v4, v10, s[18:19]
	v_cndmask_b32_e64 v50, v4, 0, s[20:21]
	v_add_u32_e32 v51, v50, v1
	v_add_u32_e32 v1, v51, v2
	;; [unrolled: 1-line block ×3, first 2 shown]
	ds_write2_b64 v29, v[50:51], v[1:2] offset0:2 offset1:3
	s_waitcnt lgkmcnt(0)
	s_barrier
	ds_read_b32 v1, v20 offset:16
	ds_read_b32 v2, v22 offset:16
	;; [unrolled: 1-line block ×4, first 2 shown]
	s_waitcnt lgkmcnt(0)
	v_add_u32_e32 v50, v1, v19
	v_add3_u32 v48, v23, v21, v2
	v_add3_u32 v10, v26, v24, v3
	;; [unrolled: 1-line block ×3, first 2 shown]
	v_lshlrev_b32_e32 v53, 2, v50
	v_lshlrev_b32_e32 v52, 2, v48
	;; [unrolled: 1-line block ×4, first 2 shown]
                                        ; implicit-def: $vgpr1
                                        ; implicit-def: $vgpr47
                                        ; implicit-def: $vgpr4
                                        ; implicit-def: $vgpr3
                                        ; implicit-def: $vgpr19_vgpr20
                                        ; implicit-def: $vgpr21_vgpr22
                                        ; implicit-def: $vgpr23_vgpr24
                                        ; implicit-def: $vgpr25_vgpr26
	s_cbranch_scc1 .LBB122_18
; %bb.34:                               ;   in Loop: Header=BB122_19 Depth=1
	v_lshl_add_u32 v19, v50, 2, v53
	s_barrier
	ds_write_b32 v53, v46
	ds_write_b32 v52, v45
	;; [unrolled: 1-line block ×4, first 2 shown]
	s_waitcnt lgkmcnt(0)
	s_barrier
	ds_read_b32 v3, v35
	ds_read_b32 v4, v36
	;; [unrolled: 1-line block ×4, first 2 shown]
	s_waitcnt lgkmcnt(0)
	s_barrier
	ds_write_b64 v19, v[17:18]
	v_lshl_add_u32 v19, v48, 2, v52
	ds_write_b64 v19, v[15:16]
	v_lshl_add_u32 v19, v10, 2, v51
	;; [unrolled: 2-line block ×3, first 2 shown]
	ds_write_b64 v19, v[11:12]
	s_waitcnt lgkmcnt(0)
	s_barrier
	ds_read_b64 v[19:20], v39
	ds_read_b64 v[21:22], v40
	;; [unrolled: 1-line block ×4, first 2 shown]
	s_add_i32 s37, s37, -8
	s_mov_b64 s[26:27], 0
	s_waitcnt lgkmcnt(0)
	s_barrier
	s_branch .LBB122_18
.LBB122_35:
	v_add_u32_e32 v1, v29, v31
	s_barrier
	ds_write_b32 v53, v46
	ds_write_b32 v52, v45
	ds_write_b32 v51, v44
	ds_write_b32 v49, v43
	s_waitcnt lgkmcnt(0)
	s_barrier
	ds_read2st64_b32 v[19:20], v1 offset1:4
	ds_read2st64_b32 v[21:22], v1 offset0:8 offset1:12
	v_lshl_add_u32 v1, v50, 2, v53
	s_waitcnt lgkmcnt(0)
	s_barrier
	ds_write_b64 v1, v[17:18]
	v_lshl_add_u32 v1, v48, 2, v52
	ds_write_b64 v1, v[15:16]
	v_lshl_add_u32 v1, v10, 2, v51
	;; [unrolled: 2-line block ×3, first 2 shown]
	v_bfrev_b32_e32 v9, -2
	v_cmp_gt_i32_e32 vcc, 0, v19
	ds_write_b64 v1, v[11:12]
	v_lshlrev_b32_e32 v11, 3, v0
	v_cndmask_b32_e64 v10, v9, 0, vcc
	v_cmp_gt_i32_e32 vcc, 0, v20
	s_waitcnt lgkmcnt(0)
	s_barrier
	ds_read2st64_b64 v[5:8], v11 offset1:4
	ds_read2st64_b64 v[1:4], v11 offset0:8 offset1:12
	v_xor_b32_e32 v15, v10, v19
	v_cndmask_b32_e64 v10, v9, 0, vcc
	v_cmp_gt_i32_e32 vcc, 0, v21
	v_xor_b32_e32 v14, v10, v20
	v_cndmask_b32_e64 v10, v9, 0, vcc
	v_cmp_gt_i32_e32 vcc, 0, v22
	s_add_u32 s0, s38, s34
	v_cndmask_b32_e64 v9, v9, 0, vcc
	s_addc_u32 s1, s39, s35
	v_xor_b32_e32 v13, v10, v21
	v_xor_b32_e32 v12, v9, v22
	v_mov_b32_e32 v10, s1
	v_add_co_u32_e64 v9, s[0:1], s0, v27
	s_andn2_b64 vcc, exec, s[30:31]
	v_addc_co_u32_e64 v10, s[0:1], 0, v10, s[0:1]
	s_cbranch_vccnz .LBB122_37
; %bb.36:
	s_lshl_b64 s[0:1], s[28:29], 3
	s_add_u32 s0, s42, s0
	s_addc_u32 s1, s43, s1
	v_mov_b32_e32 v16, s1
	v_add_co_u32_e32 v17, vcc, s0, v11
	v_addc_co_u32_e32 v18, vcc, 0, v16, vcc
	v_add_co_u32_e32 v16, vcc, 0x1000, v17
	global_store_dword v[9:10], v15, off
	global_store_dword v[9:10], v14, off offset:1024
	global_store_dword v[9:10], v13, off offset:2048
	;; [unrolled: 1-line block ×3, first 2 shown]
	s_waitcnt lgkmcnt(1)
	global_store_dwordx2 v11, v[5:6], s[0:1]
	global_store_dwordx2 v11, v[7:8], s[0:1] offset:2048
	v_addc_co_u32_e32 v17, vcc, 0, v18, vcc
	s_mov_b64 s[6:7], -1
	s_waitcnt lgkmcnt(0)
	global_store_dwordx2 v[16:17], v[1:2], off
	s_cbranch_execz .LBB122_38
	s_branch .LBB122_51
.LBB122_37:
	s_mov_b64 s[6:7], 0
.LBB122_38:
	v_cmp_gt_u32_e32 vcc, s33, v0
	s_and_saveexec_b64 s[0:1], vcc
	s_cbranch_execz .LBB122_40
; %bb.39:
	global_store_dword v[9:10], v15, off
.LBB122_40:
	s_or_b64 exec, exec, s[0:1]
	v_or_b32_e32 v15, 0x100, v0
	v_cmp_gt_u32_e64 s[0:1], s33, v15
	s_and_saveexec_b64 s[2:3], s[0:1]
	s_cbranch_execz .LBB122_42
; %bb.41:
	global_store_dword v[9:10], v14, off offset:1024
.LBB122_42:
	s_or_b64 exec, exec, s[2:3]
	v_or_b32_e32 v14, 0x200, v0
	v_cmp_gt_u32_e64 s[2:3], s33, v14
	s_and_saveexec_b64 s[4:5], s[2:3]
	s_cbranch_execz .LBB122_44
; %bb.43:
	global_store_dword v[9:10], v13, off offset:2048
.LBB122_44:
	;; [unrolled: 8-line block ×3, first 2 shown]
	s_or_b64 exec, exec, s[4:5]
	s_lshl_b64 s[4:5], s[28:29], 3
	s_add_u32 s4, s42, s4
	s_addc_u32 s5, s43, s5
	v_mov_b32_e32 v0, s5
	v_add_co_u32_e64 v9, s[4:5], s4, v11
	v_addc_co_u32_e64 v10, s[4:5], 0, v0, s[4:5]
	s_and_saveexec_b64 s[4:5], vcc
	s_cbranch_execnz .LBB122_57
; %bb.47:
	s_or_b64 exec, exec, s[4:5]
	s_and_saveexec_b64 s[4:5], s[0:1]
	s_cbranch_execnz .LBB122_58
.LBB122_48:
	s_or_b64 exec, exec, s[4:5]
	s_and_saveexec_b64 s[0:1], s[2:3]
	s_cbranch_execz .LBB122_50
.LBB122_49:
	s_waitcnt lgkmcnt(1)
	v_add_co_u32_e32 v5, vcc, 0x1000, v9
	v_addc_co_u32_e32 v6, vcc, 0, v10, vcc
	s_waitcnt lgkmcnt(0)
	global_store_dwordx2 v[5:6], v[1:2], off
.LBB122_50:
	s_or_b64 exec, exec, s[0:1]
.LBB122_51:
	s_and_saveexec_b64 s[0:1], s[6:7]
	s_cbranch_execnz .LBB122_53
; %bb.52:
	s_endpgm
.LBB122_53:
	s_lshl_b64 s[0:1], s[28:29], 3
	s_add_u32 s0, s42, s0
	s_addc_u32 s1, s43, s1
	v_mov_b32_e32 v0, s1
	s_waitcnt lgkmcnt(0)
	v_add_co_u32_e32 v1, vcc, s0, v11
	v_addc_co_u32_e32 v2, vcc, 0, v0, vcc
	v_add_co_u32_e32 v0, vcc, 0x1000, v1
	v_addc_co_u32_e32 v1, vcc, 0, v2, vcc
	global_store_dwordx2 v[0:1], v[3:4], off offset:2048
	s_endpgm
.LBB122_54:
	global_load_dwordx2 v[19:20], v[7:8], off
	s_or_b64 exec, exec, s[8:9]
                                        ; implicit-def: $vgpr21_vgpr22
	s_and_saveexec_b64 s[8:9], s[0:1]
	s_cbranch_execz .LBB122_13
.LBB122_55:
	global_load_dwordx2 v[21:22], v[7:8], off offset:512
	s_or_b64 exec, exec, s[8:9]
                                        ; implicit-def: $vgpr23_vgpr24
	s_and_saveexec_b64 s[0:1], s[2:3]
	s_cbranch_execz .LBB122_14
.LBB122_56:
	global_load_dwordx2 v[23:24], v[7:8], off offset:1024
	s_or_b64 exec, exec, s[0:1]
                                        ; implicit-def: $vgpr25_vgpr26
	s_and_saveexec_b64 s[0:1], s[6:7]
	s_cbranch_execnz .LBB122_15
	s_branch .LBB122_16
.LBB122_57:
	s_waitcnt lgkmcnt(1)
	global_store_dwordx2 v[9:10], v[5:6], off
	s_or_b64 exec, exec, s[4:5]
	s_and_saveexec_b64 s[4:5], s[0:1]
	s_cbranch_execz .LBB122_48
.LBB122_58:
	s_waitcnt lgkmcnt(1)
	global_store_dwordx2 v[9:10], v[7:8], off offset:2048
	s_or_b64 exec, exec, s[4:5]
	s_and_saveexec_b64 s[0:1], s[2:3]
	s_cbranch_execnz .LBB122_49
	s_branch .LBB122_50
	.section	.rodata,"a",@progbits
	.p2align	6, 0x0
	.amdhsa_kernel _ZN7rocprim17ROCPRIM_304000_NS6detail28radix_sort_block_sort_kernelINS1_36wrapped_radix_sort_block_sort_configINS0_13kernel_configILj256ELj4ELj4294967295EEEfN2at4cuda3cub6detail10OpaqueTypeILi8EEEEELb1EPKfPfPKSB_PSB_NS0_19identity_decomposerEEEvT1_T2_T3_T4_jT5_jj
		.amdhsa_group_segment_fixed_size 8192
		.amdhsa_private_segment_fixed_size 0
		.amdhsa_kernarg_size 304
		.amdhsa_user_sgpr_count 6
		.amdhsa_user_sgpr_private_segment_buffer 1
		.amdhsa_user_sgpr_dispatch_ptr 0
		.amdhsa_user_sgpr_queue_ptr 0
		.amdhsa_user_sgpr_kernarg_segment_ptr 1
		.amdhsa_user_sgpr_dispatch_id 0
		.amdhsa_user_sgpr_flat_scratch_init 0
		.amdhsa_user_sgpr_private_segment_size 0
		.amdhsa_uses_dynamic_stack 0
		.amdhsa_system_sgpr_private_segment_wavefront_offset 0
		.amdhsa_system_sgpr_workgroup_id_x 1
		.amdhsa_system_sgpr_workgroup_id_y 0
		.amdhsa_system_sgpr_workgroup_id_z 0
		.amdhsa_system_sgpr_workgroup_info 0
		.amdhsa_system_vgpr_workitem_id 2
		.amdhsa_next_free_vgpr 54
		.amdhsa_next_free_sgpr 61
		.amdhsa_reserve_vcc 1
		.amdhsa_reserve_flat_scratch 0
		.amdhsa_float_round_mode_32 0
		.amdhsa_float_round_mode_16_64 0
		.amdhsa_float_denorm_mode_32 3
		.amdhsa_float_denorm_mode_16_64 3
		.amdhsa_dx10_clamp 1
		.amdhsa_ieee_mode 1
		.amdhsa_fp16_overflow 0
		.amdhsa_exception_fp_ieee_invalid_op 0
		.amdhsa_exception_fp_denorm_src 0
		.amdhsa_exception_fp_ieee_div_zero 0
		.amdhsa_exception_fp_ieee_overflow 0
		.amdhsa_exception_fp_ieee_underflow 0
		.amdhsa_exception_fp_ieee_inexact 0
		.amdhsa_exception_int_div_zero 0
	.end_amdhsa_kernel
	.section	.text._ZN7rocprim17ROCPRIM_304000_NS6detail28radix_sort_block_sort_kernelINS1_36wrapped_radix_sort_block_sort_configINS0_13kernel_configILj256ELj4ELj4294967295EEEfN2at4cuda3cub6detail10OpaqueTypeILi8EEEEELb1EPKfPfPKSB_PSB_NS0_19identity_decomposerEEEvT1_T2_T3_T4_jT5_jj,"axG",@progbits,_ZN7rocprim17ROCPRIM_304000_NS6detail28radix_sort_block_sort_kernelINS1_36wrapped_radix_sort_block_sort_configINS0_13kernel_configILj256ELj4ELj4294967295EEEfN2at4cuda3cub6detail10OpaqueTypeILi8EEEEELb1EPKfPfPKSB_PSB_NS0_19identity_decomposerEEEvT1_T2_T3_T4_jT5_jj,comdat
.Lfunc_end122:
	.size	_ZN7rocprim17ROCPRIM_304000_NS6detail28radix_sort_block_sort_kernelINS1_36wrapped_radix_sort_block_sort_configINS0_13kernel_configILj256ELj4ELj4294967295EEEfN2at4cuda3cub6detail10OpaqueTypeILi8EEEEELb1EPKfPfPKSB_PSB_NS0_19identity_decomposerEEEvT1_T2_T3_T4_jT5_jj, .Lfunc_end122-_ZN7rocprim17ROCPRIM_304000_NS6detail28radix_sort_block_sort_kernelINS1_36wrapped_radix_sort_block_sort_configINS0_13kernel_configILj256ELj4ELj4294967295EEEfN2at4cuda3cub6detail10OpaqueTypeILi8EEEEELb1EPKfPfPKSB_PSB_NS0_19identity_decomposerEEEvT1_T2_T3_T4_jT5_jj
                                        ; -- End function
	.set _ZN7rocprim17ROCPRIM_304000_NS6detail28radix_sort_block_sort_kernelINS1_36wrapped_radix_sort_block_sort_configINS0_13kernel_configILj256ELj4ELj4294967295EEEfN2at4cuda3cub6detail10OpaqueTypeILi8EEEEELb1EPKfPfPKSB_PSB_NS0_19identity_decomposerEEEvT1_T2_T3_T4_jT5_jj.num_vgpr, 54
	.set _ZN7rocprim17ROCPRIM_304000_NS6detail28radix_sort_block_sort_kernelINS1_36wrapped_radix_sort_block_sort_configINS0_13kernel_configILj256ELj4ELj4294967295EEEfN2at4cuda3cub6detail10OpaqueTypeILi8EEEEELb1EPKfPfPKSB_PSB_NS0_19identity_decomposerEEEvT1_T2_T3_T4_jT5_jj.num_agpr, 0
	.set _ZN7rocprim17ROCPRIM_304000_NS6detail28radix_sort_block_sort_kernelINS1_36wrapped_radix_sort_block_sort_configINS0_13kernel_configILj256ELj4ELj4294967295EEEfN2at4cuda3cub6detail10OpaqueTypeILi8EEEEELb1EPKfPfPKSB_PSB_NS0_19identity_decomposerEEEvT1_T2_T3_T4_jT5_jj.numbered_sgpr, 48
	.set _ZN7rocprim17ROCPRIM_304000_NS6detail28radix_sort_block_sort_kernelINS1_36wrapped_radix_sort_block_sort_configINS0_13kernel_configILj256ELj4ELj4294967295EEEfN2at4cuda3cub6detail10OpaqueTypeILi8EEEEELb1EPKfPfPKSB_PSB_NS0_19identity_decomposerEEEvT1_T2_T3_T4_jT5_jj.num_named_barrier, 0
	.set _ZN7rocprim17ROCPRIM_304000_NS6detail28radix_sort_block_sort_kernelINS1_36wrapped_radix_sort_block_sort_configINS0_13kernel_configILj256ELj4ELj4294967295EEEfN2at4cuda3cub6detail10OpaqueTypeILi8EEEEELb1EPKfPfPKSB_PSB_NS0_19identity_decomposerEEEvT1_T2_T3_T4_jT5_jj.private_seg_size, 0
	.set _ZN7rocprim17ROCPRIM_304000_NS6detail28radix_sort_block_sort_kernelINS1_36wrapped_radix_sort_block_sort_configINS0_13kernel_configILj256ELj4ELj4294967295EEEfN2at4cuda3cub6detail10OpaqueTypeILi8EEEEELb1EPKfPfPKSB_PSB_NS0_19identity_decomposerEEEvT1_T2_T3_T4_jT5_jj.uses_vcc, 1
	.set _ZN7rocprim17ROCPRIM_304000_NS6detail28radix_sort_block_sort_kernelINS1_36wrapped_radix_sort_block_sort_configINS0_13kernel_configILj256ELj4ELj4294967295EEEfN2at4cuda3cub6detail10OpaqueTypeILi8EEEEELb1EPKfPfPKSB_PSB_NS0_19identity_decomposerEEEvT1_T2_T3_T4_jT5_jj.uses_flat_scratch, 0
	.set _ZN7rocprim17ROCPRIM_304000_NS6detail28radix_sort_block_sort_kernelINS1_36wrapped_radix_sort_block_sort_configINS0_13kernel_configILj256ELj4ELj4294967295EEEfN2at4cuda3cub6detail10OpaqueTypeILi8EEEEELb1EPKfPfPKSB_PSB_NS0_19identity_decomposerEEEvT1_T2_T3_T4_jT5_jj.has_dyn_sized_stack, 0
	.set _ZN7rocprim17ROCPRIM_304000_NS6detail28radix_sort_block_sort_kernelINS1_36wrapped_radix_sort_block_sort_configINS0_13kernel_configILj256ELj4ELj4294967295EEEfN2at4cuda3cub6detail10OpaqueTypeILi8EEEEELb1EPKfPfPKSB_PSB_NS0_19identity_decomposerEEEvT1_T2_T3_T4_jT5_jj.has_recursion, 0
	.set _ZN7rocprim17ROCPRIM_304000_NS6detail28radix_sort_block_sort_kernelINS1_36wrapped_radix_sort_block_sort_configINS0_13kernel_configILj256ELj4ELj4294967295EEEfN2at4cuda3cub6detail10OpaqueTypeILi8EEEEELb1EPKfPfPKSB_PSB_NS0_19identity_decomposerEEEvT1_T2_T3_T4_jT5_jj.has_indirect_call, 0
	.section	.AMDGPU.csdata,"",@progbits
; Kernel info:
; codeLenInByte = 3948
; TotalNumSgprs: 52
; NumVgprs: 54
; ScratchSize: 0
; MemoryBound: 0
; FloatMode: 240
; IeeeMode: 1
; LDSByteSize: 8192 bytes/workgroup (compile time only)
; SGPRBlocks: 8
; VGPRBlocks: 13
; NumSGPRsForWavesPerEU: 65
; NumVGPRsForWavesPerEU: 54
; Occupancy: 4
; WaveLimiterHint : 1
; COMPUTE_PGM_RSRC2:SCRATCH_EN: 0
; COMPUTE_PGM_RSRC2:USER_SGPR: 6
; COMPUTE_PGM_RSRC2:TRAP_HANDLER: 0
; COMPUTE_PGM_RSRC2:TGID_X_EN: 1
; COMPUTE_PGM_RSRC2:TGID_Y_EN: 0
; COMPUTE_PGM_RSRC2:TGID_Z_EN: 0
; COMPUTE_PGM_RSRC2:TIDIG_COMP_CNT: 2
	.section	.text._ZN7rocprim17ROCPRIM_304000_NS6detail39device_merge_sort_compile_time_verifierINS1_36wrapped_merge_sort_block_sort_configINS1_28merge_sort_block_sort_configILj256ELj4ELNS0_20block_sort_algorithmE0EEEfN2at4cuda3cub6detail10OpaqueTypeILi8EEEEENS1_37wrapped_merge_sort_block_merge_configINS0_14default_configEfSC_EEEEvv,"axG",@progbits,_ZN7rocprim17ROCPRIM_304000_NS6detail39device_merge_sort_compile_time_verifierINS1_36wrapped_merge_sort_block_sort_configINS1_28merge_sort_block_sort_configILj256ELj4ELNS0_20block_sort_algorithmE0EEEfN2at4cuda3cub6detail10OpaqueTypeILi8EEEEENS1_37wrapped_merge_sort_block_merge_configINS0_14default_configEfSC_EEEEvv,comdat
	.protected	_ZN7rocprim17ROCPRIM_304000_NS6detail39device_merge_sort_compile_time_verifierINS1_36wrapped_merge_sort_block_sort_configINS1_28merge_sort_block_sort_configILj256ELj4ELNS0_20block_sort_algorithmE0EEEfN2at4cuda3cub6detail10OpaqueTypeILi8EEEEENS1_37wrapped_merge_sort_block_merge_configINS0_14default_configEfSC_EEEEvv ; -- Begin function _ZN7rocprim17ROCPRIM_304000_NS6detail39device_merge_sort_compile_time_verifierINS1_36wrapped_merge_sort_block_sort_configINS1_28merge_sort_block_sort_configILj256ELj4ELNS0_20block_sort_algorithmE0EEEfN2at4cuda3cub6detail10OpaqueTypeILi8EEEEENS1_37wrapped_merge_sort_block_merge_configINS0_14default_configEfSC_EEEEvv
	.globl	_ZN7rocprim17ROCPRIM_304000_NS6detail39device_merge_sort_compile_time_verifierINS1_36wrapped_merge_sort_block_sort_configINS1_28merge_sort_block_sort_configILj256ELj4ELNS0_20block_sort_algorithmE0EEEfN2at4cuda3cub6detail10OpaqueTypeILi8EEEEENS1_37wrapped_merge_sort_block_merge_configINS0_14default_configEfSC_EEEEvv
	.p2align	8
	.type	_ZN7rocprim17ROCPRIM_304000_NS6detail39device_merge_sort_compile_time_verifierINS1_36wrapped_merge_sort_block_sort_configINS1_28merge_sort_block_sort_configILj256ELj4ELNS0_20block_sort_algorithmE0EEEfN2at4cuda3cub6detail10OpaqueTypeILi8EEEEENS1_37wrapped_merge_sort_block_merge_configINS0_14default_configEfSC_EEEEvv,@function
_ZN7rocprim17ROCPRIM_304000_NS6detail39device_merge_sort_compile_time_verifierINS1_36wrapped_merge_sort_block_sort_configINS1_28merge_sort_block_sort_configILj256ELj4ELNS0_20block_sort_algorithmE0EEEfN2at4cuda3cub6detail10OpaqueTypeILi8EEEEENS1_37wrapped_merge_sort_block_merge_configINS0_14default_configEfSC_EEEEvv: ; @_ZN7rocprim17ROCPRIM_304000_NS6detail39device_merge_sort_compile_time_verifierINS1_36wrapped_merge_sort_block_sort_configINS1_28merge_sort_block_sort_configILj256ELj4ELNS0_20block_sort_algorithmE0EEEfN2at4cuda3cub6detail10OpaqueTypeILi8EEEEENS1_37wrapped_merge_sort_block_merge_configINS0_14default_configEfSC_EEEEvv
; %bb.0:
	s_endpgm
	.section	.rodata,"a",@progbits
	.p2align	6, 0x0
	.amdhsa_kernel _ZN7rocprim17ROCPRIM_304000_NS6detail39device_merge_sort_compile_time_verifierINS1_36wrapped_merge_sort_block_sort_configINS1_28merge_sort_block_sort_configILj256ELj4ELNS0_20block_sort_algorithmE0EEEfN2at4cuda3cub6detail10OpaqueTypeILi8EEEEENS1_37wrapped_merge_sort_block_merge_configINS0_14default_configEfSC_EEEEvv
		.amdhsa_group_segment_fixed_size 0
		.amdhsa_private_segment_fixed_size 0
		.amdhsa_kernarg_size 0
		.amdhsa_user_sgpr_count 4
		.amdhsa_user_sgpr_private_segment_buffer 1
		.amdhsa_user_sgpr_dispatch_ptr 0
		.amdhsa_user_sgpr_queue_ptr 0
		.amdhsa_user_sgpr_kernarg_segment_ptr 0
		.amdhsa_user_sgpr_dispatch_id 0
		.amdhsa_user_sgpr_flat_scratch_init 0
		.amdhsa_user_sgpr_private_segment_size 0
		.amdhsa_uses_dynamic_stack 0
		.amdhsa_system_sgpr_private_segment_wavefront_offset 0
		.amdhsa_system_sgpr_workgroup_id_x 1
		.amdhsa_system_sgpr_workgroup_id_y 0
		.amdhsa_system_sgpr_workgroup_id_z 0
		.amdhsa_system_sgpr_workgroup_info 0
		.amdhsa_system_vgpr_workitem_id 0
		.amdhsa_next_free_vgpr 1
		.amdhsa_next_free_sgpr 0
		.amdhsa_reserve_vcc 0
		.amdhsa_reserve_flat_scratch 0
		.amdhsa_float_round_mode_32 0
		.amdhsa_float_round_mode_16_64 0
		.amdhsa_float_denorm_mode_32 3
		.amdhsa_float_denorm_mode_16_64 3
		.amdhsa_dx10_clamp 1
		.amdhsa_ieee_mode 1
		.amdhsa_fp16_overflow 0
		.amdhsa_exception_fp_ieee_invalid_op 0
		.amdhsa_exception_fp_denorm_src 0
		.amdhsa_exception_fp_ieee_div_zero 0
		.amdhsa_exception_fp_ieee_overflow 0
		.amdhsa_exception_fp_ieee_underflow 0
		.amdhsa_exception_fp_ieee_inexact 0
		.amdhsa_exception_int_div_zero 0
	.end_amdhsa_kernel
	.section	.text._ZN7rocprim17ROCPRIM_304000_NS6detail39device_merge_sort_compile_time_verifierINS1_36wrapped_merge_sort_block_sort_configINS1_28merge_sort_block_sort_configILj256ELj4ELNS0_20block_sort_algorithmE0EEEfN2at4cuda3cub6detail10OpaqueTypeILi8EEEEENS1_37wrapped_merge_sort_block_merge_configINS0_14default_configEfSC_EEEEvv,"axG",@progbits,_ZN7rocprim17ROCPRIM_304000_NS6detail39device_merge_sort_compile_time_verifierINS1_36wrapped_merge_sort_block_sort_configINS1_28merge_sort_block_sort_configILj256ELj4ELNS0_20block_sort_algorithmE0EEEfN2at4cuda3cub6detail10OpaqueTypeILi8EEEEENS1_37wrapped_merge_sort_block_merge_configINS0_14default_configEfSC_EEEEvv,comdat
.Lfunc_end123:
	.size	_ZN7rocprim17ROCPRIM_304000_NS6detail39device_merge_sort_compile_time_verifierINS1_36wrapped_merge_sort_block_sort_configINS1_28merge_sort_block_sort_configILj256ELj4ELNS0_20block_sort_algorithmE0EEEfN2at4cuda3cub6detail10OpaqueTypeILi8EEEEENS1_37wrapped_merge_sort_block_merge_configINS0_14default_configEfSC_EEEEvv, .Lfunc_end123-_ZN7rocprim17ROCPRIM_304000_NS6detail39device_merge_sort_compile_time_verifierINS1_36wrapped_merge_sort_block_sort_configINS1_28merge_sort_block_sort_configILj256ELj4ELNS0_20block_sort_algorithmE0EEEfN2at4cuda3cub6detail10OpaqueTypeILi8EEEEENS1_37wrapped_merge_sort_block_merge_configINS0_14default_configEfSC_EEEEvv
                                        ; -- End function
	.set _ZN7rocprim17ROCPRIM_304000_NS6detail39device_merge_sort_compile_time_verifierINS1_36wrapped_merge_sort_block_sort_configINS1_28merge_sort_block_sort_configILj256ELj4ELNS0_20block_sort_algorithmE0EEEfN2at4cuda3cub6detail10OpaqueTypeILi8EEEEENS1_37wrapped_merge_sort_block_merge_configINS0_14default_configEfSC_EEEEvv.num_vgpr, 0
	.set _ZN7rocprim17ROCPRIM_304000_NS6detail39device_merge_sort_compile_time_verifierINS1_36wrapped_merge_sort_block_sort_configINS1_28merge_sort_block_sort_configILj256ELj4ELNS0_20block_sort_algorithmE0EEEfN2at4cuda3cub6detail10OpaqueTypeILi8EEEEENS1_37wrapped_merge_sort_block_merge_configINS0_14default_configEfSC_EEEEvv.num_agpr, 0
	.set _ZN7rocprim17ROCPRIM_304000_NS6detail39device_merge_sort_compile_time_verifierINS1_36wrapped_merge_sort_block_sort_configINS1_28merge_sort_block_sort_configILj256ELj4ELNS0_20block_sort_algorithmE0EEEfN2at4cuda3cub6detail10OpaqueTypeILi8EEEEENS1_37wrapped_merge_sort_block_merge_configINS0_14default_configEfSC_EEEEvv.numbered_sgpr, 0
	.set _ZN7rocprim17ROCPRIM_304000_NS6detail39device_merge_sort_compile_time_verifierINS1_36wrapped_merge_sort_block_sort_configINS1_28merge_sort_block_sort_configILj256ELj4ELNS0_20block_sort_algorithmE0EEEfN2at4cuda3cub6detail10OpaqueTypeILi8EEEEENS1_37wrapped_merge_sort_block_merge_configINS0_14default_configEfSC_EEEEvv.num_named_barrier, 0
	.set _ZN7rocprim17ROCPRIM_304000_NS6detail39device_merge_sort_compile_time_verifierINS1_36wrapped_merge_sort_block_sort_configINS1_28merge_sort_block_sort_configILj256ELj4ELNS0_20block_sort_algorithmE0EEEfN2at4cuda3cub6detail10OpaqueTypeILi8EEEEENS1_37wrapped_merge_sort_block_merge_configINS0_14default_configEfSC_EEEEvv.private_seg_size, 0
	.set _ZN7rocprim17ROCPRIM_304000_NS6detail39device_merge_sort_compile_time_verifierINS1_36wrapped_merge_sort_block_sort_configINS1_28merge_sort_block_sort_configILj256ELj4ELNS0_20block_sort_algorithmE0EEEfN2at4cuda3cub6detail10OpaqueTypeILi8EEEEENS1_37wrapped_merge_sort_block_merge_configINS0_14default_configEfSC_EEEEvv.uses_vcc, 0
	.set _ZN7rocprim17ROCPRIM_304000_NS6detail39device_merge_sort_compile_time_verifierINS1_36wrapped_merge_sort_block_sort_configINS1_28merge_sort_block_sort_configILj256ELj4ELNS0_20block_sort_algorithmE0EEEfN2at4cuda3cub6detail10OpaqueTypeILi8EEEEENS1_37wrapped_merge_sort_block_merge_configINS0_14default_configEfSC_EEEEvv.uses_flat_scratch, 0
	.set _ZN7rocprim17ROCPRIM_304000_NS6detail39device_merge_sort_compile_time_verifierINS1_36wrapped_merge_sort_block_sort_configINS1_28merge_sort_block_sort_configILj256ELj4ELNS0_20block_sort_algorithmE0EEEfN2at4cuda3cub6detail10OpaqueTypeILi8EEEEENS1_37wrapped_merge_sort_block_merge_configINS0_14default_configEfSC_EEEEvv.has_dyn_sized_stack, 0
	.set _ZN7rocprim17ROCPRIM_304000_NS6detail39device_merge_sort_compile_time_verifierINS1_36wrapped_merge_sort_block_sort_configINS1_28merge_sort_block_sort_configILj256ELj4ELNS0_20block_sort_algorithmE0EEEfN2at4cuda3cub6detail10OpaqueTypeILi8EEEEENS1_37wrapped_merge_sort_block_merge_configINS0_14default_configEfSC_EEEEvv.has_recursion, 0
	.set _ZN7rocprim17ROCPRIM_304000_NS6detail39device_merge_sort_compile_time_verifierINS1_36wrapped_merge_sort_block_sort_configINS1_28merge_sort_block_sort_configILj256ELj4ELNS0_20block_sort_algorithmE0EEEfN2at4cuda3cub6detail10OpaqueTypeILi8EEEEENS1_37wrapped_merge_sort_block_merge_configINS0_14default_configEfSC_EEEEvv.has_indirect_call, 0
	.section	.AMDGPU.csdata,"",@progbits
; Kernel info:
; codeLenInByte = 4
; TotalNumSgprs: 4
; NumVgprs: 0
; ScratchSize: 0
; MemoryBound: 0
; FloatMode: 240
; IeeeMode: 1
; LDSByteSize: 0 bytes/workgroup (compile time only)
; SGPRBlocks: 0
; VGPRBlocks: 0
; NumSGPRsForWavesPerEU: 4
; NumVGPRsForWavesPerEU: 1
; Occupancy: 10
; WaveLimiterHint : 0
; COMPUTE_PGM_RSRC2:SCRATCH_EN: 0
; COMPUTE_PGM_RSRC2:USER_SGPR: 4
; COMPUTE_PGM_RSRC2:TRAP_HANDLER: 0
; COMPUTE_PGM_RSRC2:TGID_X_EN: 1
; COMPUTE_PGM_RSRC2:TGID_Y_EN: 0
; COMPUTE_PGM_RSRC2:TGID_Z_EN: 0
; COMPUTE_PGM_RSRC2:TIDIG_COMP_CNT: 0
	.section	.text._ZN7rocprim17ROCPRIM_304000_NS6detail45device_block_merge_mergepath_partition_kernelINS1_37wrapped_merge_sort_block_merge_configINS0_14default_configEfN2at4cuda3cub6detail10OpaqueTypeILi8EEEEEPfjNS1_19radix_merge_compareILb1ELb0EfNS0_19identity_decomposerEEEEEvT0_T1_jPSH_T2_SH_,"axG",@progbits,_ZN7rocprim17ROCPRIM_304000_NS6detail45device_block_merge_mergepath_partition_kernelINS1_37wrapped_merge_sort_block_merge_configINS0_14default_configEfN2at4cuda3cub6detail10OpaqueTypeILi8EEEEEPfjNS1_19radix_merge_compareILb1ELb0EfNS0_19identity_decomposerEEEEEvT0_T1_jPSH_T2_SH_,comdat
	.protected	_ZN7rocprim17ROCPRIM_304000_NS6detail45device_block_merge_mergepath_partition_kernelINS1_37wrapped_merge_sort_block_merge_configINS0_14default_configEfN2at4cuda3cub6detail10OpaqueTypeILi8EEEEEPfjNS1_19radix_merge_compareILb1ELb0EfNS0_19identity_decomposerEEEEEvT0_T1_jPSH_T2_SH_ ; -- Begin function _ZN7rocprim17ROCPRIM_304000_NS6detail45device_block_merge_mergepath_partition_kernelINS1_37wrapped_merge_sort_block_merge_configINS0_14default_configEfN2at4cuda3cub6detail10OpaqueTypeILi8EEEEEPfjNS1_19radix_merge_compareILb1ELb0EfNS0_19identity_decomposerEEEEEvT0_T1_jPSH_T2_SH_
	.globl	_ZN7rocprim17ROCPRIM_304000_NS6detail45device_block_merge_mergepath_partition_kernelINS1_37wrapped_merge_sort_block_merge_configINS0_14default_configEfN2at4cuda3cub6detail10OpaqueTypeILi8EEEEEPfjNS1_19radix_merge_compareILb1ELb0EfNS0_19identity_decomposerEEEEEvT0_T1_jPSH_T2_SH_
	.p2align	8
	.type	_ZN7rocprim17ROCPRIM_304000_NS6detail45device_block_merge_mergepath_partition_kernelINS1_37wrapped_merge_sort_block_merge_configINS0_14default_configEfN2at4cuda3cub6detail10OpaqueTypeILi8EEEEEPfjNS1_19radix_merge_compareILb1ELb0EfNS0_19identity_decomposerEEEEEvT0_T1_jPSH_T2_SH_,@function
_ZN7rocprim17ROCPRIM_304000_NS6detail45device_block_merge_mergepath_partition_kernelINS1_37wrapped_merge_sort_block_merge_configINS0_14default_configEfN2at4cuda3cub6detail10OpaqueTypeILi8EEEEEPfjNS1_19radix_merge_compareILb1ELb0EfNS0_19identity_decomposerEEEEEvT0_T1_jPSH_T2_SH_: ; @_ZN7rocprim17ROCPRIM_304000_NS6detail45device_block_merge_mergepath_partition_kernelINS1_37wrapped_merge_sort_block_merge_configINS0_14default_configEfN2at4cuda3cub6detail10OpaqueTypeILi8EEEEEPfjNS1_19radix_merge_compareILb1ELb0EfNS0_19identity_decomposerEEEEEvT0_T1_jPSH_T2_SH_
; %bb.0:
	s_load_dwordx2 s[0:1], s[4:5], 0x8
	v_lshl_or_b32 v0, s6, 7, v0
	s_waitcnt lgkmcnt(0)
	v_cmp_gt_u32_e32 vcc, s1, v0
	s_and_saveexec_b64 s[2:3], vcc
	s_cbranch_execz .LBB124_6
; %bb.1:
	s_load_dword s1, s[4:5], 0x1c
	s_waitcnt lgkmcnt(0)
	s_lshr_b32 s2, s1, 9
	s_and_b32 s2, s2, 0x7ffffe
	s_add_i32 s3, s2, -1
	s_sub_i32 s2, 0, s2
	v_and_b32_e32 v1, s2, v0
	v_lshlrev_b32_e32 v3, 10, v1
	v_min_u32_e32 v1, s0, v3
	v_add_u32_e32 v3, s1, v3
	v_min_u32_e32 v3, s0, v3
	v_add_u32_e32 v4, s1, v3
	v_and_b32_e32 v2, s3, v0
	v_min_u32_e32 v4, s0, v4
	v_lshlrev_b32_e32 v2, 10, v2
	v_sub_u32_e32 v5, v4, v1
	v_min_u32_e32 v6, v5, v2
	v_sub_u32_e32 v2, v3, v1
	v_sub_u32_e32 v4, v4, v3
	v_sub_u32_e64 v5, v6, v4 clamp
	v_min_u32_e32 v7, v6, v2
	v_cmp_lt_u32_e32 vcc, v5, v7
	s_and_saveexec_b64 s[0:1], vcc
	s_cbranch_execz .LBB124_5
; %bb.2:
	s_load_dwordx2 s[2:3], s[4:5], 0x0
	v_mov_b32_e32 v4, 0
	v_mov_b32_e32 v2, v4
	v_lshlrev_b64 v[8:9], 2, v[1:2]
	s_brev_b32 s6, 1
	s_waitcnt lgkmcnt(0)
	v_mov_b32_e32 v11, s3
	v_add_co_u32_e32 v2, vcc, s2, v8
	v_addc_co_u32_e32 v8, vcc, v11, v9, vcc
	v_lshlrev_b64 v[9:10], 2, v[3:4]
	v_add_co_u32_e32 v9, vcc, s2, v9
	v_addc_co_u32_e32 v10, vcc, v11, v10, vcc
	s_mov_b64 s[2:3], 0
	v_bfrev_b32_e32 v11, 1
.LBB124_3:                              ; =>This Inner Loop Header: Depth=1
	v_add_u32_e32 v3, v7, v5
	v_lshrrev_b32_e32 v3, 1, v3
	v_lshlrev_b64 v[14:15], 2, v[3:4]
	v_mov_b32_e32 v13, v4
	v_xad_u32 v12, v3, -1, v6
	v_lshlrev_b64 v[12:13], 2, v[12:13]
	v_add_co_u32_e32 v14, vcc, v2, v14
	v_addc_co_u32_e32 v15, vcc, v8, v15, vcc
	v_add_co_u32_e32 v12, vcc, v9, v12
	global_load_dword v14, v[14:15], off
	v_addc_co_u32_e32 v13, vcc, v10, v13, vcc
	global_load_dword v12, v[12:13], off
	v_add_u32_e32 v13, 1, v3
	s_waitcnt vmcnt(1)
	v_cmp_ne_u32_e32 vcc, s6, v14
	v_cndmask_b32_e32 v14, 0, v14, vcc
	s_waitcnt vmcnt(0)
	v_cmp_ne_u32_e32 vcc, s6, v12
	v_cndmask_b32_e32 v12, 0, v12, vcc
	v_cmp_lt_i32_e32 vcc, -1, v14
	v_cndmask_b32_e32 v15, -1, v11, vcc
	v_cmp_lt_i32_e32 vcc, -1, v12
	v_cndmask_b32_e32 v16, -1, v11, vcc
	v_xor_b32_e32 v14, v15, v14
	v_xor_b32_e32 v12, v16, v12
	v_cmp_gt_u32_e32 vcc, v12, v14
	v_cndmask_b32_e32 v7, v7, v3, vcc
	v_cndmask_b32_e32 v5, v13, v5, vcc
	v_cmp_ge_u32_e32 vcc, v5, v7
	s_or_b64 s[2:3], vcc, s[2:3]
	s_andn2_b64 exec, exec, s[2:3]
	s_cbranch_execnz .LBB124_3
; %bb.4:
	s_or_b64 exec, exec, s[2:3]
.LBB124_5:
	s_or_b64 exec, exec, s[0:1]
	s_load_dwordx2 s[0:1], s[4:5], 0x10
	v_add_u32_e32 v2, v5, v1
	v_mov_b32_e32 v1, 0
	v_lshlrev_b64 v[0:1], 2, v[0:1]
	s_waitcnt lgkmcnt(0)
	v_mov_b32_e32 v3, s1
	v_add_co_u32_e32 v0, vcc, s0, v0
	v_addc_co_u32_e32 v1, vcc, v3, v1, vcc
	global_store_dword v[0:1], v2, off
.LBB124_6:
	s_endpgm
	.section	.rodata,"a",@progbits
	.p2align	6, 0x0
	.amdhsa_kernel _ZN7rocprim17ROCPRIM_304000_NS6detail45device_block_merge_mergepath_partition_kernelINS1_37wrapped_merge_sort_block_merge_configINS0_14default_configEfN2at4cuda3cub6detail10OpaqueTypeILi8EEEEEPfjNS1_19radix_merge_compareILb1ELb0EfNS0_19identity_decomposerEEEEEvT0_T1_jPSH_T2_SH_
		.amdhsa_group_segment_fixed_size 0
		.amdhsa_private_segment_fixed_size 0
		.amdhsa_kernarg_size 32
		.amdhsa_user_sgpr_count 6
		.amdhsa_user_sgpr_private_segment_buffer 1
		.amdhsa_user_sgpr_dispatch_ptr 0
		.amdhsa_user_sgpr_queue_ptr 0
		.amdhsa_user_sgpr_kernarg_segment_ptr 1
		.amdhsa_user_sgpr_dispatch_id 0
		.amdhsa_user_sgpr_flat_scratch_init 0
		.amdhsa_user_sgpr_private_segment_size 0
		.amdhsa_uses_dynamic_stack 0
		.amdhsa_system_sgpr_private_segment_wavefront_offset 0
		.amdhsa_system_sgpr_workgroup_id_x 1
		.amdhsa_system_sgpr_workgroup_id_y 0
		.amdhsa_system_sgpr_workgroup_id_z 0
		.amdhsa_system_sgpr_workgroup_info 0
		.amdhsa_system_vgpr_workitem_id 0
		.amdhsa_next_free_vgpr 17
		.amdhsa_next_free_sgpr 7
		.amdhsa_reserve_vcc 1
		.amdhsa_reserve_flat_scratch 0
		.amdhsa_float_round_mode_32 0
		.amdhsa_float_round_mode_16_64 0
		.amdhsa_float_denorm_mode_32 3
		.amdhsa_float_denorm_mode_16_64 3
		.amdhsa_dx10_clamp 1
		.amdhsa_ieee_mode 1
		.amdhsa_fp16_overflow 0
		.amdhsa_exception_fp_ieee_invalid_op 0
		.amdhsa_exception_fp_denorm_src 0
		.amdhsa_exception_fp_ieee_div_zero 0
		.amdhsa_exception_fp_ieee_overflow 0
		.amdhsa_exception_fp_ieee_underflow 0
		.amdhsa_exception_fp_ieee_inexact 0
		.amdhsa_exception_int_div_zero 0
	.end_amdhsa_kernel
	.section	.text._ZN7rocprim17ROCPRIM_304000_NS6detail45device_block_merge_mergepath_partition_kernelINS1_37wrapped_merge_sort_block_merge_configINS0_14default_configEfN2at4cuda3cub6detail10OpaqueTypeILi8EEEEEPfjNS1_19radix_merge_compareILb1ELb0EfNS0_19identity_decomposerEEEEEvT0_T1_jPSH_T2_SH_,"axG",@progbits,_ZN7rocprim17ROCPRIM_304000_NS6detail45device_block_merge_mergepath_partition_kernelINS1_37wrapped_merge_sort_block_merge_configINS0_14default_configEfN2at4cuda3cub6detail10OpaqueTypeILi8EEEEEPfjNS1_19radix_merge_compareILb1ELb0EfNS0_19identity_decomposerEEEEEvT0_T1_jPSH_T2_SH_,comdat
.Lfunc_end124:
	.size	_ZN7rocprim17ROCPRIM_304000_NS6detail45device_block_merge_mergepath_partition_kernelINS1_37wrapped_merge_sort_block_merge_configINS0_14default_configEfN2at4cuda3cub6detail10OpaqueTypeILi8EEEEEPfjNS1_19radix_merge_compareILb1ELb0EfNS0_19identity_decomposerEEEEEvT0_T1_jPSH_T2_SH_, .Lfunc_end124-_ZN7rocprim17ROCPRIM_304000_NS6detail45device_block_merge_mergepath_partition_kernelINS1_37wrapped_merge_sort_block_merge_configINS0_14default_configEfN2at4cuda3cub6detail10OpaqueTypeILi8EEEEEPfjNS1_19radix_merge_compareILb1ELb0EfNS0_19identity_decomposerEEEEEvT0_T1_jPSH_T2_SH_
                                        ; -- End function
	.set _ZN7rocprim17ROCPRIM_304000_NS6detail45device_block_merge_mergepath_partition_kernelINS1_37wrapped_merge_sort_block_merge_configINS0_14default_configEfN2at4cuda3cub6detail10OpaqueTypeILi8EEEEEPfjNS1_19radix_merge_compareILb1ELb0EfNS0_19identity_decomposerEEEEEvT0_T1_jPSH_T2_SH_.num_vgpr, 17
	.set _ZN7rocprim17ROCPRIM_304000_NS6detail45device_block_merge_mergepath_partition_kernelINS1_37wrapped_merge_sort_block_merge_configINS0_14default_configEfN2at4cuda3cub6detail10OpaqueTypeILi8EEEEEPfjNS1_19radix_merge_compareILb1ELb0EfNS0_19identity_decomposerEEEEEvT0_T1_jPSH_T2_SH_.num_agpr, 0
	.set _ZN7rocprim17ROCPRIM_304000_NS6detail45device_block_merge_mergepath_partition_kernelINS1_37wrapped_merge_sort_block_merge_configINS0_14default_configEfN2at4cuda3cub6detail10OpaqueTypeILi8EEEEEPfjNS1_19radix_merge_compareILb1ELb0EfNS0_19identity_decomposerEEEEEvT0_T1_jPSH_T2_SH_.numbered_sgpr, 7
	.set _ZN7rocprim17ROCPRIM_304000_NS6detail45device_block_merge_mergepath_partition_kernelINS1_37wrapped_merge_sort_block_merge_configINS0_14default_configEfN2at4cuda3cub6detail10OpaqueTypeILi8EEEEEPfjNS1_19radix_merge_compareILb1ELb0EfNS0_19identity_decomposerEEEEEvT0_T1_jPSH_T2_SH_.num_named_barrier, 0
	.set _ZN7rocprim17ROCPRIM_304000_NS6detail45device_block_merge_mergepath_partition_kernelINS1_37wrapped_merge_sort_block_merge_configINS0_14default_configEfN2at4cuda3cub6detail10OpaqueTypeILi8EEEEEPfjNS1_19radix_merge_compareILb1ELb0EfNS0_19identity_decomposerEEEEEvT0_T1_jPSH_T2_SH_.private_seg_size, 0
	.set _ZN7rocprim17ROCPRIM_304000_NS6detail45device_block_merge_mergepath_partition_kernelINS1_37wrapped_merge_sort_block_merge_configINS0_14default_configEfN2at4cuda3cub6detail10OpaqueTypeILi8EEEEEPfjNS1_19radix_merge_compareILb1ELb0EfNS0_19identity_decomposerEEEEEvT0_T1_jPSH_T2_SH_.uses_vcc, 1
	.set _ZN7rocprim17ROCPRIM_304000_NS6detail45device_block_merge_mergepath_partition_kernelINS1_37wrapped_merge_sort_block_merge_configINS0_14default_configEfN2at4cuda3cub6detail10OpaqueTypeILi8EEEEEPfjNS1_19radix_merge_compareILb1ELb0EfNS0_19identity_decomposerEEEEEvT0_T1_jPSH_T2_SH_.uses_flat_scratch, 0
	.set _ZN7rocprim17ROCPRIM_304000_NS6detail45device_block_merge_mergepath_partition_kernelINS1_37wrapped_merge_sort_block_merge_configINS0_14default_configEfN2at4cuda3cub6detail10OpaqueTypeILi8EEEEEPfjNS1_19radix_merge_compareILb1ELb0EfNS0_19identity_decomposerEEEEEvT0_T1_jPSH_T2_SH_.has_dyn_sized_stack, 0
	.set _ZN7rocprim17ROCPRIM_304000_NS6detail45device_block_merge_mergepath_partition_kernelINS1_37wrapped_merge_sort_block_merge_configINS0_14default_configEfN2at4cuda3cub6detail10OpaqueTypeILi8EEEEEPfjNS1_19radix_merge_compareILb1ELb0EfNS0_19identity_decomposerEEEEEvT0_T1_jPSH_T2_SH_.has_recursion, 0
	.set _ZN7rocprim17ROCPRIM_304000_NS6detail45device_block_merge_mergepath_partition_kernelINS1_37wrapped_merge_sort_block_merge_configINS0_14default_configEfN2at4cuda3cub6detail10OpaqueTypeILi8EEEEEPfjNS1_19radix_merge_compareILb1ELb0EfNS0_19identity_decomposerEEEEEvT0_T1_jPSH_T2_SH_.has_indirect_call, 0
	.section	.AMDGPU.csdata,"",@progbits
; Kernel info:
; codeLenInByte = 416
; TotalNumSgprs: 11
; NumVgprs: 17
; ScratchSize: 0
; MemoryBound: 0
; FloatMode: 240
; IeeeMode: 1
; LDSByteSize: 0 bytes/workgroup (compile time only)
; SGPRBlocks: 1
; VGPRBlocks: 4
; NumSGPRsForWavesPerEU: 11
; NumVGPRsForWavesPerEU: 17
; Occupancy: 10
; WaveLimiterHint : 0
; COMPUTE_PGM_RSRC2:SCRATCH_EN: 0
; COMPUTE_PGM_RSRC2:USER_SGPR: 6
; COMPUTE_PGM_RSRC2:TRAP_HANDLER: 0
; COMPUTE_PGM_RSRC2:TGID_X_EN: 1
; COMPUTE_PGM_RSRC2:TGID_Y_EN: 0
; COMPUTE_PGM_RSRC2:TGID_Z_EN: 0
; COMPUTE_PGM_RSRC2:TIDIG_COMP_CNT: 0
	.section	.text._ZN7rocprim17ROCPRIM_304000_NS6detail35device_block_merge_mergepath_kernelINS1_37wrapped_merge_sort_block_merge_configINS0_14default_configEfN2at4cuda3cub6detail10OpaqueTypeILi8EEEEEPfSC_PSA_SD_jNS1_19radix_merge_compareILb1ELb0EfNS0_19identity_decomposerEEEEEvT0_T1_T2_T3_T4_SL_jT5_PKSL_NS1_7vsmem_tE,"axG",@progbits,_ZN7rocprim17ROCPRIM_304000_NS6detail35device_block_merge_mergepath_kernelINS1_37wrapped_merge_sort_block_merge_configINS0_14default_configEfN2at4cuda3cub6detail10OpaqueTypeILi8EEEEEPfSC_PSA_SD_jNS1_19radix_merge_compareILb1ELb0EfNS0_19identity_decomposerEEEEEvT0_T1_T2_T3_T4_SL_jT5_PKSL_NS1_7vsmem_tE,comdat
	.protected	_ZN7rocprim17ROCPRIM_304000_NS6detail35device_block_merge_mergepath_kernelINS1_37wrapped_merge_sort_block_merge_configINS0_14default_configEfN2at4cuda3cub6detail10OpaqueTypeILi8EEEEEPfSC_PSA_SD_jNS1_19radix_merge_compareILb1ELb0EfNS0_19identity_decomposerEEEEEvT0_T1_T2_T3_T4_SL_jT5_PKSL_NS1_7vsmem_tE ; -- Begin function _ZN7rocprim17ROCPRIM_304000_NS6detail35device_block_merge_mergepath_kernelINS1_37wrapped_merge_sort_block_merge_configINS0_14default_configEfN2at4cuda3cub6detail10OpaqueTypeILi8EEEEEPfSC_PSA_SD_jNS1_19radix_merge_compareILb1ELb0EfNS0_19identity_decomposerEEEEEvT0_T1_T2_T3_T4_SL_jT5_PKSL_NS1_7vsmem_tE
	.globl	_ZN7rocprim17ROCPRIM_304000_NS6detail35device_block_merge_mergepath_kernelINS1_37wrapped_merge_sort_block_merge_configINS0_14default_configEfN2at4cuda3cub6detail10OpaqueTypeILi8EEEEEPfSC_PSA_SD_jNS1_19radix_merge_compareILb1ELb0EfNS0_19identity_decomposerEEEEEvT0_T1_T2_T3_T4_SL_jT5_PKSL_NS1_7vsmem_tE
	.p2align	8
	.type	_ZN7rocprim17ROCPRIM_304000_NS6detail35device_block_merge_mergepath_kernelINS1_37wrapped_merge_sort_block_merge_configINS0_14default_configEfN2at4cuda3cub6detail10OpaqueTypeILi8EEEEEPfSC_PSA_SD_jNS1_19radix_merge_compareILb1ELb0EfNS0_19identity_decomposerEEEEEvT0_T1_T2_T3_T4_SL_jT5_PKSL_NS1_7vsmem_tE,@function
_ZN7rocprim17ROCPRIM_304000_NS6detail35device_block_merge_mergepath_kernelINS1_37wrapped_merge_sort_block_merge_configINS0_14default_configEfN2at4cuda3cub6detail10OpaqueTypeILi8EEEEEPfSC_PSA_SD_jNS1_19radix_merge_compareILb1ELb0EfNS0_19identity_decomposerEEEEEvT0_T1_T2_T3_T4_SL_jT5_PKSL_NS1_7vsmem_tE: ; @_ZN7rocprim17ROCPRIM_304000_NS6detail35device_block_merge_mergepath_kernelINS1_37wrapped_merge_sort_block_merge_configINS0_14default_configEfN2at4cuda3cub6detail10OpaqueTypeILi8EEEEEPfSC_PSA_SD_jNS1_19radix_merge_compareILb1ELb0EfNS0_19identity_decomposerEEEEEvT0_T1_T2_T3_T4_SL_jT5_PKSL_NS1_7vsmem_tE
; %bb.0:
	s_load_dwordx2 s[26:27], s[4:5], 0x40
	s_load_dwordx4 s[16:19], s[4:5], 0x20
	s_add_u32 s2, s4, 64
	s_addc_u32 s3, s5, 0
	s_waitcnt lgkmcnt(0)
	s_mul_i32 s0, s27, s8
	s_add_i32 s0, s0, s7
	s_mul_i32 s0, s0, s26
	s_add_i32 s0, s0, s6
	s_cmp_ge_u32 s0, s18
	s_cbranch_scc1 .LBB125_135
; %bb.1:
	s_load_dwordx8 s[8:15], s[4:5], 0x0
	s_load_dwordx2 s[18:19], s[4:5], 0x30
	s_lshr_b32 s27, s16, 10
	s_cmp_lg_u32 s0, s27
	s_mov_b32 s1, 0
	s_cselect_b64 s[20:21], -1, 0
	s_lshl_b64 s[4:5], s[0:1], 2
	s_waitcnt lgkmcnt(0)
	s_add_u32 s4, s18, s4
	s_addc_u32 s5, s19, s5
	s_load_dwordx2 s[22:23], s[4:5], 0x0
	s_lshr_b32 s4, s17, 9
	s_and_b32 s4, s4, 0x7ffffe
	s_sub_i32 s4, 0, s4
	s_and_b32 s5, s0, s4
	s_lshl_b32 s7, s5, 10
	s_lshl_b32 s18, s0, 10
	;; [unrolled: 1-line block ×3, first 2 shown]
	s_sub_i32 s19, s18, s7
	s_add_i32 s5, s5, s17
	s_add_i32 s19, s5, s19
	s_waitcnt lgkmcnt(0)
	s_sub_i32 s24, s19, s22
	s_sub_i32 s19, s19, s23
	;; [unrolled: 1-line block ×3, first 2 shown]
	s_min_u32 s24, s16, s24
	s_addk_i32 s19, 0x400
	s_or_b32 s4, s0, s4
	s_min_u32 s7, s16, s5
	s_add_i32 s5, s5, s17
	s_cmp_eq_u32 s4, -1
	s_cselect_b32 s4, s5, s19
	s_cselect_b32 s5, s7, s23
	s_min_u32 s4, s4, s16
	s_mov_b32 s23, s1
	s_sub_i32 s19, s5, s22
	s_sub_i32 s33, s4, s24
	s_lshl_b64 s[28:29], s[22:23], 2
	s_add_u32 s5, s8, s28
	s_mov_b32 s25, s1
	s_addc_u32 s7, s9, s29
	s_lshl_b64 s[28:29], s[24:25], 2
	s_add_u32 s4, s8, s28
	v_mov_b32_e32 v10, 0
	global_load_dword v1, v10, s[2:3] offset:14
	s_addc_u32 s8, s9, s29
	s_cmp_lt_u32 s6, s26
	s_cselect_b32 s1, 12, 18
	s_add_u32 s2, s2, s1
	s_addc_u32 s3, s3, 0
	global_load_ushort v2, v10, s[2:3]
	s_cmp_eq_u32 s0, s27
	v_cmp_gt_u32_e32 vcc, s19, v0
	v_lshlrev_b32_e32 v13, 2, v0
	s_waitcnt vmcnt(1)
	v_lshrrev_b32_e32 v3, 16, v1
	v_and_b32_e32 v1, 0xffff, v1
	v_mul_lo_u32 v1, v1, v3
	s_waitcnt vmcnt(0)
	v_mul_lo_u32 v11, v1, v2
	v_add_u32_e32 v9, v11, v0
	s_cbranch_scc1 .LBB125_3
; %bb.2:
	v_mov_b32_e32 v1, s7
	v_add_co_u32_e64 v3, s[0:1], s5, v13
	v_subrev_u32_e32 v2, s19, v0
	v_addc_co_u32_e64 v1, s[0:1], 0, v1, s[0:1]
	v_lshlrev_b32_e32 v2, 2, v2
	v_mov_b32_e32 v4, s8
	v_add_co_u32_e64 v5, s[0:1], s4, v2
	v_addc_co_u32_e64 v2, s[0:1], 0, v4, s[0:1]
	v_cndmask_b32_e32 v2, v2, v1, vcc
	v_cndmask_b32_e32 v1, v5, v3, vcc
	global_load_dword v1, v[1:2], off
	v_lshlrev_b64 v[2:3], 2, v[9:10]
	v_mov_b32_e32 v4, s7
	v_add_co_u32_e32 v5, vcc, s5, v2
	v_addc_co_u32_e32 v4, vcc, v4, v3, vcc
	v_subrev_co_u32_e32 v2, vcc, s19, v9
	v_mov_b32_e32 v3, v10
	v_lshlrev_b64 v[2:3], 2, v[2:3]
	v_mov_b32_e32 v6, s8
	v_add_co_u32_e64 v2, s[0:1], s4, v2
	v_addc_co_u32_e64 v3, s[0:1], v6, v3, s[0:1]
	v_cndmask_b32_e32 v3, v3, v4, vcc
	v_cndmask_b32_e32 v2, v2, v5, vcc
	v_add_u32_e32 v4, v9, v11
	v_mov_b32_e32 v5, v10
	v_lshlrev_b64 v[5:6], 2, v[4:5]
	global_load_dword v2, v[2:3], off
	v_mov_b32_e32 v3, s7
	v_add_co_u32_e32 v7, vcc, s5, v5
	v_addc_co_u32_e32 v3, vcc, v3, v6, vcc
	v_subrev_co_u32_e32 v5, vcc, s19, v4
	v_mov_b32_e32 v6, v10
	v_lshlrev_b64 v[5:6], 2, v[5:6]
	v_mov_b32_e32 v8, s8
	v_add_co_u32_e64 v5, s[0:1], s4, v5
	v_addc_co_u32_e64 v6, s[0:1], v8, v6, s[0:1]
	v_cndmask_b32_e32 v6, v6, v3, vcc
	v_cndmask_b32_e32 v5, v5, v7, vcc
	global_load_dword v3, v[5:6], off
	v_add_u32_e32 v5, v4, v11
	v_mov_b32_e32 v6, v10
	v_lshlrev_b64 v[6:7], 2, v[5:6]
	v_mov_b32_e32 v4, s7
	v_add_co_u32_e32 v8, vcc, s5, v6
	v_addc_co_u32_e32 v4, vcc, v4, v7, vcc
	v_subrev_co_u32_e32 v6, vcc, s19, v5
	v_mov_b32_e32 v7, v10
	v_lshlrev_b64 v[6:7], 2, v[6:7]
	v_mov_b32_e32 v12, s8
	v_add_co_u32_e64 v6, s[0:1], s4, v6
	v_addc_co_u32_e64 v7, s[0:1], v12, v7, s[0:1]
	v_cndmask_b32_e32 v7, v7, v4, vcc
	v_cndmask_b32_e32 v6, v6, v8, vcc
	global_load_dword v4, v[6:7], off
	v_add_u32_e32 v6, v5, v11
	v_mov_b32_e32 v7, v10
	v_lshlrev_b64 v[7:8], 2, v[6:7]
	;; [unrolled: 15-line block ×4, first 2 shown]
	v_mov_b32_e32 v12, s7
	v_add_co_u32_e32 v15, vcc, s5, v7
	v_addc_co_u32_e32 v12, vcc, v12, v8, vcc
	v_subrev_co_u32_e32 v7, vcc, s19, v14
	v_mov_b32_e32 v8, v10
	v_lshlrev_b64 v[7:8], 2, v[7:8]
	v_mov_b32_e32 v16, s8
	v_add_co_u32_e64 v7, s[0:1], s4, v7
	v_cndmask_b32_e32 v7, v7, v15, vcc
	v_add_u32_e32 v14, v14, v11
	v_mov_b32_e32 v15, v10
	v_addc_co_u32_e64 v8, s[0:1], v16, v8, s[0:1]
	v_lshlrev_b64 v[15:16], 2, v[14:15]
	v_cndmask_b32_e32 v8, v8, v12, vcc
	global_load_dword v7, v[7:8], off
	v_mov_b32_e32 v8, s7
	v_add_co_u32_e32 v12, vcc, s5, v15
	v_addc_co_u32_e32 v8, vcc, v8, v16, vcc
	v_subrev_co_u32_e32 v14, vcc, s19, v14
	v_mov_b32_e32 v15, v10
	v_lshlrev_b64 v[14:15], 2, v[14:15]
	v_mov_b32_e32 v10, s8
	v_add_co_u32_e64 v14, s[0:1], s4, v14
	v_addc_co_u32_e64 v10, s[0:1], v10, v15, s[0:1]
	v_cndmask_b32_e32 v15, v10, v8, vcc
	v_cndmask_b32_e32 v14, v14, v12, vcc
	global_load_dword v8, v[14:15], off
	s_add_i32 s17, s33, s19
	s_cbranch_execz .LBB125_4
	s_branch .LBB125_21
.LBB125_3:
                                        ; implicit-def: $vgpr1_vgpr2_vgpr3_vgpr4_vgpr5_vgpr6_vgpr7_vgpr8
                                        ; implicit-def: $sgpr17
.LBB125_4:
	s_add_i32 s17, s33, s19
	s_waitcnt vmcnt(7)
	v_mov_b32_e32 v1, 0
	v_cmp_gt_u32_e32 vcc, s17, v0
	s_waitcnt vmcnt(6)
	v_mov_b32_e32 v2, v1
	s_waitcnt vmcnt(5)
	v_mov_b32_e32 v3, v1
	;; [unrolled: 2-line block ×7, first 2 shown]
	s_and_saveexec_b64 s[0:1], vcc
	s_cbranch_execz .LBB125_6
; %bb.5:
	v_mov_b32_e32 v2, s7
	v_add_co_u32_e32 v4, vcc, s5, v13
	v_subrev_u32_e32 v3, s19, v0
	v_addc_co_u32_e32 v2, vcc, 0, v2, vcc
	v_lshlrev_b32_e32 v3, 2, v3
	v_mov_b32_e32 v5, s8
	v_add_co_u32_e32 v6, vcc, s4, v3
	v_addc_co_u32_e32 v3, vcc, 0, v5, vcc
	v_cmp_gt_u32_e32 vcc, s19, v0
	v_cndmask_b32_e32 v3, v3, v2, vcc
	v_cndmask_b32_e32 v2, v6, v4, vcc
	global_load_dword v14, v[2:3], off
	v_mov_b32_e32 v15, v1
	v_mov_b32_e32 v16, v1
	;; [unrolled: 1-line block ×7, first 2 shown]
	s_waitcnt vmcnt(0)
	v_mov_b32_e32 v1, v14
	v_mov_b32_e32 v2, v15
	;; [unrolled: 1-line block ×8, first 2 shown]
.LBB125_6:
	s_or_b64 exec, exec, s[0:1]
	v_cmp_gt_u32_e32 vcc, s17, v9
	s_and_saveexec_b64 s[2:3], vcc
	s_cbranch_execz .LBB125_8
; %bb.7:
	v_mov_b32_e32 v10, 0
	v_lshlrev_b64 v[14:15], 2, v[9:10]
	v_mov_b32_e32 v2, s7
	v_add_co_u32_e32 v12, vcc, s5, v14
	v_addc_co_u32_e32 v2, vcc, v2, v15, vcc
	v_subrev_co_u32_e32 v14, vcc, s19, v9
	v_mov_b32_e32 v15, v10
	v_lshlrev_b64 v[14:15], 2, v[14:15]
	v_mov_b32_e32 v10, s8
	v_add_co_u32_e64 v14, s[0:1], s4, v14
	v_addc_co_u32_e64 v10, s[0:1], v10, v15, s[0:1]
	v_cndmask_b32_e32 v15, v10, v2, vcc
	v_cndmask_b32_e32 v14, v14, v12, vcc
	global_load_dword v2, v[14:15], off
.LBB125_8:
	s_or_b64 exec, exec, s[2:3]
	v_add_u32_e32 v9, v9, v11
	v_cmp_gt_u32_e32 vcc, s17, v9
	s_and_saveexec_b64 s[2:3], vcc
	s_cbranch_execz .LBB125_10
; %bb.9:
	v_mov_b32_e32 v10, 0
	v_lshlrev_b64 v[14:15], 2, v[9:10]
	v_mov_b32_e32 v3, s7
	v_add_co_u32_e32 v12, vcc, s5, v14
	v_addc_co_u32_e32 v3, vcc, v3, v15, vcc
	v_subrev_co_u32_e32 v14, vcc, s19, v9
	v_mov_b32_e32 v15, v10
	v_lshlrev_b64 v[14:15], 2, v[14:15]
	v_mov_b32_e32 v10, s8
	v_add_co_u32_e64 v14, s[0:1], s4, v14
	v_addc_co_u32_e64 v10, s[0:1], v10, v15, s[0:1]
	v_cndmask_b32_e32 v15, v10, v3, vcc
	v_cndmask_b32_e32 v14, v14, v12, vcc
	global_load_dword v3, v[14:15], off
.LBB125_10:
	s_or_b64 exec, exec, s[2:3]
	v_add_u32_e32 v9, v9, v11
	v_cmp_gt_u32_e32 vcc, s17, v9
	s_and_saveexec_b64 s[2:3], vcc
	s_cbranch_execz .LBB125_12
; %bb.11:
	v_mov_b32_e32 v10, 0
	v_lshlrev_b64 v[14:15], 2, v[9:10]
	v_mov_b32_e32 v4, s7
	v_add_co_u32_e32 v12, vcc, s5, v14
	v_addc_co_u32_e32 v4, vcc, v4, v15, vcc
	v_subrev_co_u32_e32 v14, vcc, s19, v9
	v_mov_b32_e32 v15, v10
	v_lshlrev_b64 v[14:15], 2, v[14:15]
	v_mov_b32_e32 v10, s8
	v_add_co_u32_e64 v14, s[0:1], s4, v14
	v_addc_co_u32_e64 v10, s[0:1], v10, v15, s[0:1]
	v_cndmask_b32_e32 v15, v10, v4, vcc
	v_cndmask_b32_e32 v14, v14, v12, vcc
	global_load_dword v4, v[14:15], off
.LBB125_12:
	s_or_b64 exec, exec, s[2:3]
	v_add_u32_e32 v9, v9, v11
	v_cmp_gt_u32_e32 vcc, s17, v9
	s_and_saveexec_b64 s[2:3], vcc
	s_cbranch_execz .LBB125_14
; %bb.13:
	v_mov_b32_e32 v10, 0
	v_lshlrev_b64 v[14:15], 2, v[9:10]
	v_mov_b32_e32 v5, s7
	v_add_co_u32_e32 v12, vcc, s5, v14
	v_addc_co_u32_e32 v5, vcc, v5, v15, vcc
	v_subrev_co_u32_e32 v14, vcc, s19, v9
	v_mov_b32_e32 v15, v10
	v_lshlrev_b64 v[14:15], 2, v[14:15]
	v_mov_b32_e32 v10, s8
	v_add_co_u32_e64 v14, s[0:1], s4, v14
	v_addc_co_u32_e64 v10, s[0:1], v10, v15, s[0:1]
	v_cndmask_b32_e32 v15, v10, v5, vcc
	v_cndmask_b32_e32 v14, v14, v12, vcc
	global_load_dword v5, v[14:15], off
.LBB125_14:
	s_or_b64 exec, exec, s[2:3]
	v_add_u32_e32 v9, v9, v11
	v_cmp_gt_u32_e32 vcc, s17, v9
	s_and_saveexec_b64 s[2:3], vcc
	s_cbranch_execz .LBB125_16
; %bb.15:
	v_mov_b32_e32 v10, 0
	v_lshlrev_b64 v[14:15], 2, v[9:10]
	v_mov_b32_e32 v6, s7
	v_add_co_u32_e32 v12, vcc, s5, v14
	v_addc_co_u32_e32 v6, vcc, v6, v15, vcc
	v_subrev_co_u32_e32 v14, vcc, s19, v9
	v_mov_b32_e32 v15, v10
	v_lshlrev_b64 v[14:15], 2, v[14:15]
	v_mov_b32_e32 v10, s8
	v_add_co_u32_e64 v14, s[0:1], s4, v14
	v_addc_co_u32_e64 v10, s[0:1], v10, v15, s[0:1]
	v_cndmask_b32_e32 v15, v10, v6, vcc
	v_cndmask_b32_e32 v14, v14, v12, vcc
	global_load_dword v6, v[14:15], off
.LBB125_16:
	s_or_b64 exec, exec, s[2:3]
	v_add_u32_e32 v9, v9, v11
	v_cmp_gt_u32_e32 vcc, s17, v9
	s_and_saveexec_b64 s[2:3], vcc
	s_cbranch_execz .LBB125_18
; %bb.17:
	v_mov_b32_e32 v10, 0
	v_lshlrev_b64 v[14:15], 2, v[9:10]
	v_mov_b32_e32 v7, s7
	v_add_co_u32_e32 v12, vcc, s5, v14
	v_addc_co_u32_e32 v7, vcc, v7, v15, vcc
	v_subrev_co_u32_e32 v14, vcc, s19, v9
	v_mov_b32_e32 v15, v10
	v_lshlrev_b64 v[14:15], 2, v[14:15]
	v_mov_b32_e32 v10, s8
	v_add_co_u32_e64 v14, s[0:1], s4, v14
	v_addc_co_u32_e64 v10, s[0:1], v10, v15, s[0:1]
	v_cndmask_b32_e32 v15, v10, v7, vcc
	v_cndmask_b32_e32 v14, v14, v12, vcc
	global_load_dword v7, v[14:15], off
.LBB125_18:
	s_or_b64 exec, exec, s[2:3]
	v_add_u32_e32 v9, v9, v11
	v_cmp_gt_u32_e32 vcc, s17, v9
	s_and_saveexec_b64 s[2:3], vcc
	s_cbranch_execz .LBB125_20
; %bb.19:
	v_mov_b32_e32 v10, 0
	v_lshlrev_b64 v[11:12], 2, v[9:10]
	v_mov_b32_e32 v8, s7
	v_add_co_u32_e32 v11, vcc, s5, v11
	v_addc_co_u32_e32 v12, vcc, v8, v12, vcc
	v_subrev_co_u32_e32 v9, vcc, s19, v9
	v_lshlrev_b64 v[8:9], 2, v[9:10]
	v_mov_b32_e32 v10, s8
	v_add_co_u32_e64 v8, s[0:1], s4, v8
	v_addc_co_u32_e64 v9, s[0:1], v10, v9, s[0:1]
	v_cndmask_b32_e32 v9, v9, v12, vcc
	v_cndmask_b32_e32 v8, v8, v11, vcc
	global_load_dword v8, v[8:9], off
.LBB125_20:
	s_or_b64 exec, exec, s[2:3]
.LBB125_21:
	v_lshlrev_b32_e32 v14, 3, v0
	v_min_u32_e32 v10, s17, v14
	v_sub_u32_e64 v9, v10, s33 clamp
	v_min_u32_e32 v11, s19, v10
	v_cmp_lt_u32_e32 vcc, v9, v11
	s_waitcnt vmcnt(0)
	ds_write2st64_b32 v13, v1, v2 offset1:2
	ds_write2st64_b32 v13, v3, v4 offset0:4 offset1:6
	ds_write2st64_b32 v13, v5, v6 offset0:8 offset1:10
	;; [unrolled: 1-line block ×3, first 2 shown]
	s_waitcnt lgkmcnt(0)
	s_barrier
	s_and_saveexec_b64 s[0:1], vcc
	s_cbranch_execz .LBB125_25
; %bb.22:
	v_lshlrev_b32_e32 v12, 2, v10
	v_lshl_add_u32 v12, s19, 2, v12
	s_mov_b64 s[2:3], 0
	s_brev_b32 s4, 1
	v_bfrev_b32_e32 v15, 1
.LBB125_23:                             ; =>This Inner Loop Header: Depth=1
	v_add_u32_e32 v16, v11, v9
	v_lshrrev_b32_e32 v16, 1, v16
	v_not_b32_e32 v17, v16
	v_lshlrev_b32_e32 v18, 2, v16
	ds_read_b32 v18, v18
	v_lshl_add_u32 v17, v17, 2, v12
	ds_read_b32 v17, v17
	v_add_u32_e32 v19, 1, v16
	s_waitcnt lgkmcnt(1)
	v_cmp_ne_u32_e32 vcc, s4, v18
	v_cndmask_b32_e32 v18, 0, v18, vcc
	s_waitcnt lgkmcnt(0)
	v_cmp_ne_u32_e32 vcc, s4, v17
	v_cndmask_b32_e32 v17, 0, v17, vcc
	v_cmp_lt_i32_e32 vcc, -1, v18
	v_cndmask_b32_e32 v20, -1, v15, vcc
	v_cmp_lt_i32_e32 vcc, -1, v17
	v_cndmask_b32_e32 v21, -1, v15, vcc
	v_xor_b32_e32 v18, v20, v18
	v_xor_b32_e32 v17, v21, v17
	v_cmp_gt_u32_e32 vcc, v17, v18
	v_cndmask_b32_e32 v11, v11, v16, vcc
	v_cndmask_b32_e32 v9, v19, v9, vcc
	v_cmp_ge_u32_e32 vcc, v9, v11
	s_or_b64 s[2:3], vcc, s[2:3]
	s_andn2_b64 exec, exec, s[2:3]
	s_cbranch_execnz .LBB125_23
; %bb.24:
	s_or_b64 exec, exec, s[2:3]
.LBB125_25:
	s_or_b64 exec, exec, s[0:1]
	v_sub_u32_e32 v10, v10, v9
	v_add_u32_e32 v10, s19, v10
	v_cmp_ge_u32_e32 vcc, s19, v9
	v_cmp_ge_u32_e64 s[0:1], s17, v10
	s_or_b64 s[0:1], vcc, s[0:1]
	v_mov_b32_e32 v22, 0
	v_mov_b32_e32 v21, 0
	;; [unrolled: 1-line block ×8, first 2 shown]
	s_and_saveexec_b64 s[2:3], s[0:1]
	s_cbranch_execz .LBB125_61
; %bb.26:
	v_cmp_le_u32_e32 vcc, s19, v9
	v_cmp_gt_u32_e64 s[0:1], s19, v9
                                        ; implicit-def: $vgpr1
	s_and_saveexec_b64 s[4:5], s[0:1]
; %bb.27:
	v_lshlrev_b32_e32 v1, 2, v9
	ds_read_b32 v1, v1
; %bb.28:
	s_or_b64 exec, exec, s[4:5]
	v_cmp_le_u32_e64 s[4:5], s17, v10
	v_cmp_gt_u32_e64 s[0:1], s17, v10
                                        ; implicit-def: $vgpr2
	s_and_saveexec_b64 s[6:7], s[0:1]
; %bb.29:
	v_lshlrev_b32_e32 v2, 2, v10
	ds_read_b32 v2, v2
; %bb.30:
	s_or_b64 exec, exec, s[6:7]
	s_nor_b64 s[6:7], vcc, s[4:5]
	s_and_saveexec_b64 s[0:1], s[6:7]
	s_cbranch_execz .LBB125_32
; %bb.31:
	s_brev_b32 s6, 1
	s_waitcnt lgkmcnt(0)
	v_cmp_ne_u32_e32 vcc, s6, v2
	v_cndmask_b32_e32 v3, 0, v2, vcc
	v_cmp_ne_u32_e32 vcc, s6, v1
	v_cndmask_b32_e32 v4, 0, v1, vcc
	v_bfrev_b32_e32 v5, 1
	v_cmp_lt_i32_e32 vcc, -1, v3
	v_cndmask_b32_e32 v6, -1, v5, vcc
	v_cmp_lt_i32_e32 vcc, -1, v4
	v_cndmask_b32_e32 v5, -1, v5, vcc
	v_xor_b32_e32 v3, v6, v3
	v_xor_b32_e32 v4, v5, v4
	v_cmp_le_u32_e32 vcc, v3, v4
	s_andn2_b64 s[4:5], s[4:5], exec
	s_and_b64 s[6:7], vcc, exec
	s_or_b64 s[4:5], s[4:5], s[6:7]
.LBB125_32:
	s_or_b64 exec, exec, s[0:1]
	v_mov_b32_e32 v3, s17
	v_mov_b32_e32 v4, s19
	v_cndmask_b32_e64 v15, v10, v9, s[4:5]
	v_cndmask_b32_e64 v3, v3, v4, s[4:5]
	v_add_u32_e32 v5, 1, v15
	v_add_u32_e32 v3, -1, v3
	v_min_u32_e32 v3, v5, v3
	v_lshlrev_b32_e32 v3, 2, v3
	ds_read_b32 v4, v3
	v_cndmask_b32_e64 v7, v5, v10, s[4:5]
	v_cndmask_b32_e64 v8, v9, v5, s[4:5]
	v_cmp_gt_u32_e32 vcc, s17, v7
	s_mov_b64 s[0:1], -1
	s_waitcnt lgkmcnt(0)
	v_cndmask_b32_e64 v3, v4, v2, s[4:5]
	v_cndmask_b32_e64 v4, v1, v4, s[4:5]
	s_mov_b64 s[6:7], -1
	s_and_saveexec_b64 s[8:9], vcc
	s_cbranch_execz .LBB125_36
; %bb.33:
	v_cmp_gt_u32_e32 vcc, s19, v8
	s_mov_b64 s[26:27], 0
	s_and_saveexec_b64 s[6:7], vcc
	s_cbranch_execz .LBB125_35
; %bb.34:
	s_brev_b32 s26, 1
	v_cmp_ne_u32_e32 vcc, s26, v3
	v_cndmask_b32_e32 v5, 0, v3, vcc
	v_cmp_ne_u32_e32 vcc, s26, v4
	v_cndmask_b32_e32 v6, 0, v4, vcc
	v_bfrev_b32_e32 v9, 1
	v_cmp_lt_i32_e32 vcc, -1, v5
	v_cndmask_b32_e32 v10, -1, v9, vcc
	v_cmp_lt_i32_e32 vcc, -1, v6
	v_cndmask_b32_e32 v9, -1, v9, vcc
	v_xor_b32_e32 v5, v10, v5
	v_xor_b32_e32 v6, v9, v6
	v_cmp_le_u32_e32 vcc, v5, v6
	s_and_b64 s[26:27], vcc, exec
.LBB125_35:
	s_or_b64 exec, exec, s[6:7]
	s_orn2_b64 s[6:7], s[26:27], exec
.LBB125_36:
	s_or_b64 exec, exec, s[8:9]
	v_mov_b32_e32 v5, s17
	v_mov_b32_e32 v6, s19
	v_cndmask_b32_e64 v16, v7, v8, s[6:7]
	v_cndmask_b32_e64 v5, v5, v6, s[6:7]
	v_add_u32_e32 v10, 1, v16
	v_add_u32_e32 v5, -1, v5
	v_min_u32_e32 v5, v10, v5
	v_lshlrev_b32_e32 v5, 2, v5
	ds_read_b32 v6, v5
	v_cndmask_b32_e64 v9, v10, v7, s[6:7]
	v_cndmask_b32_e64 v10, v8, v10, s[6:7]
	v_cmp_gt_u32_e32 vcc, s17, v9
	s_waitcnt lgkmcnt(0)
	v_cndmask_b32_e64 v5, v6, v3, s[6:7]
	v_cndmask_b32_e64 v6, v4, v6, s[6:7]
	s_and_saveexec_b64 s[8:9], vcc
	s_cbranch_execz .LBB125_40
; %bb.37:
	v_cmp_gt_u32_e32 vcc, s19, v10
	s_mov_b64 s[26:27], 0
	s_and_saveexec_b64 s[0:1], vcc
	s_cbranch_execz .LBB125_39
; %bb.38:
	s_brev_b32 s26, 1
	v_cmp_ne_u32_e32 vcc, s26, v5
	v_cndmask_b32_e32 v7, 0, v5, vcc
	v_cmp_ne_u32_e32 vcc, s26, v6
	v_cndmask_b32_e32 v8, 0, v6, vcc
	v_bfrev_b32_e32 v11, 1
	v_cmp_lt_i32_e32 vcc, -1, v7
	v_cndmask_b32_e32 v12, -1, v11, vcc
	v_cmp_lt_i32_e32 vcc, -1, v8
	v_cndmask_b32_e32 v11, -1, v11, vcc
	v_xor_b32_e32 v7, v12, v7
	v_xor_b32_e32 v8, v11, v8
	v_cmp_le_u32_e32 vcc, v7, v8
	s_and_b64 s[26:27], vcc, exec
.LBB125_39:
	s_or_b64 exec, exec, s[0:1]
	s_orn2_b64 s[0:1], s[26:27], exec
.LBB125_40:
	s_or_b64 exec, exec, s[8:9]
	v_mov_b32_e32 v7, s17
	v_mov_b32_e32 v8, s19
	v_cndmask_b32_e64 v17, v9, v10, s[0:1]
	v_cndmask_b32_e64 v7, v7, v8, s[0:1]
	v_add_u32_e32 v12, 1, v17
	v_add_u32_e32 v7, -1, v7
	v_min_u32_e32 v7, v12, v7
	v_lshlrev_b32_e32 v7, 2, v7
	ds_read_b32 v8, v7
	v_cndmask_b32_e64 v11, v12, v9, s[0:1]
	v_cndmask_b32_e64 v12, v10, v12, s[0:1]
	v_cmp_gt_u32_e32 vcc, s17, v11
	s_mov_b64 s[8:9], -1
	s_waitcnt lgkmcnt(0)
	v_cndmask_b32_e64 v7, v8, v5, s[0:1]
	v_cndmask_b32_e64 v8, v6, v8, s[0:1]
	s_mov_b64 s[26:27], -1
	s_and_saveexec_b64 s[28:29], vcc
	s_cbranch_execz .LBB125_44
; %bb.41:
	v_cmp_gt_u32_e32 vcc, s19, v12
	s_mov_b64 s[30:31], 0
	s_and_saveexec_b64 s[26:27], vcc
	s_cbranch_execz .LBB125_43
; %bb.42:
	s_brev_b32 s30, 1
	v_cmp_ne_u32_e32 vcc, s30, v7
	v_cndmask_b32_e32 v9, 0, v7, vcc
	v_cmp_ne_u32_e32 vcc, s30, v8
	v_cndmask_b32_e32 v10, 0, v8, vcc
	v_bfrev_b32_e32 v18, 1
	v_cmp_lt_i32_e32 vcc, -1, v9
	v_cndmask_b32_e32 v19, -1, v18, vcc
	v_cmp_lt_i32_e32 vcc, -1, v10
	v_cndmask_b32_e32 v18, -1, v18, vcc
	v_xor_b32_e32 v9, v19, v9
	v_xor_b32_e32 v10, v18, v10
	v_cmp_le_u32_e32 vcc, v9, v10
	s_and_b64 s[30:31], vcc, exec
.LBB125_43:
	s_or_b64 exec, exec, s[26:27]
	s_orn2_b64 s[26:27], s[30:31], exec
.LBB125_44:
	s_or_b64 exec, exec, s[28:29]
	v_mov_b32_e32 v9, s17
	v_mov_b32_e32 v10, s19
	v_cndmask_b32_e64 v18, v11, v12, s[26:27]
	v_cndmask_b32_e64 v9, v9, v10, s[26:27]
	v_add_u32_e32 v19, 1, v18
	v_add_u32_e32 v9, -1, v9
	v_min_u32_e32 v9, v19, v9
	v_lshlrev_b32_e32 v9, 2, v9
	ds_read_b32 v10, v9
	v_cndmask_b32_e64 v20, v19, v11, s[26:27]
	v_cndmask_b32_e64 v22, v12, v19, s[26:27]
	v_cmp_gt_u32_e32 vcc, s17, v20
	s_waitcnt lgkmcnt(0)
	v_cndmask_b32_e64 v9, v10, v7, s[26:27]
	v_cndmask_b32_e64 v10, v8, v10, s[26:27]
	s_and_saveexec_b64 s[28:29], vcc
	s_cbranch_execz .LBB125_48
; %bb.45:
	v_cmp_gt_u32_e32 vcc, s19, v22
	s_mov_b64 s[30:31], 0
	s_and_saveexec_b64 s[8:9], vcc
	s_cbranch_execz .LBB125_47
; %bb.46:
	s_brev_b32 s30, 1
	v_cmp_ne_u32_e32 vcc, s30, v9
	v_cndmask_b32_e32 v11, 0, v9, vcc
	v_cmp_ne_u32_e32 vcc, s30, v10
	v_cndmask_b32_e32 v12, 0, v10, vcc
	v_bfrev_b32_e32 v19, 1
	v_cmp_lt_i32_e32 vcc, -1, v11
	v_cndmask_b32_e32 v21, -1, v19, vcc
	v_cmp_lt_i32_e32 vcc, -1, v12
	v_cndmask_b32_e32 v19, -1, v19, vcc
	v_xor_b32_e32 v11, v21, v11
	v_xor_b32_e32 v12, v19, v12
	v_cmp_le_u32_e32 vcc, v11, v12
	s_and_b64 s[30:31], vcc, exec
.LBB125_47:
	s_or_b64 exec, exec, s[8:9]
	s_orn2_b64 s[8:9], s[30:31], exec
.LBB125_48:
	s_or_b64 exec, exec, s[28:29]
	v_mov_b32_e32 v11, s17
	v_mov_b32_e32 v12, s19
	v_cndmask_b32_e64 v19, v20, v22, s[8:9]
	v_cndmask_b32_e64 v11, v11, v12, s[8:9]
	v_add_u32_e32 v23, 1, v19
	v_add_u32_e32 v11, -1, v11
	v_min_u32_e32 v11, v23, v11
	v_lshlrev_b32_e32 v11, 2, v11
	ds_read_b32 v12, v11
	v_cndmask_b32_e64 v21, v23, v20, s[8:9]
	v_cndmask_b32_e64 v24, v22, v23, s[8:9]
	v_cmp_gt_u32_e32 vcc, s17, v21
	s_mov_b64 s[28:29], -1
	s_waitcnt lgkmcnt(0)
	v_cndmask_b32_e64 v11, v12, v9, s[8:9]
	v_cndmask_b32_e64 v12, v10, v12, s[8:9]
	s_mov_b64 s[30:31], -1
	s_and_saveexec_b64 s[34:35], vcc
	s_cbranch_execz .LBB125_52
; %bb.49:
	v_cmp_gt_u32_e32 vcc, s19, v24
	s_mov_b64 s[36:37], 0
	s_and_saveexec_b64 s[30:31], vcc
	s_cbranch_execz .LBB125_51
; %bb.50:
	s_brev_b32 s36, 1
	v_cmp_ne_u32_e32 vcc, s36, v11
	v_cndmask_b32_e32 v20, 0, v11, vcc
	v_cmp_ne_u32_e32 vcc, s36, v12
	v_cndmask_b32_e32 v22, 0, v12, vcc
	v_bfrev_b32_e32 v23, 1
	v_cmp_lt_i32_e32 vcc, -1, v20
	v_cndmask_b32_e32 v25, -1, v23, vcc
	v_cmp_lt_i32_e32 vcc, -1, v22
	v_cndmask_b32_e32 v23, -1, v23, vcc
	v_xor_b32_e32 v20, v25, v20
	v_xor_b32_e32 v22, v23, v22
	v_cmp_le_u32_e32 vcc, v20, v22
	s_and_b64 s[36:37], vcc, exec
.LBB125_51:
	s_or_b64 exec, exec, s[30:31]
	s_orn2_b64 s[30:31], s[36:37], exec
.LBB125_52:
	s_or_b64 exec, exec, s[34:35]
	v_mov_b32_e32 v22, s17
	v_mov_b32_e32 v23, s19
	v_cndmask_b32_e64 v20, v21, v24, s[30:31]
	v_cndmask_b32_e64 v22, v22, v23, s[30:31]
	v_add_u32_e32 v26, 1, v20
	v_add_u32_e32 v22, -1, v22
	v_min_u32_e32 v22, v26, v22
	v_lshlrev_b32_e32 v22, 2, v22
	ds_read_b32 v23, v22
	v_cndmask_b32_e64 v25, v26, v21, s[30:31]
	v_cndmask_b32_e64 v24, v24, v26, s[30:31]
	v_cmp_gt_u32_e32 vcc, s17, v25
	s_waitcnt lgkmcnt(0)
	v_cndmask_b32_e64 v22, v23, v11, s[30:31]
	v_cndmask_b32_e64 v23, v12, v23, s[30:31]
	s_and_saveexec_b64 s[34:35], vcc
	s_cbranch_execz .LBB125_56
; %bb.53:
	v_cmp_gt_u32_e32 vcc, s19, v24
	s_mov_b64 s[36:37], 0
	s_and_saveexec_b64 s[28:29], vcc
	s_cbranch_execz .LBB125_55
; %bb.54:
	s_brev_b32 s36, 1
	v_cmp_ne_u32_e32 vcc, s36, v22
	v_cndmask_b32_e32 v21, 0, v22, vcc
	v_cmp_ne_u32_e32 vcc, s36, v23
	v_cndmask_b32_e32 v26, 0, v23, vcc
	v_bfrev_b32_e32 v27, 1
	v_cmp_lt_i32_e32 vcc, -1, v21
	v_cndmask_b32_e32 v28, -1, v27, vcc
	v_cmp_lt_i32_e32 vcc, -1, v26
	v_cndmask_b32_e32 v27, -1, v27, vcc
	v_xor_b32_e32 v21, v28, v21
	v_xor_b32_e32 v26, v27, v26
	v_cmp_le_u32_e32 vcc, v21, v26
	s_and_b64 s[36:37], vcc, exec
.LBB125_55:
	s_or_b64 exec, exec, s[28:29]
	s_orn2_b64 s[28:29], s[36:37], exec
.LBB125_56:
	s_or_b64 exec, exec, s[34:35]
	v_mov_b32_e32 v26, s17
	v_mov_b32_e32 v27, s19
	v_cndmask_b32_e64 v21, v25, v24, s[28:29]
	v_cndmask_b32_e64 v26, v26, v27, s[28:29]
	v_add_u32_e32 v28, 1, v21
	v_add_u32_e32 v26, -1, v26
	v_min_u32_e32 v26, v28, v26
	v_lshlrev_b32_e32 v26, 2, v26
	ds_read_b32 v27, v26
	v_cndmask_b32_e64 v25, v28, v25, s[28:29]
	v_cndmask_b32_e64 v24, v24, v28, s[28:29]
	v_cmp_gt_u32_e32 vcc, s17, v25
	s_mov_b64 s[36:37], -1
	s_waitcnt lgkmcnt(0)
	v_cndmask_b32_e64 v26, v27, v22, s[28:29]
	v_cndmask_b32_e64 v27, v23, v27, s[28:29]
	s_and_saveexec_b64 s[34:35], vcc
	s_cbranch_execz .LBB125_60
; %bb.57:
	v_cmp_gt_u32_e32 vcc, s19, v24
	s_mov_b64 s[38:39], 0
	s_and_saveexec_b64 s[36:37], vcc
	s_cbranch_execz .LBB125_59
; %bb.58:
	s_brev_b32 s38, 1
	v_cmp_ne_u32_e32 vcc, s38, v26
	v_cndmask_b32_e32 v28, 0, v26, vcc
	v_cmp_ne_u32_e32 vcc, s38, v27
	v_cndmask_b32_e32 v29, 0, v27, vcc
	v_bfrev_b32_e32 v30, 1
	v_cmp_lt_i32_e32 vcc, -1, v28
	v_cndmask_b32_e32 v31, -1, v30, vcc
	v_cmp_lt_i32_e32 vcc, -1, v29
	v_cndmask_b32_e32 v30, -1, v30, vcc
	v_xor_b32_e32 v28, v31, v28
	v_xor_b32_e32 v29, v30, v29
	v_cmp_le_u32_e32 vcc, v28, v29
	s_and_b64 s[38:39], vcc, exec
.LBB125_59:
	s_or_b64 exec, exec, s[36:37]
	s_orn2_b64 s[36:37], s[38:39], exec
.LBB125_60:
	s_or_b64 exec, exec, s[34:35]
	v_cndmask_b32_e64 v1, v2, v1, s[4:5]
	v_cndmask_b32_e64 v2, v3, v4, s[6:7]
	;; [unrolled: 1-line block ×9, first 2 shown]
.LBB125_61:
	s_or_b64 exec, exec, s[2:3]
	s_lshl_b64 s[0:1], s[22:23], 3
	s_add_u32 s8, s12, s0
	s_addc_u32 s9, s13, s1
	s_lshl_b64 s[0:1], s[24:25], 3
	s_add_u32 s6, s12, s0
	v_cndmask_b32_e64 v9, 0, 1, s[20:21]
	s_addc_u32 s7, s13, s1
	v_cmp_gt_u32_e64 s[4:5], s19, v0
	v_cmp_ne_u32_e64 s[0:1], 1, v9
	s_andn2_b64 vcc, exec, s[20:21]
	v_cmp_le_u32_e64 s[2:3], s19, v0
	s_barrier
	s_cbranch_vccnz .LBB125_63
; %bb.62:
	v_mov_b32_e32 v9, s9
	v_add_co_u32_e32 v11, vcc, s8, v14
	v_subrev_u32_e32 v10, s19, v0
	v_addc_co_u32_e32 v9, vcc, 0, v9, vcc
	v_lshlrev_b32_e32 v10, 3, v10
	v_mov_b32_e32 v12, s7
	v_add_co_u32_e32 v23, vcc, s6, v10
	v_addc_co_u32_e32 v10, vcc, 0, v12, vcc
	v_cndmask_b32_e64 v10, v10, v9, s[4:5]
	v_cndmask_b32_e64 v9, v23, v11, s[4:5]
	v_or_b32_e32 v11, 0x80, v0
	v_subrev_u32_e32 v12, s19, v11
	v_min_u32_e32 v12, v11, v12
	v_cmp_gt_u32_e32 vcc, s19, v11
	v_mov_b32_e32 v35, s6
	v_mov_b32_e32 v36, s8
	;; [unrolled: 1-line block ×4, first 2 shown]
	v_cndmask_b32_e32 v11, v35, v36, vcc
	v_lshlrev_b32_e32 v12, 3, v12
	v_cndmask_b32_e32 v23, v33, v34, vcc
	v_add_co_u32_e32 v11, vcc, v11, v12
	v_addc_co_u32_e32 v12, vcc, 0, v23, vcc
	v_or_b32_e32 v23, 0x100, v0
	v_subrev_u32_e32 v24, s19, v23
	v_min_u32_e32 v24, v23, v24
	v_cmp_gt_u32_e32 vcc, s19, v23
	v_cndmask_b32_e32 v23, v35, v36, vcc
	v_lshlrev_b32_e32 v24, 3, v24
	v_cndmask_b32_e32 v25, v33, v34, vcc
	v_add_co_u32_e32 v23, vcc, v23, v24
	v_addc_co_u32_e32 v24, vcc, 0, v25, vcc
	v_or_b32_e32 v25, 0x180, v0
	v_subrev_u32_e32 v26, s19, v25
	v_min_u32_e32 v26, v25, v26
	v_cmp_gt_u32_e32 vcc, s19, v25
	;; [unrolled: 9-line block ×5, first 2 shown]
	global_load_dwordx2 v[9:10], v[9:10], off
	v_cndmask_b32_e32 v31, v35, v36, vcc
	global_load_dwordx2 v[11:12], v[11:12], off
	v_lshlrev_b32_e32 v32, 3, v32
	global_load_dwordx2 v[23:24], v[23:24], off
	v_cndmask_b32_e32 v37, v33, v34, vcc
	global_load_dwordx2 v[25:26], v[25:26], off
	v_add_co_u32_e32 v31, vcc, v31, v32
	global_load_dwordx2 v[27:28], v[27:28], off
	v_addc_co_u32_e32 v32, vcc, 0, v37, vcc
	global_load_dwordx2 v[29:30], v[29:30], off
	s_nop 0
	global_load_dwordx2 v[31:32], v[31:32], off
	s_mov_b64 s[4:5], -1
	s_waitcnt vmcnt(5)
	ds_write2st64_b64 v14, v[9:10], v[11:12] offset1:2
	s_waitcnt vmcnt(3)
	ds_write2st64_b64 v14, v[23:24], v[25:26] offset0:4 offset1:6
	s_waitcnt vmcnt(1)
	ds_write2st64_b64 v14, v[27:28], v[29:30] offset0:8 offset1:10
	s_waitcnt vmcnt(0)
	ds_write_b64 v14, v[31:32] offset:6144
	v_or_b32_e32 v23, 0x380, v0
	v_subrev_u32_e32 v9, s19, v23
	v_cmp_gt_u32_e32 vcc, s19, v23
	v_min_u32_e32 v11, v23, v9
	v_cndmask_b32_e32 v10, v33, v34, vcc
	v_cndmask_b32_e32 v9, v35, v36, vcc
	s_cbranch_execz .LBB125_64
	s_branch .LBB125_97
.LBB125_63:
	s_mov_b64 s[4:5], 0
                                        ; implicit-def: $vgpr23
                                        ; implicit-def: $vgpr9_vgpr10
                                        ; implicit-def: $vgpr11
.LBB125_64:
	s_and_saveexec_b64 s[4:5], s[2:3]
	s_xor_b64 s[2:3], exec, s[4:5]
	s_cbranch_execz .LBB125_68
; %bb.65:
	v_subrev_u32_e32 v9, s19, v0
	v_cmp_gt_u32_e32 vcc, s33, v9
	s_and_saveexec_b64 s[4:5], vcc
	s_cbranch_execz .LBB125_67
; %bb.66:
	v_lshlrev_b32_e32 v9, 3, v9
	global_load_dwordx2 v[9:10], v9, s[6:7]
	s_waitcnt vmcnt(0)
	ds_write_b64 v14, v[9:10]
.LBB125_67:
	s_or_b64 exec, exec, s[4:5]
.LBB125_68:
	s_or_saveexec_b64 s[2:3], s[2:3]
	v_lshl_add_u32 v11, v0, 2, v13
	s_xor_b64 exec, exec, s[2:3]
	s_cbranch_execz .LBB125_70
; %bb.69:
	global_load_dwordx2 v[9:10], v14, s[8:9]
	s_waitcnt vmcnt(0)
	ds_write_b64 v11, v[9:10]
.LBB125_70:
	s_or_b64 exec, exec, s[2:3]
	v_or_b32_e32 v12, 0x80, v0
	v_mov_b32_e32 v9, s22
	v_cmp_le_u32_e32 vcc, s19, v12
	s_mov_b64 s[2:3], -1
	v_mov_b32_e32 v10, s23
	s_and_saveexec_b64 s[4:5], vcc
; %bb.71:
	v_subrev_u32_e32 v12, s19, v12
	v_cmp_gt_u32_e32 vcc, s33, v12
	v_mov_b32_e32 v9, s24
	v_mov_b32_e32 v10, s25
	s_orn2_b64 s[2:3], vcc, exec
; %bb.72:
	s_or_b64 exec, exec, s[4:5]
	s_and_saveexec_b64 s[4:5], s[2:3]
	s_cbranch_execz .LBB125_74
; %bb.73:
	v_lshlrev_b64 v[9:10], 3, v[9:10]
	v_mov_b32_e32 v23, s13
	v_add_co_u32_e32 v9, vcc, s12, v9
	v_addc_co_u32_e32 v10, vcc, v23, v10, vcc
	v_lshlrev_b32_e32 v12, 3, v12
	v_add_co_u32_e32 v9, vcc, v9, v12
	v_addc_co_u32_e32 v10, vcc, 0, v10, vcc
	global_load_dwordx2 v[9:10], v[9:10], off
	s_waitcnt vmcnt(0)
	ds_write_b64 v11, v[9:10] offset:1024
.LBB125_74:
	s_or_b64 exec, exec, s[4:5]
	v_or_b32_e32 v12, 0x100, v0
	v_mov_b32_e32 v9, s22
	v_cmp_le_u32_e32 vcc, s19, v12
	s_mov_b64 s[2:3], -1
	v_mov_b32_e32 v10, s23
	s_and_saveexec_b64 s[4:5], vcc
; %bb.75:
	v_subrev_u32_e32 v12, s19, v12
	v_cmp_gt_u32_e32 vcc, s33, v12
	v_mov_b32_e32 v9, s24
	v_mov_b32_e32 v10, s25
	s_orn2_b64 s[2:3], vcc, exec
; %bb.76:
	s_or_b64 exec, exec, s[4:5]
	s_and_saveexec_b64 s[4:5], s[2:3]
	s_cbranch_execz .LBB125_78
; %bb.77:
	v_lshlrev_b64 v[9:10], 3, v[9:10]
	v_mov_b32_e32 v23, s13
	v_add_co_u32_e32 v9, vcc, s12, v9
	v_addc_co_u32_e32 v10, vcc, v23, v10, vcc
	v_lshlrev_b32_e32 v12, 3, v12
	v_add_co_u32_e32 v9, vcc, v9, v12
	v_addc_co_u32_e32 v10, vcc, 0, v10, vcc
	global_load_dwordx2 v[9:10], v[9:10], off
	s_waitcnt vmcnt(0)
	ds_write_b64 v11, v[9:10] offset:2048
.LBB125_78:
	;; [unrolled: 29-line block ×6, first 2 shown]
	s_or_b64 exec, exec, s[4:5]
	v_or_b32_e32 v23, 0x380, v0
	v_mov_b32_e32 v10, s9
	v_cmp_le_u32_e32 vcc, s19, v23
	s_mov_b64 s[4:5], -1
	v_mov_b32_e32 v9, s8
	v_mov_b32_e32 v11, v23
	s_and_saveexec_b64 s[2:3], vcc
; %bb.95:
	v_subrev_u32_e32 v11, s19, v23
	v_cmp_gt_u32_e32 vcc, s33, v11
	v_mov_b32_e32 v10, s7
	v_mov_b32_e32 v9, s6
	s_orn2_b64 s[4:5], vcc, exec
; %bb.96:
	s_or_b64 exec, exec, s[2:3]
.LBB125_97:
	s_and_saveexec_b64 s[2:3], s[4:5]
	s_cbranch_execz .LBB125_99
; %bb.98:
	v_mov_b32_e32 v12, 0
	v_lshlrev_b64 v[11:12], 3, v[11:12]
	v_add_co_u32_e32 v9, vcc, v9, v11
	v_addc_co_u32_e32 v10, vcc, v10, v12, vcc
	global_load_dwordx2 v[9:10], v[9:10], off
	v_lshlrev_b32_e32 v11, 3, v23
	s_waitcnt vmcnt(0)
	ds_write_b64 v11, v[9:10]
.LBB125_99:
	s_or_b64 exec, exec, s[2:3]
	s_and_b64 vcc, exec, s[0:1]
	v_add_u32_e32 v9, s18, v14
	s_waitcnt lgkmcnt(0)
	s_barrier
	s_cbranch_vccnz .LBB125_101
; %bb.100:
	v_lshlrev_b32_e32 v23, 3, v15
	v_lshlrev_b32_e32 v25, 3, v16
	;; [unrolled: 1-line block ×7, first 2 shown]
	v_mov_b32_e32 v10, 0
	ds_read_b64 v[23:24], v23
	ds_read_b64 v[25:26], v25
	ds_read_b64 v[27:28], v27
	ds_read_b64 v[29:30], v29
	ds_read_b64 v[31:32], v31
	ds_read_b64 v[33:34], v33
	ds_read_b64 v[35:36], v35
	v_lshlrev_b64 v[11:12], 3, v[9:10]
	v_mov_b32_e32 v37, s15
	v_add_co_u32_e32 v11, vcc, s14, v11
	v_addc_co_u32_e32 v12, vcc, v37, v12, vcc
	s_mov_b64 s[0:1], -1
	s_waitcnt lgkmcnt(5)
	global_store_dwordx4 v[11:12], v[23:26], off
	s_waitcnt lgkmcnt(3)
	global_store_dwordx4 v[11:12], v[27:30], off offset:16
	s_waitcnt lgkmcnt(1)
	global_store_dwordx4 v[11:12], v[31:34], off offset:32
	s_waitcnt lgkmcnt(0)
	global_store_dwordx2 v[11:12], v[35:36], off offset:48
	s_cbranch_execz .LBB125_102
	s_branch .LBB125_119
.LBB125_101:
	s_mov_b64 s[0:1], 0
.LBB125_102:
	v_cmp_gt_u32_e32 vcc, s17, v14
	s_and_saveexec_b64 s[2:3], vcc
	s_cbranch_execz .LBB125_104
; %bb.103:
	v_lshlrev_b32_e32 v12, 3, v15
	v_mov_b32_e32 v10, 0
	ds_read_b64 v[23:24], v12
	v_lshlrev_b64 v[10:11], 3, v[9:10]
	v_mov_b32_e32 v15, s15
	v_add_co_u32_e32 v10, vcc, s14, v10
	v_addc_co_u32_e32 v11, vcc, v15, v11, vcc
	s_waitcnt lgkmcnt(0)
	global_store_dwordx2 v[10:11], v[23:24], off
.LBB125_104:
	s_or_b64 exec, exec, s[2:3]
	v_or_b32_e32 v10, 1, v14
	v_cmp_gt_u32_e32 vcc, s17, v10
	s_and_saveexec_b64 s[2:3], vcc
	s_cbranch_execz .LBB125_106
; %bb.105:
	v_lshlrev_b32_e32 v12, 3, v16
	v_mov_b32_e32 v10, 0
	ds_read_b64 v[15:16], v12
	v_lshlrev_b64 v[10:11], 3, v[9:10]
	v_mov_b32_e32 v23, s15
	v_add_co_u32_e32 v10, vcc, s14, v10
	v_addc_co_u32_e32 v11, vcc, v23, v11, vcc
	s_waitcnt lgkmcnt(0)
	global_store_dwordx2 v[10:11], v[15:16], off offset:8
.LBB125_106:
	s_or_b64 exec, exec, s[2:3]
	v_or_b32_e32 v10, 2, v14
	v_cmp_gt_u32_e32 vcc, s17, v10
	s_and_saveexec_b64 s[2:3], vcc
	s_cbranch_execz .LBB125_108
; %bb.107:
	v_lshlrev_b32_e32 v12, 3, v17
	v_mov_b32_e32 v10, 0
	ds_read_b64 v[15:16], v12
	v_lshlrev_b64 v[10:11], 3, v[9:10]
	v_mov_b32_e32 v17, s15
	v_add_co_u32_e32 v10, vcc, s14, v10
	v_addc_co_u32_e32 v11, vcc, v17, v11, vcc
	s_waitcnt lgkmcnt(0)
	global_store_dwordx2 v[10:11], v[15:16], off offset:16
.LBB125_108:
	;; [unrolled: 16-line block ×6, first 2 shown]
	s_or_b64 exec, exec, s[2:3]
	v_or_b32_e32 v10, 7, v14
	v_cmp_gt_u32_e32 vcc, s17, v10
	s_and_saveexec_b64 s[2:3], vcc
; %bb.117:
	v_mov_b32_e32 v10, 0
	s_or_b64 s[0:1], s[0:1], exec
; %bb.118:
	s_or_b64 exec, exec, s[2:3]
.LBB125_119:
	s_and_saveexec_b64 s[2:3], s[0:1]
	s_cbranch_execz .LBB125_121
; %bb.120:
	v_lshlrev_b32_e32 v11, 3, v22
	ds_read_b64 v[11:12], v11
	v_lshlrev_b64 v[9:10], 3, v[9:10]
	v_mov_b32_e32 v15, s15
	v_add_co_u32_e32 v9, vcc, s14, v9
	v_addc_co_u32_e32 v10, vcc, v15, v10, vcc
	s_waitcnt lgkmcnt(0)
	global_store_dwordx2 v[9:10], v[11:12], off offset:56
.LBB125_121:
	s_or_b64 exec, exec, s[2:3]
	v_and_b32_e32 v9, 0x7c, v0
	v_lshl_add_u32 v9, v14, 2, v9
	s_waitcnt vmcnt(0)
	s_barrier
	s_barrier
	ds_write2_b32 v9, v1, v2 offset1:1
	ds_write2_b32 v9, v3, v4 offset0:2 offset1:3
	ds_write2_b32 v9, v5, v6 offset0:4 offset1:5
	;; [unrolled: 1-line block ×3, first 2 shown]
	v_lshrrev_b32_e32 v1, 3, v0
	v_and_b32_e32 v1, 12, v1
	v_or_b32_e32 v10, 0x80, v0
	v_add_u32_e32 v11, v1, v13
	v_lshrrev_b32_e32 v1, 3, v10
	v_and_b32_e32 v1, 28, v1
	v_or_b32_e32 v9, 0x100, v0
	v_add_u32_e32 v12, v1, v13
	;; [unrolled: 4-line block ×5, first 2 shown]
	v_lshrrev_b32_e32 v1, 3, v5
	v_and_b32_e32 v1, 0x5c, v1
	v_or_b32_e32 v4, 0x300, v0
	s_mov_b32 s19, 0
	v_add_u32_e32 v17, v1, v13
	v_lshrrev_b32_e32 v1, 3, v4
	s_lshl_b64 s[0:1], s[18:19], 2
	v_and_b32_e32 v1, 0x6c, v1
	v_or_b32_e32 v3, 0x380, v0
	s_add_u32 s0, s10, s0
	v_add_u32_e32 v18, v1, v13
	v_lshrrev_b32_e32 v1, 3, v3
	s_addc_u32 s1, s11, s1
	v_and_b32_e32 v1, 0x7c, v1
	v_add_u32_e32 v19, v1, v13
	v_mov_b32_e32 v2, s1
	v_add_co_u32_e32 v1, vcc, s0, v13
	v_addc_co_u32_e32 v2, vcc, 0, v2, vcc
	s_and_b64 vcc, exec, s[20:21]
	s_waitcnt lgkmcnt(0)
	s_cbranch_vccz .LBB125_123
; %bb.122:
	s_barrier
	ds_read_b32 v13, v11
	ds_read_b32 v20, v12 offset:512
	ds_read_b32 v21, v14 offset:1024
	;; [unrolled: 1-line block ×7, first 2 shown]
	s_waitcnt lgkmcnt(7)
	global_store_dword v[1:2], v13, off
	s_waitcnt lgkmcnt(6)
	global_store_dword v[1:2], v20, off offset:512
	s_waitcnt lgkmcnt(5)
	global_store_dword v[1:2], v21, off offset:1024
	;; [unrolled: 2-line block ×6, first 2 shown]
	s_mov_b64 s[0:1], -1
	s_cbranch_execz .LBB125_124
	s_branch .LBB125_133
.LBB125_123:
	s_mov_b64 s[0:1], 0
                                        ; implicit-def: $vgpr7
.LBB125_124:
	s_waitcnt vmcnt(0) lgkmcnt(0)
	s_barrier
	ds_read_b32 v21, v12 offset:512
	ds_read_b32 v20, v14 offset:1024
	;; [unrolled: 1-line block ×7, first 2 shown]
	s_sub_i32 s2, s16, s18
	v_cmp_gt_u32_e32 vcc, s2, v0
	s_and_saveexec_b64 s[0:1], vcc
	s_cbranch_execnz .LBB125_136
; %bb.125:
	s_or_b64 exec, exec, s[0:1]
	v_cmp_gt_u32_e32 vcc, s2, v10
	s_and_saveexec_b64 s[0:1], vcc
	s_cbranch_execnz .LBB125_137
.LBB125_126:
	s_or_b64 exec, exec, s[0:1]
	v_cmp_gt_u32_e32 vcc, s2, v9
	s_and_saveexec_b64 s[0:1], vcc
	s_cbranch_execnz .LBB125_138
.LBB125_127:
	s_or_b64 exec, exec, s[0:1]
	v_cmp_gt_u32_e32 vcc, s2, v8
	s_and_saveexec_b64 s[0:1], vcc
	s_cbranch_execnz .LBB125_139
.LBB125_128:
	s_or_b64 exec, exec, s[0:1]
	v_cmp_gt_u32_e32 vcc, s2, v6
	s_and_saveexec_b64 s[0:1], vcc
	s_cbranch_execnz .LBB125_140
.LBB125_129:
	s_or_b64 exec, exec, s[0:1]
	v_cmp_gt_u32_e32 vcc, s2, v5
	s_and_saveexec_b64 s[0:1], vcc
	s_cbranch_execnz .LBB125_141
.LBB125_130:
	s_or_b64 exec, exec, s[0:1]
	v_cmp_gt_u32_e32 vcc, s2, v4
	s_and_saveexec_b64 s[0:1], vcc
	s_cbranch_execz .LBB125_132
.LBB125_131:
	s_waitcnt lgkmcnt(1)
	global_store_dword v[1:2], v12, off offset:3072
.LBB125_132:
	s_or_b64 exec, exec, s[0:1]
	v_cmp_gt_u32_e64 s[0:1], s2, v3
.LBB125_133:
	s_and_saveexec_b64 s[2:3], s[0:1]
	s_cbranch_execz .LBB125_135
; %bb.134:
	s_waitcnt lgkmcnt(0)
	global_store_dword v[1:2], v7, off offset:3584
.LBB125_135:
	s_endpgm
.LBB125_136:
	ds_read_b32 v0, v11
	s_waitcnt lgkmcnt(0)
	global_store_dword v[1:2], v0, off
	s_or_b64 exec, exec, s[0:1]
	v_cmp_gt_u32_e32 vcc, s2, v10
	s_and_saveexec_b64 s[0:1], vcc
	s_cbranch_execz .LBB125_126
.LBB125_137:
	s_waitcnt lgkmcnt(6)
	global_store_dword v[1:2], v21, off offset:512
	s_or_b64 exec, exec, s[0:1]
	v_cmp_gt_u32_e32 vcc, s2, v9
	s_and_saveexec_b64 s[0:1], vcc
	s_cbranch_execz .LBB125_127
.LBB125_138:
	s_waitcnt lgkmcnt(5)
	global_store_dword v[1:2], v20, off offset:1024
	s_or_b64 exec, exec, s[0:1]
	v_cmp_gt_u32_e32 vcc, s2, v8
	s_and_saveexec_b64 s[0:1], vcc
	s_cbranch_execz .LBB125_128
.LBB125_139:
	s_waitcnt lgkmcnt(4)
	global_store_dword v[1:2], v15, off offset:1536
	s_or_b64 exec, exec, s[0:1]
	v_cmp_gt_u32_e32 vcc, s2, v6
	s_and_saveexec_b64 s[0:1], vcc
	s_cbranch_execz .LBB125_129
.LBB125_140:
	s_waitcnt lgkmcnt(3)
	global_store_dword v[1:2], v14, off offset:2048
	s_or_b64 exec, exec, s[0:1]
	v_cmp_gt_u32_e32 vcc, s2, v5
	s_and_saveexec_b64 s[0:1], vcc
	s_cbranch_execz .LBB125_130
.LBB125_141:
	s_waitcnt lgkmcnt(2)
	global_store_dword v[1:2], v13, off offset:2560
	s_or_b64 exec, exec, s[0:1]
	v_cmp_gt_u32_e32 vcc, s2, v4
	s_and_saveexec_b64 s[0:1], vcc
	s_cbranch_execnz .LBB125_131
	s_branch .LBB125_132
	.section	.rodata,"a",@progbits
	.p2align	6, 0x0
	.amdhsa_kernel _ZN7rocprim17ROCPRIM_304000_NS6detail35device_block_merge_mergepath_kernelINS1_37wrapped_merge_sort_block_merge_configINS0_14default_configEfN2at4cuda3cub6detail10OpaqueTypeILi8EEEEEPfSC_PSA_SD_jNS1_19radix_merge_compareILb1ELb0EfNS0_19identity_decomposerEEEEEvT0_T1_T2_T3_T4_SL_jT5_PKSL_NS1_7vsmem_tE
		.amdhsa_group_segment_fixed_size 8208
		.amdhsa_private_segment_fixed_size 0
		.amdhsa_kernarg_size 320
		.amdhsa_user_sgpr_count 6
		.amdhsa_user_sgpr_private_segment_buffer 1
		.amdhsa_user_sgpr_dispatch_ptr 0
		.amdhsa_user_sgpr_queue_ptr 0
		.amdhsa_user_sgpr_kernarg_segment_ptr 1
		.amdhsa_user_sgpr_dispatch_id 0
		.amdhsa_user_sgpr_flat_scratch_init 0
		.amdhsa_user_sgpr_private_segment_size 0
		.amdhsa_uses_dynamic_stack 0
		.amdhsa_system_sgpr_private_segment_wavefront_offset 0
		.amdhsa_system_sgpr_workgroup_id_x 1
		.amdhsa_system_sgpr_workgroup_id_y 1
		.amdhsa_system_sgpr_workgroup_id_z 1
		.amdhsa_system_sgpr_workgroup_info 0
		.amdhsa_system_vgpr_workitem_id 0
		.amdhsa_next_free_vgpr 49
		.amdhsa_next_free_sgpr 98
		.amdhsa_reserve_vcc 1
		.amdhsa_reserve_flat_scratch 0
		.amdhsa_float_round_mode_32 0
		.amdhsa_float_round_mode_16_64 0
		.amdhsa_float_denorm_mode_32 3
		.amdhsa_float_denorm_mode_16_64 3
		.amdhsa_dx10_clamp 1
		.amdhsa_ieee_mode 1
		.amdhsa_fp16_overflow 0
		.amdhsa_exception_fp_ieee_invalid_op 0
		.amdhsa_exception_fp_denorm_src 0
		.amdhsa_exception_fp_ieee_div_zero 0
		.amdhsa_exception_fp_ieee_overflow 0
		.amdhsa_exception_fp_ieee_underflow 0
		.amdhsa_exception_fp_ieee_inexact 0
		.amdhsa_exception_int_div_zero 0
	.end_amdhsa_kernel
	.section	.text._ZN7rocprim17ROCPRIM_304000_NS6detail35device_block_merge_mergepath_kernelINS1_37wrapped_merge_sort_block_merge_configINS0_14default_configEfN2at4cuda3cub6detail10OpaqueTypeILi8EEEEEPfSC_PSA_SD_jNS1_19radix_merge_compareILb1ELb0EfNS0_19identity_decomposerEEEEEvT0_T1_T2_T3_T4_SL_jT5_PKSL_NS1_7vsmem_tE,"axG",@progbits,_ZN7rocprim17ROCPRIM_304000_NS6detail35device_block_merge_mergepath_kernelINS1_37wrapped_merge_sort_block_merge_configINS0_14default_configEfN2at4cuda3cub6detail10OpaqueTypeILi8EEEEEPfSC_PSA_SD_jNS1_19radix_merge_compareILb1ELb0EfNS0_19identity_decomposerEEEEEvT0_T1_T2_T3_T4_SL_jT5_PKSL_NS1_7vsmem_tE,comdat
.Lfunc_end125:
	.size	_ZN7rocprim17ROCPRIM_304000_NS6detail35device_block_merge_mergepath_kernelINS1_37wrapped_merge_sort_block_merge_configINS0_14default_configEfN2at4cuda3cub6detail10OpaqueTypeILi8EEEEEPfSC_PSA_SD_jNS1_19radix_merge_compareILb1ELb0EfNS0_19identity_decomposerEEEEEvT0_T1_T2_T3_T4_SL_jT5_PKSL_NS1_7vsmem_tE, .Lfunc_end125-_ZN7rocprim17ROCPRIM_304000_NS6detail35device_block_merge_mergepath_kernelINS1_37wrapped_merge_sort_block_merge_configINS0_14default_configEfN2at4cuda3cub6detail10OpaqueTypeILi8EEEEEPfSC_PSA_SD_jNS1_19radix_merge_compareILb1ELb0EfNS0_19identity_decomposerEEEEEvT0_T1_T2_T3_T4_SL_jT5_PKSL_NS1_7vsmem_tE
                                        ; -- End function
	.set _ZN7rocprim17ROCPRIM_304000_NS6detail35device_block_merge_mergepath_kernelINS1_37wrapped_merge_sort_block_merge_configINS0_14default_configEfN2at4cuda3cub6detail10OpaqueTypeILi8EEEEEPfSC_PSA_SD_jNS1_19radix_merge_compareILb1ELb0EfNS0_19identity_decomposerEEEEEvT0_T1_T2_T3_T4_SL_jT5_PKSL_NS1_7vsmem_tE.num_vgpr, 38
	.set _ZN7rocprim17ROCPRIM_304000_NS6detail35device_block_merge_mergepath_kernelINS1_37wrapped_merge_sort_block_merge_configINS0_14default_configEfN2at4cuda3cub6detail10OpaqueTypeILi8EEEEEPfSC_PSA_SD_jNS1_19radix_merge_compareILb1ELb0EfNS0_19identity_decomposerEEEEEvT0_T1_T2_T3_T4_SL_jT5_PKSL_NS1_7vsmem_tE.num_agpr, 0
	.set _ZN7rocprim17ROCPRIM_304000_NS6detail35device_block_merge_mergepath_kernelINS1_37wrapped_merge_sort_block_merge_configINS0_14default_configEfN2at4cuda3cub6detail10OpaqueTypeILi8EEEEEPfSC_PSA_SD_jNS1_19radix_merge_compareILb1ELb0EfNS0_19identity_decomposerEEEEEvT0_T1_T2_T3_T4_SL_jT5_PKSL_NS1_7vsmem_tE.numbered_sgpr, 40
	.set _ZN7rocprim17ROCPRIM_304000_NS6detail35device_block_merge_mergepath_kernelINS1_37wrapped_merge_sort_block_merge_configINS0_14default_configEfN2at4cuda3cub6detail10OpaqueTypeILi8EEEEEPfSC_PSA_SD_jNS1_19radix_merge_compareILb1ELb0EfNS0_19identity_decomposerEEEEEvT0_T1_T2_T3_T4_SL_jT5_PKSL_NS1_7vsmem_tE.num_named_barrier, 0
	.set _ZN7rocprim17ROCPRIM_304000_NS6detail35device_block_merge_mergepath_kernelINS1_37wrapped_merge_sort_block_merge_configINS0_14default_configEfN2at4cuda3cub6detail10OpaqueTypeILi8EEEEEPfSC_PSA_SD_jNS1_19radix_merge_compareILb1ELb0EfNS0_19identity_decomposerEEEEEvT0_T1_T2_T3_T4_SL_jT5_PKSL_NS1_7vsmem_tE.private_seg_size, 0
	.set _ZN7rocprim17ROCPRIM_304000_NS6detail35device_block_merge_mergepath_kernelINS1_37wrapped_merge_sort_block_merge_configINS0_14default_configEfN2at4cuda3cub6detail10OpaqueTypeILi8EEEEEPfSC_PSA_SD_jNS1_19radix_merge_compareILb1ELb0EfNS0_19identity_decomposerEEEEEvT0_T1_T2_T3_T4_SL_jT5_PKSL_NS1_7vsmem_tE.uses_vcc, 1
	.set _ZN7rocprim17ROCPRIM_304000_NS6detail35device_block_merge_mergepath_kernelINS1_37wrapped_merge_sort_block_merge_configINS0_14default_configEfN2at4cuda3cub6detail10OpaqueTypeILi8EEEEEPfSC_PSA_SD_jNS1_19radix_merge_compareILb1ELb0EfNS0_19identity_decomposerEEEEEvT0_T1_T2_T3_T4_SL_jT5_PKSL_NS1_7vsmem_tE.uses_flat_scratch, 0
	.set _ZN7rocprim17ROCPRIM_304000_NS6detail35device_block_merge_mergepath_kernelINS1_37wrapped_merge_sort_block_merge_configINS0_14default_configEfN2at4cuda3cub6detail10OpaqueTypeILi8EEEEEPfSC_PSA_SD_jNS1_19radix_merge_compareILb1ELb0EfNS0_19identity_decomposerEEEEEvT0_T1_T2_T3_T4_SL_jT5_PKSL_NS1_7vsmem_tE.has_dyn_sized_stack, 0
	.set _ZN7rocprim17ROCPRIM_304000_NS6detail35device_block_merge_mergepath_kernelINS1_37wrapped_merge_sort_block_merge_configINS0_14default_configEfN2at4cuda3cub6detail10OpaqueTypeILi8EEEEEPfSC_PSA_SD_jNS1_19radix_merge_compareILb1ELb0EfNS0_19identity_decomposerEEEEEvT0_T1_T2_T3_T4_SL_jT5_PKSL_NS1_7vsmem_tE.has_recursion, 0
	.set _ZN7rocprim17ROCPRIM_304000_NS6detail35device_block_merge_mergepath_kernelINS1_37wrapped_merge_sort_block_merge_configINS0_14default_configEfN2at4cuda3cub6detail10OpaqueTypeILi8EEEEEPfSC_PSA_SD_jNS1_19radix_merge_compareILb1ELb0EfNS0_19identity_decomposerEEEEEvT0_T1_T2_T3_T4_SL_jT5_PKSL_NS1_7vsmem_tE.has_indirect_call, 0
	.section	.AMDGPU.csdata,"",@progbits
; Kernel info:
; codeLenInByte = 6652
; TotalNumSgprs: 44
; NumVgprs: 38
; ScratchSize: 0
; MemoryBound: 0
; FloatMode: 240
; IeeeMode: 1
; LDSByteSize: 8208 bytes/workgroup (compile time only)
; SGPRBlocks: 12
; VGPRBlocks: 12
; NumSGPRsForWavesPerEU: 102
; NumVGPRsForWavesPerEU: 49
; Occupancy: 4
; WaveLimiterHint : 1
; COMPUTE_PGM_RSRC2:SCRATCH_EN: 0
; COMPUTE_PGM_RSRC2:USER_SGPR: 6
; COMPUTE_PGM_RSRC2:TRAP_HANDLER: 0
; COMPUTE_PGM_RSRC2:TGID_X_EN: 1
; COMPUTE_PGM_RSRC2:TGID_Y_EN: 1
; COMPUTE_PGM_RSRC2:TGID_Z_EN: 1
; COMPUTE_PGM_RSRC2:TIDIG_COMP_CNT: 0
	.section	.text._ZN7rocprim17ROCPRIM_304000_NS6detail33device_block_merge_oddeven_kernelINS1_37wrapped_merge_sort_block_merge_configINS0_14default_configEfN2at4cuda3cub6detail10OpaqueTypeILi8EEEEEPfSC_PSA_SD_jNS1_19radix_merge_compareILb1ELb0EfNS0_19identity_decomposerEEEEEvT0_T1_T2_T3_T4_SL_T5_,"axG",@progbits,_ZN7rocprim17ROCPRIM_304000_NS6detail33device_block_merge_oddeven_kernelINS1_37wrapped_merge_sort_block_merge_configINS0_14default_configEfN2at4cuda3cub6detail10OpaqueTypeILi8EEEEEPfSC_PSA_SD_jNS1_19radix_merge_compareILb1ELb0EfNS0_19identity_decomposerEEEEEvT0_T1_T2_T3_T4_SL_T5_,comdat
	.protected	_ZN7rocprim17ROCPRIM_304000_NS6detail33device_block_merge_oddeven_kernelINS1_37wrapped_merge_sort_block_merge_configINS0_14default_configEfN2at4cuda3cub6detail10OpaqueTypeILi8EEEEEPfSC_PSA_SD_jNS1_19radix_merge_compareILb1ELb0EfNS0_19identity_decomposerEEEEEvT0_T1_T2_T3_T4_SL_T5_ ; -- Begin function _ZN7rocprim17ROCPRIM_304000_NS6detail33device_block_merge_oddeven_kernelINS1_37wrapped_merge_sort_block_merge_configINS0_14default_configEfN2at4cuda3cub6detail10OpaqueTypeILi8EEEEEPfSC_PSA_SD_jNS1_19radix_merge_compareILb1ELb0EfNS0_19identity_decomposerEEEEEvT0_T1_T2_T3_T4_SL_T5_
	.globl	_ZN7rocprim17ROCPRIM_304000_NS6detail33device_block_merge_oddeven_kernelINS1_37wrapped_merge_sort_block_merge_configINS0_14default_configEfN2at4cuda3cub6detail10OpaqueTypeILi8EEEEEPfSC_PSA_SD_jNS1_19radix_merge_compareILb1ELb0EfNS0_19identity_decomposerEEEEEvT0_T1_T2_T3_T4_SL_T5_
	.p2align	8
	.type	_ZN7rocprim17ROCPRIM_304000_NS6detail33device_block_merge_oddeven_kernelINS1_37wrapped_merge_sort_block_merge_configINS0_14default_configEfN2at4cuda3cub6detail10OpaqueTypeILi8EEEEEPfSC_PSA_SD_jNS1_19radix_merge_compareILb1ELb0EfNS0_19identity_decomposerEEEEEvT0_T1_T2_T3_T4_SL_T5_,@function
_ZN7rocprim17ROCPRIM_304000_NS6detail33device_block_merge_oddeven_kernelINS1_37wrapped_merge_sort_block_merge_configINS0_14default_configEfN2at4cuda3cub6detail10OpaqueTypeILi8EEEEEPfSC_PSA_SD_jNS1_19radix_merge_compareILb1ELb0EfNS0_19identity_decomposerEEEEEvT0_T1_T2_T3_T4_SL_T5_: ; @_ZN7rocprim17ROCPRIM_304000_NS6detail33device_block_merge_oddeven_kernelINS1_37wrapped_merge_sort_block_merge_configINS0_14default_configEfN2at4cuda3cub6detail10OpaqueTypeILi8EEEEEPfSC_PSA_SD_jNS1_19radix_merge_compareILb1ELb0EfNS0_19identity_decomposerEEEEEvT0_T1_T2_T3_T4_SL_T5_
; %bb.0:
	s_load_dwordx2 s[18:19], s[4:5], 0x20
	s_waitcnt lgkmcnt(0)
	s_lshr_b32 s0, s18, 8
	s_cmp_eq_u32 s6, s0
	s_cselect_b64 s[16:17], -1, 0
	s_cmp_lg_u32 s6, s0
	s_cselect_b64 s[0:1], -1, 0
	s_lshl_b32 s20, s6, 8
	s_sub_i32 s2, s18, s20
	v_cmp_gt_u32_e64 s[2:3], s2, v0
	s_or_b64 s[0:1], s[0:1], s[2:3]
	s_and_saveexec_b64 s[8:9], s[0:1]
	s_cbranch_execz .LBB126_24
; %bb.1:
	s_load_dwordx8 s[8:15], s[4:5], 0x0
	s_mov_b32 s21, 0
	s_lshl_b64 s[0:1], s[20:21], 2
	v_lshlrev_b32_e32 v4, 3, v0
	v_lshlrev_b32_e32 v3, 2, v0
	s_waitcnt lgkmcnt(0)
	s_add_u32 s0, s8, s0
	s_addc_u32 s1, s9, s1
	s_lshl_b64 s[4:5], s[20:21], 3
	s_add_u32 s4, s12, s4
	s_addc_u32 s5, s13, s5
	global_load_dwordx2 v[1:2], v4, s[4:5]
	global_load_dword v5, v3, s[0:1]
	s_lshr_b32 s0, s19, 8
	s_sub_i32 s1, 0, s0
	s_and_b32 s1, s6, s1
	s_and_b32 s0, s1, s0
	s_lshl_b32 s13, s1, 8
	s_sub_i32 s6, 0, s19
	s_cmp_eq_u32 s0, 0
	s_cselect_b64 s[0:1], -1, 0
	s_and_b64 s[4:5], s[0:1], exec
	s_cselect_b32 s6, s19, s6
	s_add_i32 s6, s6, s13
	s_mov_b64 s[4:5], -1
	s_cmp_gt_u32 s18, s6
	v_add_u32_e32 v3, s20, v0
	s_cbranch_scc1 .LBB126_9
; %bb.2:
	s_and_b64 vcc, exec, s[16:17]
	s_cbranch_vccz .LBB126_6
; %bb.3:
	v_cmp_gt_u32_e32 vcc, s18, v3
	s_and_saveexec_b64 s[4:5], vcc
	s_cbranch_execz .LBB126_5
; %bb.4:
	v_mov_b32_e32 v4, 0
	v_lshlrev_b64 v[6:7], 3, v[3:4]
	v_mov_b32_e32 v0, s15
	v_add_co_u32_e32 v6, vcc, s14, v6
	v_lshlrev_b64 v[8:9], 2, v[3:4]
	v_addc_co_u32_e32 v7, vcc, v0, v7, vcc
	v_mov_b32_e32 v0, s11
	v_add_co_u32_e32 v8, vcc, s10, v8
	v_addc_co_u32_e32 v9, vcc, v0, v9, vcc
	s_waitcnt vmcnt(0)
	global_store_dword v[8:9], v5, off
	global_store_dwordx2 v[6:7], v[1:2], off
.LBB126_5:
	s_or_b64 exec, exec, s[4:5]
	s_mov_b64 s[4:5], 0
.LBB126_6:
	s_andn2_b64 vcc, exec, s[4:5]
	s_cbranch_vccnz .LBB126_8
; %bb.7:
	v_mov_b32_e32 v4, 0
	v_lshlrev_b64 v[6:7], 2, v[3:4]
	v_mov_b32_e32 v0, s11
	v_add_co_u32_e32 v6, vcc, s10, v6
	v_lshlrev_b64 v[8:9], 3, v[3:4]
	v_addc_co_u32_e32 v7, vcc, v0, v7, vcc
	v_mov_b32_e32 v0, s15
	v_add_co_u32_e32 v8, vcc, s14, v8
	v_addc_co_u32_e32 v9, vcc, v0, v9, vcc
	s_waitcnt vmcnt(0)
	global_store_dword v[6:7], v5, off
	global_store_dwordx2 v[8:9], v[1:2], off
.LBB126_8:
	s_mov_b64 s[4:5], 0
.LBB126_9:
	s_andn2_b64 vcc, exec, s[4:5]
	s_cbranch_vccnz .LBB126_24
; %bb.10:
	s_min_u32 s7, s6, s18
	s_add_i32 s4, s7, s19
	s_min_u32 s12, s4, s18
	s_min_u32 s4, s13, s7
	s_add_i32 s13, s13, s7
	v_subrev_u32_e32 v0, s13, v3
	v_add_u32_e32 v0, s4, v0
	s_brev_b32 s4, 1
	s_waitcnt vmcnt(0)
	v_cmp_ne_u32_e32 vcc, s4, v5
	v_cndmask_b32_e32 v3, 0, v5, vcc
	v_bfrev_b32_e32 v4, 1
	v_cmp_lt_i32_e32 vcc, -1, v3
	v_cndmask_b32_e32 v4, -1, v4, vcc
	v_xor_b32_e32 v6, v4, v3
	s_mov_b64 s[4:5], -1
	s_and_b64 vcc, exec, s[16:17]
	s_cbranch_vccz .LBB126_18
; %bb.11:
	s_and_saveexec_b64 s[4:5], s[2:3]
	s_cbranch_execz .LBB126_17
; %bb.12:
	s_cmp_ge_u32 s6, s12
	v_mov_b32_e32 v7, s7
	s_cbranch_scc1 .LBB126_16
; %bb.13:
	s_mov_b64 s[2:3], 0
	v_mov_b32_e32 v8, s12
	v_mov_b32_e32 v7, s7
	;; [unrolled: 1-line block ×4, first 2 shown]
	s_brev_b32 s13, 1
	v_bfrev_b32_e32 v10, 1
.LBB126_14:                             ; =>This Inner Loop Header: Depth=1
	v_add_u32_e32 v3, v7, v8
	v_lshrrev_b32_e32 v3, 1, v3
	v_lshlrev_b64 v[11:12], 2, v[3:4]
	v_add_co_u32_e32 v11, vcc, s8, v11
	v_addc_co_u32_e32 v12, vcc, v9, v12, vcc
	global_load_dword v11, v[11:12], off
	v_add_u32_e32 v12, 1, v3
	s_waitcnt vmcnt(0)
	v_cmp_ne_u32_e32 vcc, s13, v11
	v_cndmask_b32_e32 v11, 0, v11, vcc
	v_cmp_lt_i32_e32 vcc, -1, v11
	v_cndmask_b32_e32 v13, -1, v10, vcc
	v_xor_b32_e32 v11, v13, v11
	v_cmp_gt_u32_e32 vcc, v11, v6
	v_cndmask_b32_e64 v13, 0, 1, vcc
	v_cmp_le_u32_e32 vcc, v6, v11
	v_cndmask_b32_e64 v11, 0, 1, vcc
	v_cndmask_b32_e64 v11, v11, v13, s[0:1]
	v_and_b32_e32 v11, 1, v11
	v_cmp_eq_u32_e32 vcc, 1, v11
	v_cndmask_b32_e32 v8, v3, v8, vcc
	v_cndmask_b32_e32 v7, v7, v12, vcc
	v_cmp_ge_u32_e32 vcc, v7, v8
	s_or_b64 s[2:3], vcc, s[2:3]
	s_andn2_b64 exec, exec, s[2:3]
	s_cbranch_execnz .LBB126_14
; %bb.15:
	s_or_b64 exec, exec, s[2:3]
.LBB126_16:
	v_add_u32_e32 v3, v7, v0
	v_mov_b32_e32 v4, 0
	v_lshlrev_b64 v[7:8], 2, v[3:4]
	v_mov_b32_e32 v9, s11
	v_add_co_u32_e32 v7, vcc, s10, v7
	v_lshlrev_b64 v[3:4], 3, v[3:4]
	v_addc_co_u32_e32 v8, vcc, v9, v8, vcc
	global_store_dword v[7:8], v5, off
	v_mov_b32_e32 v7, s15
	v_add_co_u32_e32 v3, vcc, s14, v3
	v_addc_co_u32_e32 v4, vcc, v7, v4, vcc
	global_store_dwordx2 v[3:4], v[1:2], off
.LBB126_17:
	s_or_b64 exec, exec, s[4:5]
	s_mov_b64 s[4:5], 0
.LBB126_18:
	s_andn2_b64 vcc, exec, s[4:5]
	s_cbranch_vccnz .LBB126_24
; %bb.19:
	s_cmp_ge_u32 s6, s12
	v_mov_b32_e32 v7, s7
	s_cbranch_scc1 .LBB126_23
; %bb.20:
	s_mov_b64 s[2:3], 0
	v_mov_b32_e32 v8, s12
	v_mov_b32_e32 v7, s7
	;; [unrolled: 1-line block ×4, first 2 shown]
	s_brev_b32 s4, 1
	v_bfrev_b32_e32 v10, 1
.LBB126_21:                             ; =>This Inner Loop Header: Depth=1
	v_add_u32_e32 v3, v7, v8
	v_lshrrev_b32_e32 v3, 1, v3
	v_lshlrev_b64 v[11:12], 2, v[3:4]
	v_add_co_u32_e32 v11, vcc, s8, v11
	v_addc_co_u32_e32 v12, vcc, v9, v12, vcc
	global_load_dword v11, v[11:12], off
	v_add_u32_e32 v12, 1, v3
	s_waitcnt vmcnt(0)
	v_cmp_ne_u32_e32 vcc, s4, v11
	v_cndmask_b32_e32 v11, 0, v11, vcc
	v_cmp_lt_i32_e32 vcc, -1, v11
	v_cndmask_b32_e32 v13, -1, v10, vcc
	v_xor_b32_e32 v11, v13, v11
	v_cmp_gt_u32_e32 vcc, v11, v6
	v_cndmask_b32_e64 v13, 0, 1, vcc
	v_cmp_le_u32_e32 vcc, v6, v11
	v_cndmask_b32_e64 v11, 0, 1, vcc
	v_cndmask_b32_e64 v11, v11, v13, s[0:1]
	v_and_b32_e32 v11, 1, v11
	v_cmp_eq_u32_e32 vcc, 1, v11
	v_cndmask_b32_e32 v8, v3, v8, vcc
	v_cndmask_b32_e32 v7, v7, v12, vcc
	v_cmp_ge_u32_e32 vcc, v7, v8
	s_or_b64 s[2:3], vcc, s[2:3]
	s_andn2_b64 exec, exec, s[2:3]
	s_cbranch_execnz .LBB126_21
; %bb.22:
	s_or_b64 exec, exec, s[2:3]
.LBB126_23:
	v_add_u32_e32 v3, v7, v0
	v_mov_b32_e32 v4, 0
	v_lshlrev_b64 v[6:7], 2, v[3:4]
	v_mov_b32_e32 v0, s11
	v_add_co_u32_e32 v6, vcc, s10, v6
	v_lshlrev_b64 v[3:4], 3, v[3:4]
	v_addc_co_u32_e32 v7, vcc, v0, v7, vcc
	v_mov_b32_e32 v0, s15
	v_add_co_u32_e32 v3, vcc, s14, v3
	v_addc_co_u32_e32 v4, vcc, v0, v4, vcc
	global_store_dword v[6:7], v5, off
	global_store_dwordx2 v[3:4], v[1:2], off
.LBB126_24:
	s_endpgm
	.section	.rodata,"a",@progbits
	.p2align	6, 0x0
	.amdhsa_kernel _ZN7rocprim17ROCPRIM_304000_NS6detail33device_block_merge_oddeven_kernelINS1_37wrapped_merge_sort_block_merge_configINS0_14default_configEfN2at4cuda3cub6detail10OpaqueTypeILi8EEEEEPfSC_PSA_SD_jNS1_19radix_merge_compareILb1ELb0EfNS0_19identity_decomposerEEEEEvT0_T1_T2_T3_T4_SL_T5_
		.amdhsa_group_segment_fixed_size 0
		.amdhsa_private_segment_fixed_size 0
		.amdhsa_kernarg_size 44
		.amdhsa_user_sgpr_count 6
		.amdhsa_user_sgpr_private_segment_buffer 1
		.amdhsa_user_sgpr_dispatch_ptr 0
		.amdhsa_user_sgpr_queue_ptr 0
		.amdhsa_user_sgpr_kernarg_segment_ptr 1
		.amdhsa_user_sgpr_dispatch_id 0
		.amdhsa_user_sgpr_flat_scratch_init 0
		.amdhsa_user_sgpr_private_segment_size 0
		.amdhsa_uses_dynamic_stack 0
		.amdhsa_system_sgpr_private_segment_wavefront_offset 0
		.amdhsa_system_sgpr_workgroup_id_x 1
		.amdhsa_system_sgpr_workgroup_id_y 0
		.amdhsa_system_sgpr_workgroup_id_z 0
		.amdhsa_system_sgpr_workgroup_info 0
		.amdhsa_system_vgpr_workitem_id 0
		.amdhsa_next_free_vgpr 14
		.amdhsa_next_free_sgpr 22
		.amdhsa_reserve_vcc 1
		.amdhsa_reserve_flat_scratch 0
		.amdhsa_float_round_mode_32 0
		.amdhsa_float_round_mode_16_64 0
		.amdhsa_float_denorm_mode_32 3
		.amdhsa_float_denorm_mode_16_64 3
		.amdhsa_dx10_clamp 1
		.amdhsa_ieee_mode 1
		.amdhsa_fp16_overflow 0
		.amdhsa_exception_fp_ieee_invalid_op 0
		.amdhsa_exception_fp_denorm_src 0
		.amdhsa_exception_fp_ieee_div_zero 0
		.amdhsa_exception_fp_ieee_overflow 0
		.amdhsa_exception_fp_ieee_underflow 0
		.amdhsa_exception_fp_ieee_inexact 0
		.amdhsa_exception_int_div_zero 0
	.end_amdhsa_kernel
	.section	.text._ZN7rocprim17ROCPRIM_304000_NS6detail33device_block_merge_oddeven_kernelINS1_37wrapped_merge_sort_block_merge_configINS0_14default_configEfN2at4cuda3cub6detail10OpaqueTypeILi8EEEEEPfSC_PSA_SD_jNS1_19radix_merge_compareILb1ELb0EfNS0_19identity_decomposerEEEEEvT0_T1_T2_T3_T4_SL_T5_,"axG",@progbits,_ZN7rocprim17ROCPRIM_304000_NS6detail33device_block_merge_oddeven_kernelINS1_37wrapped_merge_sort_block_merge_configINS0_14default_configEfN2at4cuda3cub6detail10OpaqueTypeILi8EEEEEPfSC_PSA_SD_jNS1_19radix_merge_compareILb1ELb0EfNS0_19identity_decomposerEEEEEvT0_T1_T2_T3_T4_SL_T5_,comdat
.Lfunc_end126:
	.size	_ZN7rocprim17ROCPRIM_304000_NS6detail33device_block_merge_oddeven_kernelINS1_37wrapped_merge_sort_block_merge_configINS0_14default_configEfN2at4cuda3cub6detail10OpaqueTypeILi8EEEEEPfSC_PSA_SD_jNS1_19radix_merge_compareILb1ELb0EfNS0_19identity_decomposerEEEEEvT0_T1_T2_T3_T4_SL_T5_, .Lfunc_end126-_ZN7rocprim17ROCPRIM_304000_NS6detail33device_block_merge_oddeven_kernelINS1_37wrapped_merge_sort_block_merge_configINS0_14default_configEfN2at4cuda3cub6detail10OpaqueTypeILi8EEEEEPfSC_PSA_SD_jNS1_19radix_merge_compareILb1ELb0EfNS0_19identity_decomposerEEEEEvT0_T1_T2_T3_T4_SL_T5_
                                        ; -- End function
	.set _ZN7rocprim17ROCPRIM_304000_NS6detail33device_block_merge_oddeven_kernelINS1_37wrapped_merge_sort_block_merge_configINS0_14default_configEfN2at4cuda3cub6detail10OpaqueTypeILi8EEEEEPfSC_PSA_SD_jNS1_19radix_merge_compareILb1ELb0EfNS0_19identity_decomposerEEEEEvT0_T1_T2_T3_T4_SL_T5_.num_vgpr, 14
	.set _ZN7rocprim17ROCPRIM_304000_NS6detail33device_block_merge_oddeven_kernelINS1_37wrapped_merge_sort_block_merge_configINS0_14default_configEfN2at4cuda3cub6detail10OpaqueTypeILi8EEEEEPfSC_PSA_SD_jNS1_19radix_merge_compareILb1ELb0EfNS0_19identity_decomposerEEEEEvT0_T1_T2_T3_T4_SL_T5_.num_agpr, 0
	.set _ZN7rocprim17ROCPRIM_304000_NS6detail33device_block_merge_oddeven_kernelINS1_37wrapped_merge_sort_block_merge_configINS0_14default_configEfN2at4cuda3cub6detail10OpaqueTypeILi8EEEEEPfSC_PSA_SD_jNS1_19radix_merge_compareILb1ELb0EfNS0_19identity_decomposerEEEEEvT0_T1_T2_T3_T4_SL_T5_.numbered_sgpr, 22
	.set _ZN7rocprim17ROCPRIM_304000_NS6detail33device_block_merge_oddeven_kernelINS1_37wrapped_merge_sort_block_merge_configINS0_14default_configEfN2at4cuda3cub6detail10OpaqueTypeILi8EEEEEPfSC_PSA_SD_jNS1_19radix_merge_compareILb1ELb0EfNS0_19identity_decomposerEEEEEvT0_T1_T2_T3_T4_SL_T5_.num_named_barrier, 0
	.set _ZN7rocprim17ROCPRIM_304000_NS6detail33device_block_merge_oddeven_kernelINS1_37wrapped_merge_sort_block_merge_configINS0_14default_configEfN2at4cuda3cub6detail10OpaqueTypeILi8EEEEEPfSC_PSA_SD_jNS1_19radix_merge_compareILb1ELb0EfNS0_19identity_decomposerEEEEEvT0_T1_T2_T3_T4_SL_T5_.private_seg_size, 0
	.set _ZN7rocprim17ROCPRIM_304000_NS6detail33device_block_merge_oddeven_kernelINS1_37wrapped_merge_sort_block_merge_configINS0_14default_configEfN2at4cuda3cub6detail10OpaqueTypeILi8EEEEEPfSC_PSA_SD_jNS1_19radix_merge_compareILb1ELb0EfNS0_19identity_decomposerEEEEEvT0_T1_T2_T3_T4_SL_T5_.uses_vcc, 1
	.set _ZN7rocprim17ROCPRIM_304000_NS6detail33device_block_merge_oddeven_kernelINS1_37wrapped_merge_sort_block_merge_configINS0_14default_configEfN2at4cuda3cub6detail10OpaqueTypeILi8EEEEEPfSC_PSA_SD_jNS1_19radix_merge_compareILb1ELb0EfNS0_19identity_decomposerEEEEEvT0_T1_T2_T3_T4_SL_T5_.uses_flat_scratch, 0
	.set _ZN7rocprim17ROCPRIM_304000_NS6detail33device_block_merge_oddeven_kernelINS1_37wrapped_merge_sort_block_merge_configINS0_14default_configEfN2at4cuda3cub6detail10OpaqueTypeILi8EEEEEPfSC_PSA_SD_jNS1_19radix_merge_compareILb1ELb0EfNS0_19identity_decomposerEEEEEvT0_T1_T2_T3_T4_SL_T5_.has_dyn_sized_stack, 0
	.set _ZN7rocprim17ROCPRIM_304000_NS6detail33device_block_merge_oddeven_kernelINS1_37wrapped_merge_sort_block_merge_configINS0_14default_configEfN2at4cuda3cub6detail10OpaqueTypeILi8EEEEEPfSC_PSA_SD_jNS1_19radix_merge_compareILb1ELb0EfNS0_19identity_decomposerEEEEEvT0_T1_T2_T3_T4_SL_T5_.has_recursion, 0
	.set _ZN7rocprim17ROCPRIM_304000_NS6detail33device_block_merge_oddeven_kernelINS1_37wrapped_merge_sort_block_merge_configINS0_14default_configEfN2at4cuda3cub6detail10OpaqueTypeILi8EEEEEPfSC_PSA_SD_jNS1_19radix_merge_compareILb1ELb0EfNS0_19identity_decomposerEEEEEvT0_T1_T2_T3_T4_SL_T5_.has_indirect_call, 0
	.section	.AMDGPU.csdata,"",@progbits
; Kernel info:
; codeLenInByte = 924
; TotalNumSgprs: 26
; NumVgprs: 14
; ScratchSize: 0
; MemoryBound: 0
; FloatMode: 240
; IeeeMode: 1
; LDSByteSize: 0 bytes/workgroup (compile time only)
; SGPRBlocks: 3
; VGPRBlocks: 3
; NumSGPRsForWavesPerEU: 26
; NumVGPRsForWavesPerEU: 14
; Occupancy: 10
; WaveLimiterHint : 0
; COMPUTE_PGM_RSRC2:SCRATCH_EN: 0
; COMPUTE_PGM_RSRC2:USER_SGPR: 6
; COMPUTE_PGM_RSRC2:TRAP_HANDLER: 0
; COMPUTE_PGM_RSRC2:TGID_X_EN: 1
; COMPUTE_PGM_RSRC2:TGID_Y_EN: 0
; COMPUTE_PGM_RSRC2:TGID_Z_EN: 0
; COMPUTE_PGM_RSRC2:TIDIG_COMP_CNT: 0
	.section	.text._ZN7rocprim17ROCPRIM_304000_NS6detail16transform_kernelINS1_24wrapped_transform_configINS0_14default_configEfEEfPfS6_NS0_8identityIfEEEEvT1_mT2_T3_,"axG",@progbits,_ZN7rocprim17ROCPRIM_304000_NS6detail16transform_kernelINS1_24wrapped_transform_configINS0_14default_configEfEEfPfS6_NS0_8identityIfEEEEvT1_mT2_T3_,comdat
	.protected	_ZN7rocprim17ROCPRIM_304000_NS6detail16transform_kernelINS1_24wrapped_transform_configINS0_14default_configEfEEfPfS6_NS0_8identityIfEEEEvT1_mT2_T3_ ; -- Begin function _ZN7rocprim17ROCPRIM_304000_NS6detail16transform_kernelINS1_24wrapped_transform_configINS0_14default_configEfEEfPfS6_NS0_8identityIfEEEEvT1_mT2_T3_
	.globl	_ZN7rocprim17ROCPRIM_304000_NS6detail16transform_kernelINS1_24wrapped_transform_configINS0_14default_configEfEEfPfS6_NS0_8identityIfEEEEvT1_mT2_T3_
	.p2align	8
	.type	_ZN7rocprim17ROCPRIM_304000_NS6detail16transform_kernelINS1_24wrapped_transform_configINS0_14default_configEfEEfPfS6_NS0_8identityIfEEEEvT1_mT2_T3_,@function
_ZN7rocprim17ROCPRIM_304000_NS6detail16transform_kernelINS1_24wrapped_transform_configINS0_14default_configEfEEfPfS6_NS0_8identityIfEEEEvT1_mT2_T3_: ; @_ZN7rocprim17ROCPRIM_304000_NS6detail16transform_kernelINS1_24wrapped_transform_configINS0_14default_configEfEEfPfS6_NS0_8identityIfEEEEvT1_mT2_T3_
; %bb.0:
	s_load_dword s7, s[4:5], 0x20
	s_load_dwordx4 s[0:3], s[4:5], 0x0
	s_load_dwordx2 s[8:9], s[4:5], 0x10
	s_lshl_b32 s10, s6, 11
	s_mov_b32 s11, 0
	s_waitcnt lgkmcnt(0)
	s_add_i32 s7, s7, -1
	s_lshl_b64 s[4:5], s[10:11], 2
	s_add_u32 s0, s0, s4
	s_addc_u32 s1, s1, s5
	v_lshlrev_b32_e32 v5, 2, v0
	v_mov_b32_e32 v2, s1
	v_add_co_u32_e32 v1, vcc, s0, v5
	s_cmp_lg_u32 s6, s7
	v_addc_co_u32_e32 v2, vcc, 0, v2, vcc
	s_cbranch_scc0 .LBB127_2
; %bb.1:
	v_add_co_u32_e32 v3, vcc, 0x1000, v1
	global_load_dword v6, v[1:2], off
	v_addc_co_u32_e32 v4, vcc, 0, v2, vcc
	global_load_dword v3, v[3:4], off
	s_add_u32 s0, s8, s4
	s_addc_u32 s1, s9, s5
	s_mov_b64 s[6:7], -1
	s_waitcnt vmcnt(1)
	global_store_dword v5, v6, s[0:1]
	s_cbranch_execz .LBB127_3
	s_branch .LBB127_10
.LBB127_2:
	s_mov_b64 s[6:7], 0
                                        ; implicit-def: $vgpr3
.LBB127_3:
	s_sub_i32 s10, s2, s10
	s_waitcnt vmcnt(1)
	v_mov_b32_e32 v3, 0
	v_cmp_gt_u32_e64 s[0:1], s10, v0
	v_mov_b32_e32 v4, v3
	s_and_saveexec_b64 s[2:3], s[0:1]
	s_cbranch_execz .LBB127_5
; %bb.4:
	global_load_dword v6, v[1:2], off
	v_mov_b32_e32 v7, v3
	s_waitcnt vmcnt(0)
	v_mov_b32_e32 v3, v6
	v_mov_b32_e32 v4, v7
.LBB127_5:
	s_or_b64 exec, exec, s[2:3]
	v_or_b32_e32 v0, 0x400, v0
	v_cmp_gt_u32_e64 s[2:3], s10, v0
	s_and_saveexec_b64 s[10:11], s[2:3]
	s_cbranch_execnz .LBB127_13
; %bb.6:
	s_or_b64 exec, exec, s[10:11]
	v_cndmask_b32_e64 v0, 0, v3, s[0:1]
	s_and_saveexec_b64 s[10:11], s[0:1]
	s_cbranch_execnz .LBB127_14
.LBB127_7:
	s_or_b64 exec, exec, s[10:11]
                                        ; implicit-def: $vgpr3
	s_and_saveexec_b64 s[0:1], s[2:3]
	s_cbranch_execz .LBB127_9
.LBB127_8:
	s_waitcnt vmcnt(0)
	v_cndmask_b32_e64 v3, 0, v4, s[2:3]
	s_or_b64 s[6:7], s[6:7], exec
.LBB127_9:
	s_or_b64 exec, exec, s[0:1]
.LBB127_10:
	s_and_saveexec_b64 s[0:1], s[6:7]
	s_cbranch_execnz .LBB127_12
; %bb.11:
	s_endpgm
.LBB127_12:
	s_add_u32 s0, s8, s4
	s_addc_u32 s1, s9, s5
	v_mov_b32_e32 v0, s1
	v_add_co_u32_e32 v1, vcc, s0, v5
	v_addc_co_u32_e32 v2, vcc, 0, v0, vcc
	v_add_co_u32_e32 v0, vcc, 0x1000, v1
	v_addc_co_u32_e32 v1, vcc, 0, v2, vcc
	s_waitcnt vmcnt(1)
	global_store_dword v[0:1], v3, off
	s_endpgm
.LBB127_13:
	v_add_co_u32_e32 v0, vcc, 0x1000, v1
	v_addc_co_u32_e32 v1, vcc, 0, v2, vcc
	global_load_dword v4, v[0:1], off
	s_or_b64 exec, exec, s[10:11]
	v_cndmask_b32_e64 v0, 0, v3, s[0:1]
	s_and_saveexec_b64 s[10:11], s[0:1]
	s_cbranch_execz .LBB127_7
.LBB127_14:
	s_add_u32 s0, s8, s4
	s_addc_u32 s1, s9, s5
	global_store_dword v5, v0, s[0:1]
	s_or_b64 exec, exec, s[10:11]
                                        ; implicit-def: $vgpr3
	s_and_saveexec_b64 s[0:1], s[2:3]
	s_cbranch_execnz .LBB127_8
	s_branch .LBB127_9
	.section	.rodata,"a",@progbits
	.p2align	6, 0x0
	.amdhsa_kernel _ZN7rocprim17ROCPRIM_304000_NS6detail16transform_kernelINS1_24wrapped_transform_configINS0_14default_configEfEEfPfS6_NS0_8identityIfEEEEvT1_mT2_T3_
		.amdhsa_group_segment_fixed_size 0
		.amdhsa_private_segment_fixed_size 0
		.amdhsa_kernarg_size 288
		.amdhsa_user_sgpr_count 6
		.amdhsa_user_sgpr_private_segment_buffer 1
		.amdhsa_user_sgpr_dispatch_ptr 0
		.amdhsa_user_sgpr_queue_ptr 0
		.amdhsa_user_sgpr_kernarg_segment_ptr 1
		.amdhsa_user_sgpr_dispatch_id 0
		.amdhsa_user_sgpr_flat_scratch_init 0
		.amdhsa_user_sgpr_private_segment_size 0
		.amdhsa_uses_dynamic_stack 0
		.amdhsa_system_sgpr_private_segment_wavefront_offset 0
		.amdhsa_system_sgpr_workgroup_id_x 1
		.amdhsa_system_sgpr_workgroup_id_y 0
		.amdhsa_system_sgpr_workgroup_id_z 0
		.amdhsa_system_sgpr_workgroup_info 0
		.amdhsa_system_vgpr_workitem_id 0
		.amdhsa_next_free_vgpr 8
		.amdhsa_next_free_sgpr 12
		.amdhsa_reserve_vcc 1
		.amdhsa_reserve_flat_scratch 0
		.amdhsa_float_round_mode_32 0
		.amdhsa_float_round_mode_16_64 0
		.amdhsa_float_denorm_mode_32 3
		.amdhsa_float_denorm_mode_16_64 3
		.amdhsa_dx10_clamp 1
		.amdhsa_ieee_mode 1
		.amdhsa_fp16_overflow 0
		.amdhsa_exception_fp_ieee_invalid_op 0
		.amdhsa_exception_fp_denorm_src 0
		.amdhsa_exception_fp_ieee_div_zero 0
		.amdhsa_exception_fp_ieee_overflow 0
		.amdhsa_exception_fp_ieee_underflow 0
		.amdhsa_exception_fp_ieee_inexact 0
		.amdhsa_exception_int_div_zero 0
	.end_amdhsa_kernel
	.section	.text._ZN7rocprim17ROCPRIM_304000_NS6detail16transform_kernelINS1_24wrapped_transform_configINS0_14default_configEfEEfPfS6_NS0_8identityIfEEEEvT1_mT2_T3_,"axG",@progbits,_ZN7rocprim17ROCPRIM_304000_NS6detail16transform_kernelINS1_24wrapped_transform_configINS0_14default_configEfEEfPfS6_NS0_8identityIfEEEEvT1_mT2_T3_,comdat
.Lfunc_end127:
	.size	_ZN7rocprim17ROCPRIM_304000_NS6detail16transform_kernelINS1_24wrapped_transform_configINS0_14default_configEfEEfPfS6_NS0_8identityIfEEEEvT1_mT2_T3_, .Lfunc_end127-_ZN7rocprim17ROCPRIM_304000_NS6detail16transform_kernelINS1_24wrapped_transform_configINS0_14default_configEfEEfPfS6_NS0_8identityIfEEEEvT1_mT2_T3_
                                        ; -- End function
	.set _ZN7rocprim17ROCPRIM_304000_NS6detail16transform_kernelINS1_24wrapped_transform_configINS0_14default_configEfEEfPfS6_NS0_8identityIfEEEEvT1_mT2_T3_.num_vgpr, 8
	.set _ZN7rocprim17ROCPRIM_304000_NS6detail16transform_kernelINS1_24wrapped_transform_configINS0_14default_configEfEEfPfS6_NS0_8identityIfEEEEvT1_mT2_T3_.num_agpr, 0
	.set _ZN7rocprim17ROCPRIM_304000_NS6detail16transform_kernelINS1_24wrapped_transform_configINS0_14default_configEfEEfPfS6_NS0_8identityIfEEEEvT1_mT2_T3_.numbered_sgpr, 12
	.set _ZN7rocprim17ROCPRIM_304000_NS6detail16transform_kernelINS1_24wrapped_transform_configINS0_14default_configEfEEfPfS6_NS0_8identityIfEEEEvT1_mT2_T3_.num_named_barrier, 0
	.set _ZN7rocprim17ROCPRIM_304000_NS6detail16transform_kernelINS1_24wrapped_transform_configINS0_14default_configEfEEfPfS6_NS0_8identityIfEEEEvT1_mT2_T3_.private_seg_size, 0
	.set _ZN7rocprim17ROCPRIM_304000_NS6detail16transform_kernelINS1_24wrapped_transform_configINS0_14default_configEfEEfPfS6_NS0_8identityIfEEEEvT1_mT2_T3_.uses_vcc, 1
	.set _ZN7rocprim17ROCPRIM_304000_NS6detail16transform_kernelINS1_24wrapped_transform_configINS0_14default_configEfEEfPfS6_NS0_8identityIfEEEEvT1_mT2_T3_.uses_flat_scratch, 0
	.set _ZN7rocprim17ROCPRIM_304000_NS6detail16transform_kernelINS1_24wrapped_transform_configINS0_14default_configEfEEfPfS6_NS0_8identityIfEEEEvT1_mT2_T3_.has_dyn_sized_stack, 0
	.set _ZN7rocprim17ROCPRIM_304000_NS6detail16transform_kernelINS1_24wrapped_transform_configINS0_14default_configEfEEfPfS6_NS0_8identityIfEEEEvT1_mT2_T3_.has_recursion, 0
	.set _ZN7rocprim17ROCPRIM_304000_NS6detail16transform_kernelINS1_24wrapped_transform_configINS0_14default_configEfEEfPfS6_NS0_8identityIfEEEEvT1_mT2_T3_.has_indirect_call, 0
	.section	.AMDGPU.csdata,"",@progbits
; Kernel info:
; codeLenInByte = 408
; TotalNumSgprs: 16
; NumVgprs: 8
; ScratchSize: 0
; MemoryBound: 0
; FloatMode: 240
; IeeeMode: 1
; LDSByteSize: 0 bytes/workgroup (compile time only)
; SGPRBlocks: 1
; VGPRBlocks: 1
; NumSGPRsForWavesPerEU: 16
; NumVGPRsForWavesPerEU: 8
; Occupancy: 10
; WaveLimiterHint : 1
; COMPUTE_PGM_RSRC2:SCRATCH_EN: 0
; COMPUTE_PGM_RSRC2:USER_SGPR: 6
; COMPUTE_PGM_RSRC2:TRAP_HANDLER: 0
; COMPUTE_PGM_RSRC2:TGID_X_EN: 1
; COMPUTE_PGM_RSRC2:TGID_Y_EN: 0
; COMPUTE_PGM_RSRC2:TGID_Z_EN: 0
; COMPUTE_PGM_RSRC2:TIDIG_COMP_CNT: 0
	.section	.text._ZN7rocprim17ROCPRIM_304000_NS6detail26onesweep_histograms_kernelINS1_34wrapped_radix_sort_onesweep_configINS0_14default_configEfN2at4cuda3cub6detail10OpaqueTypeILi8EEEEELb1EPKfmNS0_19identity_decomposerEEEvT1_PT2_SG_SG_T3_jj,"axG",@progbits,_ZN7rocprim17ROCPRIM_304000_NS6detail26onesweep_histograms_kernelINS1_34wrapped_radix_sort_onesweep_configINS0_14default_configEfN2at4cuda3cub6detail10OpaqueTypeILi8EEEEELb1EPKfmNS0_19identity_decomposerEEEvT1_PT2_SG_SG_T3_jj,comdat
	.protected	_ZN7rocprim17ROCPRIM_304000_NS6detail26onesweep_histograms_kernelINS1_34wrapped_radix_sort_onesweep_configINS0_14default_configEfN2at4cuda3cub6detail10OpaqueTypeILi8EEEEELb1EPKfmNS0_19identity_decomposerEEEvT1_PT2_SG_SG_T3_jj ; -- Begin function _ZN7rocprim17ROCPRIM_304000_NS6detail26onesweep_histograms_kernelINS1_34wrapped_radix_sort_onesweep_configINS0_14default_configEfN2at4cuda3cub6detail10OpaqueTypeILi8EEEEELb1EPKfmNS0_19identity_decomposerEEEvT1_PT2_SG_SG_T3_jj
	.globl	_ZN7rocprim17ROCPRIM_304000_NS6detail26onesweep_histograms_kernelINS1_34wrapped_radix_sort_onesweep_configINS0_14default_configEfN2at4cuda3cub6detail10OpaqueTypeILi8EEEEELb1EPKfmNS0_19identity_decomposerEEEvT1_PT2_SG_SG_T3_jj
	.p2align	8
	.type	_ZN7rocprim17ROCPRIM_304000_NS6detail26onesweep_histograms_kernelINS1_34wrapped_radix_sort_onesweep_configINS0_14default_configEfN2at4cuda3cub6detail10OpaqueTypeILi8EEEEELb1EPKfmNS0_19identity_decomposerEEEvT1_PT2_SG_SG_T3_jj,@function
_ZN7rocprim17ROCPRIM_304000_NS6detail26onesweep_histograms_kernelINS1_34wrapped_radix_sort_onesweep_configINS0_14default_configEfN2at4cuda3cub6detail10OpaqueTypeILi8EEEEELb1EPKfmNS0_19identity_decomposerEEEvT1_PT2_SG_SG_T3_jj: ; @_ZN7rocprim17ROCPRIM_304000_NS6detail26onesweep_histograms_kernelINS1_34wrapped_radix_sort_onesweep_configINS0_14default_configEfN2at4cuda3cub6detail10OpaqueTypeILi8EEEEELb1EPKfmNS0_19identity_decomposerEEEvT1_PT2_SG_SG_T3_jj
; %bb.0:
	s_load_dwordx8 s[24:31], s[4:5], 0x0
	s_load_dwordx2 s[34:35], s[4:5], 0x24
	v_mov_b32_e32 v1, s6
	v_mov_b32_e32 v2, 0
	s_mul_hi_u32 s0, s6, 0x3000
	s_waitcnt lgkmcnt(0)
	v_cmp_le_u64_e32 vcc, s[30:31], v[1:2]
	s_mulk_i32 s6, 0x3000
	s_add_u32 s24, s24, s6
	s_addc_u32 s25, s25, s0
	s_mov_b64 s[0:1], -1
	v_lshlrev_b32_e32 v3, 2, v0
	s_cbranch_vccz .LBB128_82
; %bb.1:
	s_mul_i32 s0, s30, 0xfffff400
	v_lshlrev_b32_e32 v16, 2, v0
	s_add_i32 s28, s0, s28
	v_mov_b32_e32 v2, s25
	v_add_co_u32_e32 v1, vcc, s24, v16
	v_addc_co_u32_e32 v2, vcc, 0, v2, vcc
	v_cmp_gt_u32_e64 s[22:23], s28, v0
                                        ; implicit-def: $vgpr15
	s_and_saveexec_b64 s[0:1], s[22:23]
	s_cbranch_execz .LBB128_3
; %bb.2:
	global_load_dword v15, v[1:2], off
.LBB128_3:
	s_or_b64 exec, exec, s[0:1]
	v_or_b32_e32 v4, 0x100, v0
	v_cmp_gt_u32_e64 s[20:21], s28, v4
                                        ; implicit-def: $vgpr14
	s_and_saveexec_b64 s[0:1], s[20:21]
	s_cbranch_execz .LBB128_5
; %bb.4:
	global_load_dword v14, v[1:2], off offset:1024
.LBB128_5:
	s_or_b64 exec, exec, s[0:1]
	v_or_b32_e32 v4, 0x200, v0
	v_cmp_gt_u32_e64 s[18:19], s28, v4
                                        ; implicit-def: $vgpr13
	s_and_saveexec_b64 s[0:1], s[18:19]
	s_cbranch_execz .LBB128_7
; %bb.6:
	global_load_dword v13, v[1:2], off offset:2048
.LBB128_7:
	s_or_b64 exec, exec, s[0:1]
	v_or_b32_e32 v4, 0x300, v0
	v_cmp_gt_u32_e64 s[16:17], s28, v4
                                        ; implicit-def: $vgpr12
	s_and_saveexec_b64 s[0:1], s[16:17]
	s_cbranch_execz .LBB128_9
; %bb.8:
	global_load_dword v12, v[1:2], off offset:3072
.LBB128_9:
	s_or_b64 exec, exec, s[0:1]
	v_or_b32_e32 v4, 0x400, v0
	v_cmp_gt_u32_e64 s[14:15], s28, v4
                                        ; implicit-def: $vgpr11
	s_and_saveexec_b64 s[0:1], s[14:15]
	s_cbranch_execz .LBB128_11
; %bb.10:
	v_add_co_u32_e32 v4, vcc, 0x1000, v1
	v_addc_co_u32_e32 v5, vcc, 0, v2, vcc
	global_load_dword v11, v[4:5], off
.LBB128_11:
	s_or_b64 exec, exec, s[0:1]
	v_or_b32_e32 v4, 0x500, v0
	v_cmp_gt_u32_e64 s[12:13], s28, v4
                                        ; implicit-def: $vgpr10
	s_and_saveexec_b64 s[0:1], s[12:13]
	s_cbranch_execz .LBB128_13
; %bb.12:
	v_add_co_u32_e32 v4, vcc, 0x1000, v1
	v_addc_co_u32_e32 v5, vcc, 0, v2, vcc
	global_load_dword v10, v[4:5], off offset:1024
.LBB128_13:
	s_or_b64 exec, exec, s[0:1]
	v_or_b32_e32 v4, 0x600, v0
	v_cmp_gt_u32_e64 s[10:11], s28, v4
                                        ; implicit-def: $vgpr9
	s_and_saveexec_b64 s[0:1], s[10:11]
	s_cbranch_execz .LBB128_15
; %bb.14:
	v_add_co_u32_e32 v4, vcc, 0x1000, v1
	v_addc_co_u32_e32 v5, vcc, 0, v2, vcc
	global_load_dword v9, v[4:5], off offset:2048
.LBB128_15:
	s_or_b64 exec, exec, s[0:1]
	v_or_b32_e32 v4, 0x700, v0
	v_cmp_gt_u32_e64 s[8:9], s28, v4
                                        ; implicit-def: $vgpr8
	s_and_saveexec_b64 s[0:1], s[8:9]
	s_cbranch_execz .LBB128_17
; %bb.16:
	v_add_co_u32_e32 v4, vcc, 0x1000, v1
	v_addc_co_u32_e32 v5, vcc, 0, v2, vcc
	global_load_dword v8, v[4:5], off offset:3072
.LBB128_17:
	s_or_b64 exec, exec, s[0:1]
	v_or_b32_e32 v4, 0x800, v0
	v_cmp_gt_u32_e64 s[6:7], s28, v4
                                        ; implicit-def: $vgpr7
	s_and_saveexec_b64 s[0:1], s[6:7]
	s_cbranch_execz .LBB128_19
; %bb.18:
	v_add_co_u32_e32 v4, vcc, 0x2000, v1
	v_addc_co_u32_e32 v5, vcc, 0, v2, vcc
	global_load_dword v7, v[4:5], off
.LBB128_19:
	s_or_b64 exec, exec, s[0:1]
	v_or_b32_e32 v4, 0x900, v0
	v_cmp_gt_u32_e64 s[4:5], s28, v4
                                        ; implicit-def: $vgpr6
	s_and_saveexec_b64 s[0:1], s[4:5]
	s_cbranch_execz .LBB128_21
; %bb.20:
	v_add_co_u32_e32 v4, vcc, 0x2000, v1
	v_addc_co_u32_e32 v5, vcc, 0, v2, vcc
	global_load_dword v6, v[4:5], off offset:1024
.LBB128_21:
	s_or_b64 exec, exec, s[0:1]
	v_or_b32_e32 v4, 0xa00, v0
	v_cmp_gt_u32_e64 s[2:3], s28, v4
                                        ; implicit-def: $vgpr5
	s_and_saveexec_b64 s[0:1], s[2:3]
	s_cbranch_execz .LBB128_23
; %bb.22:
	v_add_co_u32_e32 v4, vcc, 0x2000, v1
	v_addc_co_u32_e32 v5, vcc, 0, v2, vcc
	global_load_dword v5, v[4:5], off offset:2048
.LBB128_23:
	s_or_b64 exec, exec, s[0:1]
	v_or_b32_e32 v4, 0xb00, v0
	v_cmp_gt_u32_e64 s[0:1], s28, v4
                                        ; implicit-def: $vgpr4
	s_and_saveexec_b64 s[28:29], s[0:1]
	s_cbranch_execz .LBB128_25
; %bb.24:
	v_add_co_u32_e32 v1, vcc, 0x2000, v1
	v_addc_co_u32_e32 v2, vcc, 0, v2, vcc
	global_load_dword v4, v[1:2], off offset:3072
.LBB128_25:
	s_or_b64 exec, exec, s[28:29]
	v_or_b32_e32 v1, 0xffffff00, v0
	s_mov_b64 s[28:29], 0
	v_mov_b32_e32 v2, 0
	s_movk_i32 s30, 0xeff
.LBB128_26:                             ; =>This Inner Loop Header: Depth=1
	v_add_u32_e32 v1, 0x100, v1
	v_cmp_lt_u32_e32 vcc, s30, v1
	ds_write_b32 v16, v2
	s_or_b64 s[28:29], vcc, s[28:29]
	v_add_u32_e32 v16, 0x400, v16
	s_andn2_b64 exec, exec, s[28:29]
	s_cbranch_execnz .LBB128_26
; %bb.27:
	s_or_b64 exec, exec, s[28:29]
	s_cmp_gt_u32 s35, s34
	s_cselect_b64 s[28:29], -1, 0
	s_cmp_le_u32 s35, s34
	s_waitcnt vmcnt(0) lgkmcnt(0)
	s_barrier
	s_cbranch_scc1 .LBB128_76
; %bb.28:
	v_bfrev_b32_e32 v2, -2
	v_cmp_gt_i32_e32 vcc, 0, v15
	v_cndmask_b32_e64 v16, v2, 0, vcc
	v_and_b32_e32 v1, 3, v0
	v_xor_b32_e32 v15, v16, v15
	s_brev_b32 s30, 1
	v_cmp_ne_u32_e32 vcc, s30, v15
	v_lshlrev_b32_e32 v1, 2, v1
	s_sub_i32 s33, s35, s34
	v_cndmask_b32_e32 v2, v2, v15, vcc
	v_mov_b32_e32 v15, 1
	s_mov_b32 s36, s33
	v_mov_b32_e32 v16, v1
	s_mov_b32 s37, s34
	s_branch .LBB128_30
.LBB128_29:                             ;   in Loop: Header=BB128_30 Depth=1
	s_or_b64 exec, exec, s[30:31]
	s_add_i32 s37, s37, 8
	s_add_i32 s36, s36, -8
	s_cmp_ge_u32 s37, s35
	v_add_u32_e32 v16, 0x1000, v16
	s_cbranch_scc1 .LBB128_32
.LBB128_30:                             ; =>This Inner Loop Header: Depth=1
	s_and_saveexec_b64 s[30:31], s[22:23]
	s_cbranch_execz .LBB128_29
; %bb.31:                               ;   in Loop: Header=BB128_30 Depth=1
	s_min_u32 s38, s36, 8
	v_lshrrev_b32_e32 v17, s37, v2
	v_bfe_u32 v17, v17, 0, s38
	v_lshl_add_u32 v17, v17, 4, v16
	ds_add_u32 v17, v15
	s_branch .LBB128_29
.LBB128_32:
	v_bfrev_b32_e32 v2, -2
	v_cmp_gt_i32_e32 vcc, 0, v14
	v_cndmask_b32_e64 v15, v2, 0, vcc
	v_xor_b32_e32 v14, v15, v14
	s_brev_b32 s22, 1
	v_cmp_ne_u32_e32 vcc, s22, v14
	v_cndmask_b32_e32 v2, v2, v14, vcc
	v_mov_b32_e32 v14, 1
	s_mov_b32 s30, s33
	v_mov_b32_e32 v15, v1
	s_mov_b32 s31, s34
	s_branch .LBB128_34
.LBB128_33:                             ;   in Loop: Header=BB128_34 Depth=1
	s_or_b64 exec, exec, s[22:23]
	s_add_i32 s31, s31, 8
	s_add_i32 s30, s30, -8
	s_cmp_lt_u32 s31, s35
	v_add_u32_e32 v15, 0x1000, v15
	s_cbranch_scc0 .LBB128_36
.LBB128_34:                             ; =>This Inner Loop Header: Depth=1
	s_and_saveexec_b64 s[22:23], s[20:21]
	s_cbranch_execz .LBB128_33
; %bb.35:                               ;   in Loop: Header=BB128_34 Depth=1
	s_min_u32 s36, s30, 8
	v_lshrrev_b32_e32 v16, s31, v2
	v_bfe_u32 v16, v16, 0, s36
	v_lshl_add_u32 v16, v16, 4, v15
	ds_add_u32 v16, v14
	s_branch .LBB128_33
.LBB128_36:
	v_bfrev_b32_e32 v2, -2
	v_cmp_gt_i32_e32 vcc, 0, v13
	v_cndmask_b32_e64 v14, v2, 0, vcc
	v_xor_b32_e32 v13, v14, v13
	s_brev_b32 s20, 1
	v_cmp_ne_u32_e32 vcc, s20, v13
	v_cndmask_b32_e32 v2, v2, v13, vcc
	v_mov_b32_e32 v13, 1
	s_mov_b32 s22, s33
	v_mov_b32_e32 v14, v1
	s_mov_b32 s23, s34
	s_branch .LBB128_38
.LBB128_37:                             ;   in Loop: Header=BB128_38 Depth=1
	s_or_b64 exec, exec, s[20:21]
	s_add_i32 s23, s23, 8
	s_add_i32 s22, s22, -8
	s_cmp_lt_u32 s23, s35
	v_add_u32_e32 v14, 0x1000, v14
	s_cbranch_scc0 .LBB128_40
.LBB128_38:                             ; =>This Inner Loop Header: Depth=1
	s_and_saveexec_b64 s[20:21], s[18:19]
	s_cbranch_execz .LBB128_37
; %bb.39:                               ;   in Loop: Header=BB128_38 Depth=1
	s_min_u32 s30, s22, 8
	v_lshrrev_b32_e32 v15, s23, v2
	v_bfe_u32 v15, v15, 0, s30
	v_lshl_add_u32 v15, v15, 4, v14
	ds_add_u32 v15, v13
	s_branch .LBB128_37
.LBB128_40:
	;; [unrolled: 30-line block ×10, first 2 shown]
	v_bfrev_b32_e32 v2, -2
	v_cmp_gt_i32_e32 vcc, 0, v4
	v_cndmask_b32_e64 v5, v2, 0, vcc
	v_xor_b32_e32 v4, v5, v4
	s_brev_b32 s2, 1
	v_cmp_ne_u32_e32 vcc, s2, v4
	v_cndmask_b32_e32 v2, v2, v4, vcc
	v_mov_b32_e32 v4, 1
	s_mov_b32 s4, s34
	s_branch .LBB128_74
.LBB128_73:                             ;   in Loop: Header=BB128_74 Depth=1
	s_or_b64 exec, exec, s[2:3]
	s_add_i32 s4, s4, 8
	s_add_i32 s33, s33, -8
	s_cmp_lt_u32 s4, s35
	v_add_u32_e32 v1, 0x1000, v1
	s_cbranch_scc0 .LBB128_76
.LBB128_74:                             ; =>This Inner Loop Header: Depth=1
	s_and_saveexec_b64 s[2:3], s[0:1]
	s_cbranch_execz .LBB128_73
; %bb.75:                               ;   in Loop: Header=BB128_74 Depth=1
	s_min_u32 s5, s33, 8
	v_lshrrev_b32_e32 v5, s4, v2
	v_bfe_u32 v5, v5, 0, s5
	v_lshl_add_u32 v5, v5, 4, v1
	ds_add_u32 v5, v4
	s_branch .LBB128_73
.LBB128_76:
	s_and_b64 vcc, exec, s[28:29]
	s_waitcnt lgkmcnt(0)
	s_barrier
	s_cbranch_vccz .LBB128_81
; %bb.77:
	s_movk_i32 s0, 0x100
	v_cmp_gt_u32_e32 vcc, s0, v0
	v_lshlrev_b32_e32 v4, 4, v0
	v_mov_b32_e32 v2, 0
	v_mov_b32_e32 v1, v0
	s_mov_b32 s4, s34
	s_branch .LBB128_79
.LBB128_78:                             ;   in Loop: Header=BB128_79 Depth=1
	s_or_b64 exec, exec, s[2:3]
	s_add_i32 s4, s4, 8
	v_add_u32_e32 v1, 0x100, v1
	s_cmp_lt_u32 s4, s35
	v_add_u32_e32 v4, 0x1000, v4
	s_cbranch_scc0 .LBB128_81
.LBB128_79:                             ; =>This Inner Loop Header: Depth=1
	s_and_saveexec_b64 s[2:3], vcc
	s_cbranch_execz .LBB128_78
; %bb.80:                               ;   in Loop: Header=BB128_79 Depth=1
	ds_read2_b32 v[5:6], v4 offset1:1
	ds_read2_b32 v[7:8], v4 offset0:2 offset1:3
	v_lshlrev_b64 v[9:10], 3, v[1:2]
	v_mov_b32_e32 v11, s27
	s_waitcnt lgkmcnt(1)
	v_add_u32_e32 v5, v6, v5
	s_waitcnt lgkmcnt(0)
	v_add3_u32 v5, v5, v7, v8
	v_add_co_u32_e64 v7, s[0:1], s26, v9
	v_addc_co_u32_e64 v8, s[0:1], v11, v10, s[0:1]
	v_mov_b32_e32 v6, v2
	global_atomic_add_x2 v[7:8], v[5:6], off
	s_branch .LBB128_78
.LBB128_81:
	s_mov_b64 s[0:1], 0
.LBB128_82:
	s_and_b64 vcc, exec, s[0:1]
	s_cbranch_vccz .LBB128_122
; %bb.83:
	v_mov_b32_e32 v1, s25
	v_add_co_u32_e32 v4, vcc, s24, v3
	v_addc_co_u32_e32 v6, vcc, 0, v1, vcc
	v_add_co_u32_e32 v1, vcc, 0x1000, v4
	v_addc_co_u32_e32 v2, vcc, 0, v6, vcc
	v_add_co_u32_e32 v16, vcc, 0x2000, v4
	global_load_dword v12, v3, s[24:25]
	global_load_dword v9, v3, s[24:25] offset:1024
	global_load_dword v7, v3, s[24:25] offset:2048
	;; [unrolled: 1-line block ×3, first 2 shown]
	v_addc_co_u32_e32 v17, vcc, 0, v6, vcc
	global_load_dword v15, v[1:2], off
	global_load_dword v14, v[1:2], off offset:1024
	global_load_dword v13, v[1:2], off offset:2048
	;; [unrolled: 1-line block ×3, first 2 shown]
	global_load_dword v11, v[16:17], off
	global_load_dword v8, v[16:17], off offset:1024
	global_load_dword v6, v[16:17], off offset:2048
	;; [unrolled: 1-line block ×3, first 2 shown]
	s_cmp_eq_u32 s34, 0
	s_cselect_b64 s[0:1], -1, 0
	s_cmp_eq_u32 s35, 32
	s_cselect_b64 s[2:3], -1, 0
	s_and_b64 s[2:3], s[0:1], s[2:3]
	v_mov_b32_e32 v1, 0
	s_mov_b64 s[0:1], -1
	s_and_b64 vcc, exec, s[2:3]
	s_cbranch_vccnz .LBB128_117
; %bb.84:
	v_or_b32_e32 v2, 0xffffff00, v0
	s_mov_b64 s[0:1], 0
	s_movk_i32 s2, 0xeff
.LBB128_85:                             ; =>This Inner Loop Header: Depth=1
	v_add_u32_e32 v2, 0x100, v2
	v_cmp_lt_u32_e32 vcc, s2, v2
	ds_write_b32 v3, v1
	s_or_b64 s[0:1], vcc, s[0:1]
	v_add_u32_e32 v3, 0x400, v3
	s_andn2_b64 exec, exec, s[0:1]
	s_cbranch_execnz .LBB128_85
; %bb.86:
	s_or_b64 exec, exec, s[0:1]
	s_cmp_gt_u32 s35, s34
	s_cselect_b64 s[0:1], -1, 0
	s_cmp_le_u32 s35, s34
	s_waitcnt vmcnt(0) lgkmcnt(0)
	s_barrier
	s_cbranch_scc1 .LBB128_111
; %bb.87:
	v_bfrev_b32_e32 v2, -2
	v_cmp_gt_i32_e32 vcc, 0, v12
	v_cndmask_b32_e64 v3, v2, 0, vcc
	v_and_b32_e32 v1, 3, v0
	v_xor_b32_e32 v3, v3, v12
	s_brev_b32 s2, 1
	v_cmp_ne_u32_e32 vcc, s2, v3
	v_lshlrev_b32_e32 v1, 2, v1
	s_sub_i32 s2, s35, s34
	v_cndmask_b32_e32 v2, v2, v3, vcc
	v_mov_b32_e32 v3, 1
	s_mov_b32 s3, s2
	v_mov_b32_e32 v16, v1
	s_mov_b32 s4, s34
.LBB128_88:                             ; =>This Inner Loop Header: Depth=1
	s_min_u32 s5, s3, 8
	v_lshrrev_b32_e32 v17, s4, v2
	v_bfe_u32 v17, v17, 0, s5
	v_lshl_add_u32 v17, v17, 4, v16
	ds_add_u32 v17, v3
	s_add_i32 s4, s4, 8
	s_add_i32 s3, s3, -8
	s_cmp_ge_u32 s4, s35
	v_add_u32_e32 v16, 0x1000, v16
	s_cbranch_scc0 .LBB128_88
; %bb.89:
	v_bfrev_b32_e32 v2, -2
	v_cmp_gt_i32_e32 vcc, 0, v9
	v_cndmask_b32_e64 v3, v2, 0, vcc
	v_xor_b32_e32 v3, v3, v9
	s_brev_b32 s3, 1
	v_cmp_ne_u32_e32 vcc, s3, v3
	v_cndmask_b32_e32 v2, v2, v3, vcc
	v_mov_b32_e32 v3, 1
	s_mov_b32 s3, s2
	v_mov_b32_e32 v16, v1
	s_mov_b32 s4, s34
.LBB128_90:                             ; =>This Inner Loop Header: Depth=1
	s_min_u32 s5, s3, 8
	v_lshrrev_b32_e32 v17, s4, v2
	v_bfe_u32 v17, v17, 0, s5
	v_lshl_add_u32 v17, v17, 4, v16
	ds_add_u32 v17, v3
	s_add_i32 s4, s4, 8
	s_add_i32 s3, s3, -8
	s_cmp_lt_u32 s4, s35
	v_add_u32_e32 v16, 0x1000, v16
	s_cbranch_scc1 .LBB128_90
; %bb.91:
	v_bfrev_b32_e32 v2, -2
	v_cmp_gt_i32_e32 vcc, 0, v7
	v_cndmask_b32_e64 v3, v2, 0, vcc
	v_xor_b32_e32 v3, v3, v7
	s_brev_b32 s3, 1
	v_cmp_ne_u32_e32 vcc, s3, v3
	v_cndmask_b32_e32 v2, v2, v3, vcc
	v_mov_b32_e32 v3, 1
	s_mov_b32 s3, s2
	v_mov_b32_e32 v16, v1
	s_mov_b32 s4, s34
.LBB128_92:                             ; =>This Inner Loop Header: Depth=1
	s_min_u32 s5, s3, 8
	v_lshrrev_b32_e32 v17, s4, v2
	v_bfe_u32 v17, v17, 0, s5
	v_lshl_add_u32 v17, v17, 4, v16
	ds_add_u32 v17, v3
	s_add_i32 s4, s4, 8
	s_add_i32 s3, s3, -8
	s_cmp_lt_u32 s4, s35
	v_add_u32_e32 v16, 0x1000, v16
	s_cbranch_scc1 .LBB128_92
	;; [unrolled: 23-line block ×5, first 2 shown]
; %bb.99:
	v_bfrev_b32_e32 v2, -2
	v_cmp_gt_i32_e32 vcc, 0, v13
	v_cndmask_b32_e64 v3, v2, 0, vcc
	v_xor_b32_e32 v3, v3, v13
	s_brev_b32 s3, 1
	v_cmp_ne_u32_e32 vcc, s3, v3
	v_cndmask_b32_e32 v2, v2, v3, vcc
	v_mov_b32_e32 v3, 1
	s_mov_b32 s3, s2
	v_mov_b32_e32 v16, v1
	s_mov_b32 s4, s34
.LBB128_100:                            ; =>This Inner Loop Header: Depth=1
	s_min_u32 s5, s3, 8
	v_lshrrev_b32_e32 v17, s4, v2
	v_bfe_u32 v17, v17, 0, s5
	v_lshl_add_u32 v17, v17, 4, v16
	ds_add_u32 v17, v3
	s_add_i32 s4, s4, 8
	s_add_i32 s3, s3, -8
	s_cmp_lt_u32 s4, s35
	v_add_u32_e32 v16, 0x1000, v16
	s_cbranch_scc1 .LBB128_100
; %bb.101:
	v_bfrev_b32_e32 v2, -2
	v_cmp_gt_i32_e32 vcc, 0, v10
	v_cndmask_b32_e64 v3, v2, 0, vcc
	v_xor_b32_e32 v3, v3, v10
	s_brev_b32 s3, 1
	v_cmp_ne_u32_e32 vcc, s3, v3
	v_cndmask_b32_e32 v2, v2, v3, vcc
	v_mov_b32_e32 v3, 1
	s_mov_b32 s3, s2
	v_mov_b32_e32 v16, v1
	s_mov_b32 s4, s34
.LBB128_102:                            ; =>This Inner Loop Header: Depth=1
	s_min_u32 s5, s3, 8
	v_lshrrev_b32_e32 v17, s4, v2
	v_bfe_u32 v17, v17, 0, s5
	v_lshl_add_u32 v17, v17, 4, v16
	ds_add_u32 v17, v3
	s_add_i32 s4, s4, 8
	s_add_i32 s3, s3, -8
	s_cmp_lt_u32 s4, s35
	v_add_u32_e32 v16, 0x1000, v16
	s_cbranch_scc1 .LBB128_102
	;; [unrolled: 23-line block ×5, first 2 shown]
; %bb.109:
	v_bfrev_b32_e32 v2, -2
	v_cmp_gt_i32_e32 vcc, 0, v4
	v_cndmask_b32_e64 v3, v2, 0, vcc
	v_xor_b32_e32 v3, v3, v4
	s_brev_b32 s3, 1
	v_cmp_ne_u32_e32 vcc, s3, v3
	v_cndmask_b32_e32 v2, v2, v3, vcc
	v_mov_b32_e32 v3, 1
	s_mov_b32 s3, s34
.LBB128_110:                            ; =>This Inner Loop Header: Depth=1
	s_min_u32 s4, s2, 8
	v_lshrrev_b32_e32 v16, s3, v2
	v_bfe_u32 v16, v16, 0, s4
	v_lshl_add_u32 v16, v16, 4, v1
	ds_add_u32 v16, v3
	s_add_i32 s3, s3, 8
	s_add_i32 s2, s2, -8
	s_cmp_lt_u32 s3, s35
	v_add_u32_e32 v1, 0x1000, v1
	s_cbranch_scc1 .LBB128_110
.LBB128_111:
	s_and_b64 vcc, exec, s[0:1]
	s_waitcnt lgkmcnt(0)
	s_barrier
	s_cbranch_vccz .LBB128_116
; %bb.112:
	s_movk_i32 s0, 0x100
	v_cmp_gt_u32_e32 vcc, s0, v0
	v_lshlrev_b32_e32 v3, 4, v0
	v_mov_b32_e32 v2, 0
	v_mov_b32_e32 v1, v0
	s_branch .LBB128_114
.LBB128_113:                            ;   in Loop: Header=BB128_114 Depth=1
	s_or_b64 exec, exec, s[2:3]
	s_add_i32 s34, s34, 8
	v_add_u32_e32 v1, 0x100, v1
	s_cmp_ge_u32 s34, s35
	v_add_u32_e32 v3, 0x1000, v3
	s_cbranch_scc1 .LBB128_116
.LBB128_114:                            ; =>This Inner Loop Header: Depth=1
	s_and_saveexec_b64 s[2:3], vcc
	s_cbranch_execz .LBB128_113
; %bb.115:                              ;   in Loop: Header=BB128_114 Depth=1
	ds_read2_b32 v[16:17], v3 offset1:1
	ds_read2_b32 v[18:19], v3 offset0:2 offset1:3
	v_lshlrev_b64 v[20:21], 3, v[1:2]
	v_mov_b32_e32 v22, s27
	s_waitcnt lgkmcnt(1)
	v_add_u32_e32 v16, v17, v16
	s_waitcnt lgkmcnt(0)
	v_add3_u32 v16, v16, v18, v19
	v_add_co_u32_e64 v18, s[0:1], s26, v20
	v_addc_co_u32_e64 v19, s[0:1], v22, v21, s[0:1]
	v_mov_b32_e32 v17, v2
	global_atomic_add_x2 v[18:19], v[16:17], off
	s_branch .LBB128_113
.LBB128_116:
	s_mov_b64 s[0:1], 0
.LBB128_117:
	s_and_b64 vcc, exec, s[0:1]
	s_cbranch_vccz .LBB128_122
; %bb.118:
	v_or_b32_e32 v1, 0xffffff00, v0
	v_lshlrev_b32_e32 v2, 2, v0
	s_mov_b64 s[0:1], 0
	v_mov_b32_e32 v3, 0
	s_movk_i32 s2, 0xeff
.LBB128_119:                            ; =>This Inner Loop Header: Depth=1
	v_add_u32_e32 v1, 0x100, v1
	v_cmp_lt_u32_e32 vcc, s2, v1
	ds_write_b32 v2, v3
	s_or_b64 s[0:1], vcc, s[0:1]
	v_add_u32_e32 v2, 0x400, v2
	s_andn2_b64 exec, exec, s[0:1]
	s_cbranch_execnz .LBB128_119
; %bb.120:
	s_or_b64 exec, exec, s[0:1]
	v_bfrev_b32_e32 v1, -2
	s_waitcnt vmcnt(11)
	v_cmp_gt_i32_e32 vcc, 0, v12
	v_cndmask_b32_e64 v2, v1, 0, vcc
	s_waitcnt vmcnt(10)
	v_cmp_gt_i32_e32 vcc, 0, v9
	v_cndmask_b32_e64 v3, v1, 0, vcc
	s_waitcnt vmcnt(9)
	v_cmp_gt_i32_e32 vcc, 0, v7
	v_xor_b32_e32 v3, v3, v9
	v_cndmask_b32_e64 v9, v1, 0, vcc
	s_waitcnt vmcnt(8)
	v_cmp_gt_i32_e32 vcc, 0, v5
	v_xor_b32_e32 v7, v9, v7
	;; [unrolled: 4-line block ×9, first 2 shown]
	v_cndmask_b32_e64 v14, v1, 0, vcc
	s_waitcnt vmcnt(0)
	v_cmp_gt_i32_e32 vcc, 0, v4
	s_brev_b32 s0, 1
	v_xor_b32_e32 v6, v14, v6
	v_cndmask_b32_e64 v14, v1, 0, vcc
	v_cmp_ne_u32_e32 vcc, s0, v2
	v_xor_b32_e32 v4, v14, v4
	v_and_b32_e32 v14, 3, v0
	v_cndmask_b32_e32 v2, v1, v2, vcc
	v_xor_b32_e32 v9, v9, v15
	v_lshlrev_b32_e32 v15, 4, v2
	v_lshlrev_b32_e32 v14, 2, v14
	s_movk_i32 s1, 0xff0
	v_and_or_b32 v15, v15, s1, v14
	v_mov_b32_e32 v16, 1
	s_waitcnt lgkmcnt(0)
	s_barrier
	ds_add_u32 v15, v16
	v_bfe_u32 v15, v2, 8, 8
	v_lshl_or_b32 v15, v15, 4, v14
	ds_add_u32 v15, v16 offset:4096
	v_bfe_u32 v15, v2, 16, 8
	v_lshl_or_b32 v15, v15, 4, v14
	v_lshrrev_b32_e32 v2, 24, v2
	ds_add_u32 v15, v16 offset:8192
	v_lshl_or_b32 v2, v2, 4, v14
	v_cmp_ne_u32_e32 vcc, s0, v3
	ds_add_u32 v2, v16 offset:12288
	v_cndmask_b32_e32 v2, v1, v3, vcc
	v_lshlrev_b32_e32 v3, 4, v2
	v_and_or_b32 v3, v3, s1, v14
	ds_add_u32 v3, v16
	v_bfe_u32 v3, v2, 8, 8
	v_lshl_or_b32 v3, v3, 4, v14
	ds_add_u32 v3, v16 offset:4096
	v_bfe_u32 v3, v2, 16, 8
	v_lshl_or_b32 v3, v3, 4, v14
	v_lshrrev_b32_e32 v2, 24, v2
	ds_add_u32 v3, v16 offset:8192
	v_lshl_or_b32 v2, v2, 4, v14
	v_cmp_ne_u32_e32 vcc, s0, v7
	ds_add_u32 v2, v16 offset:12288
	v_cndmask_b32_e32 v2, v1, v7, vcc
	v_lshlrev_b32_e32 v3, 4, v2
	v_and_or_b32 v3, v3, s1, v14
	;; [unrolled: 14-line block ×10, first 2 shown]
	ds_add_u32 v3, v16
	v_bfe_u32 v3, v2, 8, 8
	v_lshl_or_b32 v3, v3, 4, v14
	ds_add_u32 v3, v16 offset:4096
	v_bfe_u32 v3, v2, 16, 8
	v_lshl_or_b32 v3, v3, 4, v14
	v_lshrrev_b32_e32 v2, 24, v2
	v_cmp_ne_u32_e32 vcc, s0, v4
	ds_add_u32 v3, v16 offset:8192
	v_lshl_or_b32 v2, v2, 4, v14
	v_cndmask_b32_e32 v1, v1, v4, vcc
	ds_add_u32 v2, v16 offset:12288
	v_lshlrev_b32_e32 v2, 4, v1
	v_and_or_b32 v2, v2, s1, v14
	ds_add_u32 v2, v16
	v_bfe_u32 v2, v1, 8, 8
	v_lshl_or_b32 v2, v2, 4, v14
	ds_add_u32 v2, v16 offset:4096
	v_bfe_u32 v2, v1, 16, 8
	v_lshl_or_b32 v2, v2, 4, v14
	v_lshrrev_b32_e32 v1, 24, v1
	ds_add_u32 v2, v16 offset:8192
	v_lshl_or_b32 v1, v1, 4, v14
	ds_add_u32 v1, v16 offset:12288
	s_movk_i32 s0, 0x100
	v_cmp_gt_u32_e32 vcc, s0, v0
	s_waitcnt lgkmcnt(0)
	s_barrier
	s_and_saveexec_b64 s[0:1], vcc
	s_cbranch_execz .LBB128_122
; %bb.121:
	v_lshlrev_b32_e32 v6, 4, v0
	ds_read2_b32 v[1:2], v6 offset1:1
	ds_read2_b32 v[3:4], v6 offset0:2 offset1:3
	v_lshlrev_b32_e32 v7, 3, v0
	v_mov_b32_e32 v5, 0
	v_or_b32_e32 v0, 0x1000, v6
	s_waitcnt lgkmcnt(1)
	v_add_u32_e32 v1, v2, v1
	s_waitcnt lgkmcnt(0)
	v_add3_u32 v4, v1, v3, v4
	global_atomic_add_x2 v7, v[4:5], s[26:27]
	v_or_b32_e32 v2, 0x1008, v6
	ds_read2_b32 v[0:1], v0 offset1:1
	ds_read2_b32 v[2:3], v2 offset1:1
	v_or_b32_e32 v9, 0x2000, v6
	v_mov_b32_e32 v8, s27
	s_movk_i32 s0, 0x1000
	s_waitcnt lgkmcnt(1)
	v_add_u32_e32 v0, v1, v0
	s_waitcnt lgkmcnt(0)
	v_add3_u32 v4, v0, v2, v3
	global_atomic_add_x2 v7, v[4:5], s[26:27] offset:2048
	v_or_b32_e32 v2, 0x2008, v6
	ds_read2_b32 v[0:1], v9 offset1:1
	ds_read2_b32 v[2:3], v2 offset1:1
	v_add_co_u32_e32 v7, vcc, s26, v7
	v_addc_co_u32_e32 v8, vcc, 0, v8, vcc
	s_waitcnt lgkmcnt(1)
	v_add_u32_e32 v0, v1, v0
	s_waitcnt lgkmcnt(0)
	v_add3_u32 v4, v0, v2, v3
	v_add_co_u32_e32 v0, vcc, s0, v7
	v_addc_co_u32_e32 v1, vcc, 0, v8, vcc
	global_atomic_add_x2 v[0:1], v[4:5], off
	v_or_b32_e32 v2, 0x3000, v6
	v_or_b32_e32 v4, 0x3008, v6
	ds_read2_b32 v[2:3], v2 offset1:1
	ds_read2_b32 v[6:7], v4 offset1:1
	s_waitcnt lgkmcnt(1)
	v_add_u32_e32 v2, v3, v2
	s_waitcnt lgkmcnt(0)
	v_add3_u32 v4, v2, v6, v7
	global_atomic_add_x2 v[0:1], v[4:5], off offset:2048
.LBB128_122:
	s_endpgm
	.section	.rodata,"a",@progbits
	.p2align	6, 0x0
	.amdhsa_kernel _ZN7rocprim17ROCPRIM_304000_NS6detail26onesweep_histograms_kernelINS1_34wrapped_radix_sort_onesweep_configINS0_14default_configEfN2at4cuda3cub6detail10OpaqueTypeILi8EEEEELb1EPKfmNS0_19identity_decomposerEEEvT1_PT2_SG_SG_T3_jj
		.amdhsa_group_segment_fixed_size 16384
		.amdhsa_private_segment_fixed_size 0
		.amdhsa_kernarg_size 44
		.amdhsa_user_sgpr_count 6
		.amdhsa_user_sgpr_private_segment_buffer 1
		.amdhsa_user_sgpr_dispatch_ptr 0
		.amdhsa_user_sgpr_queue_ptr 0
		.amdhsa_user_sgpr_kernarg_segment_ptr 1
		.amdhsa_user_sgpr_dispatch_id 0
		.amdhsa_user_sgpr_flat_scratch_init 0
		.amdhsa_user_sgpr_private_segment_size 0
		.amdhsa_uses_dynamic_stack 0
		.amdhsa_system_sgpr_private_segment_wavefront_offset 0
		.amdhsa_system_sgpr_workgroup_id_x 1
		.amdhsa_system_sgpr_workgroup_id_y 0
		.amdhsa_system_sgpr_workgroup_id_z 0
		.amdhsa_system_sgpr_workgroup_info 0
		.amdhsa_system_vgpr_workitem_id 0
		.amdhsa_next_free_vgpr 49
		.amdhsa_next_free_sgpr 98
		.amdhsa_reserve_vcc 1
		.amdhsa_reserve_flat_scratch 0
		.amdhsa_float_round_mode_32 0
		.amdhsa_float_round_mode_16_64 0
		.amdhsa_float_denorm_mode_32 3
		.amdhsa_float_denorm_mode_16_64 3
		.amdhsa_dx10_clamp 1
		.amdhsa_ieee_mode 1
		.amdhsa_fp16_overflow 0
		.amdhsa_exception_fp_ieee_invalid_op 0
		.amdhsa_exception_fp_denorm_src 0
		.amdhsa_exception_fp_ieee_div_zero 0
		.amdhsa_exception_fp_ieee_overflow 0
		.amdhsa_exception_fp_ieee_underflow 0
		.amdhsa_exception_fp_ieee_inexact 0
		.amdhsa_exception_int_div_zero 0
	.end_amdhsa_kernel
	.section	.text._ZN7rocprim17ROCPRIM_304000_NS6detail26onesweep_histograms_kernelINS1_34wrapped_radix_sort_onesweep_configINS0_14default_configEfN2at4cuda3cub6detail10OpaqueTypeILi8EEEEELb1EPKfmNS0_19identity_decomposerEEEvT1_PT2_SG_SG_T3_jj,"axG",@progbits,_ZN7rocprim17ROCPRIM_304000_NS6detail26onesweep_histograms_kernelINS1_34wrapped_radix_sort_onesweep_configINS0_14default_configEfN2at4cuda3cub6detail10OpaqueTypeILi8EEEEELb1EPKfmNS0_19identity_decomposerEEEvT1_PT2_SG_SG_T3_jj,comdat
.Lfunc_end128:
	.size	_ZN7rocprim17ROCPRIM_304000_NS6detail26onesweep_histograms_kernelINS1_34wrapped_radix_sort_onesweep_configINS0_14default_configEfN2at4cuda3cub6detail10OpaqueTypeILi8EEEEELb1EPKfmNS0_19identity_decomposerEEEvT1_PT2_SG_SG_T3_jj, .Lfunc_end128-_ZN7rocprim17ROCPRIM_304000_NS6detail26onesweep_histograms_kernelINS1_34wrapped_radix_sort_onesweep_configINS0_14default_configEfN2at4cuda3cub6detail10OpaqueTypeILi8EEEEELb1EPKfmNS0_19identity_decomposerEEEvT1_PT2_SG_SG_T3_jj
                                        ; -- End function
	.set _ZN7rocprim17ROCPRIM_304000_NS6detail26onesweep_histograms_kernelINS1_34wrapped_radix_sort_onesweep_configINS0_14default_configEfN2at4cuda3cub6detail10OpaqueTypeILi8EEEEELb1EPKfmNS0_19identity_decomposerEEEvT1_PT2_SG_SG_T3_jj.num_vgpr, 23
	.set _ZN7rocprim17ROCPRIM_304000_NS6detail26onesweep_histograms_kernelINS1_34wrapped_radix_sort_onesweep_configINS0_14default_configEfN2at4cuda3cub6detail10OpaqueTypeILi8EEEEELb1EPKfmNS0_19identity_decomposerEEEvT1_PT2_SG_SG_T3_jj.num_agpr, 0
	.set _ZN7rocprim17ROCPRIM_304000_NS6detail26onesweep_histograms_kernelINS1_34wrapped_radix_sort_onesweep_configINS0_14default_configEfN2at4cuda3cub6detail10OpaqueTypeILi8EEEEELb1EPKfmNS0_19identity_decomposerEEEvT1_PT2_SG_SG_T3_jj.numbered_sgpr, 39
	.set _ZN7rocprim17ROCPRIM_304000_NS6detail26onesweep_histograms_kernelINS1_34wrapped_radix_sort_onesweep_configINS0_14default_configEfN2at4cuda3cub6detail10OpaqueTypeILi8EEEEELb1EPKfmNS0_19identity_decomposerEEEvT1_PT2_SG_SG_T3_jj.num_named_barrier, 0
	.set _ZN7rocprim17ROCPRIM_304000_NS6detail26onesweep_histograms_kernelINS1_34wrapped_radix_sort_onesweep_configINS0_14default_configEfN2at4cuda3cub6detail10OpaqueTypeILi8EEEEELb1EPKfmNS0_19identity_decomposerEEEvT1_PT2_SG_SG_T3_jj.private_seg_size, 0
	.set _ZN7rocprim17ROCPRIM_304000_NS6detail26onesweep_histograms_kernelINS1_34wrapped_radix_sort_onesweep_configINS0_14default_configEfN2at4cuda3cub6detail10OpaqueTypeILi8EEEEELb1EPKfmNS0_19identity_decomposerEEEvT1_PT2_SG_SG_T3_jj.uses_vcc, 1
	.set _ZN7rocprim17ROCPRIM_304000_NS6detail26onesweep_histograms_kernelINS1_34wrapped_radix_sort_onesweep_configINS0_14default_configEfN2at4cuda3cub6detail10OpaqueTypeILi8EEEEELb1EPKfmNS0_19identity_decomposerEEEvT1_PT2_SG_SG_T3_jj.uses_flat_scratch, 0
	.set _ZN7rocprim17ROCPRIM_304000_NS6detail26onesweep_histograms_kernelINS1_34wrapped_radix_sort_onesweep_configINS0_14default_configEfN2at4cuda3cub6detail10OpaqueTypeILi8EEEEELb1EPKfmNS0_19identity_decomposerEEEvT1_PT2_SG_SG_T3_jj.has_dyn_sized_stack, 0
	.set _ZN7rocprim17ROCPRIM_304000_NS6detail26onesweep_histograms_kernelINS1_34wrapped_radix_sort_onesweep_configINS0_14default_configEfN2at4cuda3cub6detail10OpaqueTypeILi8EEEEELb1EPKfmNS0_19identity_decomposerEEEvT1_PT2_SG_SG_T3_jj.has_recursion, 0
	.set _ZN7rocprim17ROCPRIM_304000_NS6detail26onesweep_histograms_kernelINS1_34wrapped_radix_sort_onesweep_configINS0_14default_configEfN2at4cuda3cub6detail10OpaqueTypeILi8EEEEELb1EPKfmNS0_19identity_decomposerEEEvT1_PT2_SG_SG_T3_jj.has_indirect_call, 0
	.section	.AMDGPU.csdata,"",@progbits
; Kernel info:
; codeLenInByte = 5824
; TotalNumSgprs: 43
; NumVgprs: 23
; ScratchSize: 0
; MemoryBound: 0
; FloatMode: 240
; IeeeMode: 1
; LDSByteSize: 16384 bytes/workgroup (compile time only)
; SGPRBlocks: 12
; VGPRBlocks: 12
; NumSGPRsForWavesPerEU: 102
; NumVGPRsForWavesPerEU: 49
; Occupancy: 4
; WaveLimiterHint : 1
; COMPUTE_PGM_RSRC2:SCRATCH_EN: 0
; COMPUTE_PGM_RSRC2:USER_SGPR: 6
; COMPUTE_PGM_RSRC2:TRAP_HANDLER: 0
; COMPUTE_PGM_RSRC2:TGID_X_EN: 1
; COMPUTE_PGM_RSRC2:TGID_Y_EN: 0
; COMPUTE_PGM_RSRC2:TGID_Z_EN: 0
; COMPUTE_PGM_RSRC2:TIDIG_COMP_CNT: 0
	.section	.text._ZN7rocprim17ROCPRIM_304000_NS6detail31onesweep_scan_histograms_kernelINS1_34wrapped_radix_sort_onesweep_configINS0_14default_configEfN2at4cuda3cub6detail10OpaqueTypeILi8EEEEEmEEvPT0_,"axG",@progbits,_ZN7rocprim17ROCPRIM_304000_NS6detail31onesweep_scan_histograms_kernelINS1_34wrapped_radix_sort_onesweep_configINS0_14default_configEfN2at4cuda3cub6detail10OpaqueTypeILi8EEEEEmEEvPT0_,comdat
	.protected	_ZN7rocprim17ROCPRIM_304000_NS6detail31onesweep_scan_histograms_kernelINS1_34wrapped_radix_sort_onesweep_configINS0_14default_configEfN2at4cuda3cub6detail10OpaqueTypeILi8EEEEEmEEvPT0_ ; -- Begin function _ZN7rocprim17ROCPRIM_304000_NS6detail31onesweep_scan_histograms_kernelINS1_34wrapped_radix_sort_onesweep_configINS0_14default_configEfN2at4cuda3cub6detail10OpaqueTypeILi8EEEEEmEEvPT0_
	.globl	_ZN7rocprim17ROCPRIM_304000_NS6detail31onesweep_scan_histograms_kernelINS1_34wrapped_radix_sort_onesweep_configINS0_14default_configEfN2at4cuda3cub6detail10OpaqueTypeILi8EEEEEmEEvPT0_
	.p2align	8
	.type	_ZN7rocprim17ROCPRIM_304000_NS6detail31onesweep_scan_histograms_kernelINS1_34wrapped_radix_sort_onesweep_configINS0_14default_configEfN2at4cuda3cub6detail10OpaqueTypeILi8EEEEEmEEvPT0_,@function
_ZN7rocprim17ROCPRIM_304000_NS6detail31onesweep_scan_histograms_kernelINS1_34wrapped_radix_sort_onesweep_configINS0_14default_configEfN2at4cuda3cub6detail10OpaqueTypeILi8EEEEEmEEvPT0_: ; @_ZN7rocprim17ROCPRIM_304000_NS6detail31onesweep_scan_histograms_kernelINS1_34wrapped_radix_sort_onesweep_configINS0_14default_configEfN2at4cuda3cub6detail10OpaqueTypeILi8EEEEEmEEvPT0_
; %bb.0:
	s_load_dwordx2 s[0:1], s[4:5], 0x0
	s_lshl_b32 s2, s6, 8
	s_mov_b32 s3, 0
	s_lshl_b64 s[2:3], s[2:3], 3
	v_lshlrev_b32_e32 v5, 3, v0
	s_waitcnt lgkmcnt(0)
	s_add_u32 s2, s0, s2
	s_movk_i32 s0, 0x100
	s_addc_u32 s3, s1, s3
	v_cmp_gt_u32_e32 vcc, s0, v0
                                        ; implicit-def: $vgpr1_vgpr2
	s_and_saveexec_b64 s[0:1], vcc
	s_cbranch_execz .LBB129_2
; %bb.1:
	global_load_dwordx2 v[1:2], v5, s[2:3]
.LBB129_2:
	s_or_b64 exec, exec, s[0:1]
	v_mbcnt_lo_u32_b32 v3, -1, 0
	v_mbcnt_hi_u32_b32 v6, -1, v3
	v_and_b32_e32 v4, 15, v6
	s_waitcnt vmcnt(0)
	v_mov_b32_dpp v8, v1 row_shr:1 row_mask:0xf bank_mask:0xf
	v_mov_b32_dpp v7, v2 row_shr:1 row_mask:0xf bank_mask:0xf
	v_cmp_ne_u32_e64 s[0:1], 0, v4
	v_mov_b32_e32 v3, v1
	s_and_saveexec_b64 s[4:5], s[0:1]
; %bb.3:
	v_add_co_u32_e64 v3, s[0:1], v1, v8
	v_addc_co_u32_e64 v2, s[0:1], 0, v2, s[0:1]
	v_add_co_u32_e64 v1, s[0:1], 0, v3
	v_addc_co_u32_e64 v2, s[0:1], v7, v2, s[0:1]
; %bb.4:
	s_or_b64 exec, exec, s[4:5]
	v_mov_b32_dpp v8, v3 row_shr:2 row_mask:0xf bank_mask:0xf
	v_mov_b32_dpp v7, v2 row_shr:2 row_mask:0xf bank_mask:0xf
	v_cmp_lt_u32_e64 s[0:1], 1, v4
	s_and_saveexec_b64 s[4:5], s[0:1]
; %bb.5:
	v_add_co_u32_e64 v3, s[0:1], v1, v8
	v_addc_co_u32_e64 v2, s[0:1], 0, v2, s[0:1]
	v_add_co_u32_e64 v1, s[0:1], 0, v3
	v_addc_co_u32_e64 v2, s[0:1], v7, v2, s[0:1]
; %bb.6:
	s_or_b64 exec, exec, s[4:5]
	v_mov_b32_dpp v8, v3 row_shr:4 row_mask:0xf bank_mask:0xf
	v_mov_b32_dpp v7, v2 row_shr:4 row_mask:0xf bank_mask:0xf
	v_cmp_lt_u32_e64 s[0:1], 3, v4
	;; [unrolled: 11-line block ×3, first 2 shown]
	s_and_saveexec_b64 s[4:5], s[0:1]
; %bb.9:
	v_add_co_u32_e64 v3, s[0:1], v1, v8
	v_addc_co_u32_e64 v2, s[0:1], 0, v2, s[0:1]
	v_add_co_u32_e64 v1, s[0:1], 0, v3
	v_addc_co_u32_e64 v2, s[0:1], v7, v2, s[0:1]
; %bb.10:
	s_or_b64 exec, exec, s[4:5]
	v_and_b32_e32 v8, 16, v6
	v_mov_b32_dpp v7, v3 row_bcast:15 row_mask:0xf bank_mask:0xf
	v_mov_b32_dpp v4, v2 row_bcast:15 row_mask:0xf bank_mask:0xf
	v_cmp_ne_u32_e64 s[0:1], 0, v8
	s_and_saveexec_b64 s[4:5], s[0:1]
; %bb.11:
	v_add_co_u32_e64 v3, s[0:1], v1, v7
	v_addc_co_u32_e64 v2, s[0:1], 0, v2, s[0:1]
	v_add_co_u32_e64 v1, s[0:1], 0, v3
	v_addc_co_u32_e64 v2, s[0:1], v4, v2, s[0:1]
; %bb.12:
	s_or_b64 exec, exec, s[4:5]
	v_mov_b32_dpp v3, v3 row_bcast:31 row_mask:0xf bank_mask:0xf
	v_add_co_u32_e64 v3, s[0:1], v1, v3
	v_addc_co_u32_e64 v7, s[0:1], 0, v2, s[0:1]
	v_mov_b32_dpp v4, v2 row_bcast:31 row_mask:0xf bank_mask:0xf
	v_add_co_u32_e64 v3, s[0:1], 0, v3
	v_addc_co_u32_e64 v4, s[0:1], v7, v4, s[0:1]
	v_cmp_lt_u32_e64 s[0:1], 31, v6
	v_cndmask_b32_e64 v1, v1, v3, s[0:1]
	v_or_b32_e32 v3, 63, v0
	v_cndmask_b32_e64 v2, v2, v4, s[0:1]
	v_lshrrev_b32_e32 v7, 6, v0
	v_cmp_eq_u32_e64 s[0:1], v0, v3
	s_and_saveexec_b64 s[4:5], s[0:1]
; %bb.13:
	v_lshlrev_b32_e32 v3, 3, v7
	ds_write_b64 v3, v[1:2]
; %bb.14:
	s_or_b64 exec, exec, s[4:5]
	v_cmp_gt_u32_e64 s[0:1], 4, v0
	s_waitcnt lgkmcnt(0)
	s_barrier
	s_and_saveexec_b64 s[4:5], s[0:1]
	s_cbranch_execz .LBB129_18
; %bb.15:
	ds_read_b64 v[3:4], v5
	v_and_b32_e32 v8, 3, v6
	v_cmp_ne_u32_e64 s[0:1], 0, v8
	s_waitcnt lgkmcnt(0)
	v_mov_b32_dpp v11, v3 row_shr:1 row_mask:0xf bank_mask:0xf
	v_mov_b32_dpp v10, v4 row_shr:1 row_mask:0xf bank_mask:0xf
	v_mov_b32_e32 v9, v3
	s_and_saveexec_b64 s[6:7], s[0:1]
; %bb.16:
	v_add_co_u32_e64 v9, s[0:1], v3, v11
	v_addc_co_u32_e64 v4, s[0:1], 0, v4, s[0:1]
	v_add_co_u32_e64 v3, s[0:1], 0, v9
	v_addc_co_u32_e64 v4, s[0:1], v10, v4, s[0:1]
; %bb.17:
	s_or_b64 exec, exec, s[6:7]
	v_mov_b32_dpp v9, v9 row_shr:2 row_mask:0xf bank_mask:0xf
	v_cmp_lt_u32_e64 s[0:1], 1, v8
	v_mov_b32_dpp v10, v4 row_shr:2 row_mask:0xf bank_mask:0xf
	v_cndmask_b32_e64 v9, 0, v9, s[0:1]
	v_cndmask_b32_e64 v8, 0, v10, s[0:1]
	v_add_co_u32_e64 v3, s[0:1], v9, v3
	v_addc_co_u32_e64 v4, s[0:1], v8, v4, s[0:1]
	ds_write_b64 v5, v[3:4]
.LBB129_18:
	s_or_b64 exec, exec, s[4:5]
	v_mov_b32_e32 v3, 0
	v_mov_b32_e32 v4, 0
	v_cmp_lt_u32_e64 s[0:1], 63, v0
	s_waitcnt lgkmcnt(0)
	s_barrier
	s_and_saveexec_b64 s[4:5], s[0:1]
; %bb.19:
	v_lshl_add_u32 v0, v7, 3, -8
	ds_read_b64 v[3:4], v0
; %bb.20:
	s_or_b64 exec, exec, s[4:5]
	s_waitcnt lgkmcnt(0)
	v_add_co_u32_e64 v0, s[0:1], v3, v1
	v_addc_co_u32_e64 v1, s[0:1], v4, v2, s[0:1]
	v_add_u32_e32 v2, -1, v6
	v_and_b32_e32 v7, 64, v6
	v_cmp_lt_i32_e64 s[0:1], v2, v7
	v_cndmask_b32_e64 v2, v2, v6, s[0:1]
	v_lshlrev_b32_e32 v2, 2, v2
	ds_bpermute_b32 v0, v2, v0
	ds_bpermute_b32 v1, v2, v1
	s_and_saveexec_b64 s[0:1], vcc
	s_cbranch_execz .LBB129_22
; %bb.21:
	v_cmp_eq_u32_e32 vcc, 0, v6
	s_waitcnt lgkmcnt(0)
	v_cndmask_b32_e32 v1, v1, v4, vcc
	v_cndmask_b32_e32 v0, v0, v3, vcc
	global_store_dwordx2 v5, v[0:1], s[2:3]
.LBB129_22:
	s_endpgm
	.section	.rodata,"a",@progbits
	.p2align	6, 0x0
	.amdhsa_kernel _ZN7rocprim17ROCPRIM_304000_NS6detail31onesweep_scan_histograms_kernelINS1_34wrapped_radix_sort_onesweep_configINS0_14default_configEfN2at4cuda3cub6detail10OpaqueTypeILi8EEEEEmEEvPT0_
		.amdhsa_group_segment_fixed_size 32
		.amdhsa_private_segment_fixed_size 0
		.amdhsa_kernarg_size 8
		.amdhsa_user_sgpr_count 6
		.amdhsa_user_sgpr_private_segment_buffer 1
		.amdhsa_user_sgpr_dispatch_ptr 0
		.amdhsa_user_sgpr_queue_ptr 0
		.amdhsa_user_sgpr_kernarg_segment_ptr 1
		.amdhsa_user_sgpr_dispatch_id 0
		.amdhsa_user_sgpr_flat_scratch_init 0
		.amdhsa_user_sgpr_private_segment_size 0
		.amdhsa_uses_dynamic_stack 0
		.amdhsa_system_sgpr_private_segment_wavefront_offset 0
		.amdhsa_system_sgpr_workgroup_id_x 1
		.amdhsa_system_sgpr_workgroup_id_y 0
		.amdhsa_system_sgpr_workgroup_id_z 0
		.amdhsa_system_sgpr_workgroup_info 0
		.amdhsa_system_vgpr_workitem_id 0
		.amdhsa_next_free_vgpr 12
		.amdhsa_next_free_sgpr 8
		.amdhsa_reserve_vcc 1
		.amdhsa_reserve_flat_scratch 0
		.amdhsa_float_round_mode_32 0
		.amdhsa_float_round_mode_16_64 0
		.amdhsa_float_denorm_mode_32 3
		.amdhsa_float_denorm_mode_16_64 3
		.amdhsa_dx10_clamp 1
		.amdhsa_ieee_mode 1
		.amdhsa_fp16_overflow 0
		.amdhsa_exception_fp_ieee_invalid_op 0
		.amdhsa_exception_fp_denorm_src 0
		.amdhsa_exception_fp_ieee_div_zero 0
		.amdhsa_exception_fp_ieee_overflow 0
		.amdhsa_exception_fp_ieee_underflow 0
		.amdhsa_exception_fp_ieee_inexact 0
		.amdhsa_exception_int_div_zero 0
	.end_amdhsa_kernel
	.section	.text._ZN7rocprim17ROCPRIM_304000_NS6detail31onesweep_scan_histograms_kernelINS1_34wrapped_radix_sort_onesweep_configINS0_14default_configEfN2at4cuda3cub6detail10OpaqueTypeILi8EEEEEmEEvPT0_,"axG",@progbits,_ZN7rocprim17ROCPRIM_304000_NS6detail31onesweep_scan_histograms_kernelINS1_34wrapped_radix_sort_onesweep_configINS0_14default_configEfN2at4cuda3cub6detail10OpaqueTypeILi8EEEEEmEEvPT0_,comdat
.Lfunc_end129:
	.size	_ZN7rocprim17ROCPRIM_304000_NS6detail31onesweep_scan_histograms_kernelINS1_34wrapped_radix_sort_onesweep_configINS0_14default_configEfN2at4cuda3cub6detail10OpaqueTypeILi8EEEEEmEEvPT0_, .Lfunc_end129-_ZN7rocprim17ROCPRIM_304000_NS6detail31onesweep_scan_histograms_kernelINS1_34wrapped_radix_sort_onesweep_configINS0_14default_configEfN2at4cuda3cub6detail10OpaqueTypeILi8EEEEEmEEvPT0_
                                        ; -- End function
	.set _ZN7rocprim17ROCPRIM_304000_NS6detail31onesweep_scan_histograms_kernelINS1_34wrapped_radix_sort_onesweep_configINS0_14default_configEfN2at4cuda3cub6detail10OpaqueTypeILi8EEEEEmEEvPT0_.num_vgpr, 12
	.set _ZN7rocprim17ROCPRIM_304000_NS6detail31onesweep_scan_histograms_kernelINS1_34wrapped_radix_sort_onesweep_configINS0_14default_configEfN2at4cuda3cub6detail10OpaqueTypeILi8EEEEEmEEvPT0_.num_agpr, 0
	.set _ZN7rocprim17ROCPRIM_304000_NS6detail31onesweep_scan_histograms_kernelINS1_34wrapped_radix_sort_onesweep_configINS0_14default_configEfN2at4cuda3cub6detail10OpaqueTypeILi8EEEEEmEEvPT0_.numbered_sgpr, 8
	.set _ZN7rocprim17ROCPRIM_304000_NS6detail31onesweep_scan_histograms_kernelINS1_34wrapped_radix_sort_onesweep_configINS0_14default_configEfN2at4cuda3cub6detail10OpaqueTypeILi8EEEEEmEEvPT0_.num_named_barrier, 0
	.set _ZN7rocprim17ROCPRIM_304000_NS6detail31onesweep_scan_histograms_kernelINS1_34wrapped_radix_sort_onesweep_configINS0_14default_configEfN2at4cuda3cub6detail10OpaqueTypeILi8EEEEEmEEvPT0_.private_seg_size, 0
	.set _ZN7rocprim17ROCPRIM_304000_NS6detail31onesweep_scan_histograms_kernelINS1_34wrapped_radix_sort_onesweep_configINS0_14default_configEfN2at4cuda3cub6detail10OpaqueTypeILi8EEEEEmEEvPT0_.uses_vcc, 1
	.set _ZN7rocprim17ROCPRIM_304000_NS6detail31onesweep_scan_histograms_kernelINS1_34wrapped_radix_sort_onesweep_configINS0_14default_configEfN2at4cuda3cub6detail10OpaqueTypeILi8EEEEEmEEvPT0_.uses_flat_scratch, 0
	.set _ZN7rocprim17ROCPRIM_304000_NS6detail31onesweep_scan_histograms_kernelINS1_34wrapped_radix_sort_onesweep_configINS0_14default_configEfN2at4cuda3cub6detail10OpaqueTypeILi8EEEEEmEEvPT0_.has_dyn_sized_stack, 0
	.set _ZN7rocprim17ROCPRIM_304000_NS6detail31onesweep_scan_histograms_kernelINS1_34wrapped_radix_sort_onesweep_configINS0_14default_configEfN2at4cuda3cub6detail10OpaqueTypeILi8EEEEEmEEvPT0_.has_recursion, 0
	.set _ZN7rocprim17ROCPRIM_304000_NS6detail31onesweep_scan_histograms_kernelINS1_34wrapped_radix_sort_onesweep_configINS0_14default_configEfN2at4cuda3cub6detail10OpaqueTypeILi8EEEEEmEEvPT0_.has_indirect_call, 0
	.section	.AMDGPU.csdata,"",@progbits
; Kernel info:
; codeLenInByte = 848
; TotalNumSgprs: 12
; NumVgprs: 12
; ScratchSize: 0
; MemoryBound: 0
; FloatMode: 240
; IeeeMode: 1
; LDSByteSize: 32 bytes/workgroup (compile time only)
; SGPRBlocks: 1
; VGPRBlocks: 2
; NumSGPRsForWavesPerEU: 12
; NumVGPRsForWavesPerEU: 12
; Occupancy: 10
; WaveLimiterHint : 0
; COMPUTE_PGM_RSRC2:SCRATCH_EN: 0
; COMPUTE_PGM_RSRC2:USER_SGPR: 6
; COMPUTE_PGM_RSRC2:TRAP_HANDLER: 0
; COMPUTE_PGM_RSRC2:TGID_X_EN: 1
; COMPUTE_PGM_RSRC2:TGID_Y_EN: 0
; COMPUTE_PGM_RSRC2:TGID_Z_EN: 0
; COMPUTE_PGM_RSRC2:TIDIG_COMP_CNT: 0
	.section	.text._ZN7rocprim17ROCPRIM_304000_NS6detail16transform_kernelINS1_24wrapped_transform_configINS0_14default_configEfEEfPKfPfNS0_8identityIfEEEEvT1_mT2_T3_,"axG",@progbits,_ZN7rocprim17ROCPRIM_304000_NS6detail16transform_kernelINS1_24wrapped_transform_configINS0_14default_configEfEEfPKfPfNS0_8identityIfEEEEvT1_mT2_T3_,comdat
	.protected	_ZN7rocprim17ROCPRIM_304000_NS6detail16transform_kernelINS1_24wrapped_transform_configINS0_14default_configEfEEfPKfPfNS0_8identityIfEEEEvT1_mT2_T3_ ; -- Begin function _ZN7rocprim17ROCPRIM_304000_NS6detail16transform_kernelINS1_24wrapped_transform_configINS0_14default_configEfEEfPKfPfNS0_8identityIfEEEEvT1_mT2_T3_
	.globl	_ZN7rocprim17ROCPRIM_304000_NS6detail16transform_kernelINS1_24wrapped_transform_configINS0_14default_configEfEEfPKfPfNS0_8identityIfEEEEvT1_mT2_T3_
	.p2align	8
	.type	_ZN7rocprim17ROCPRIM_304000_NS6detail16transform_kernelINS1_24wrapped_transform_configINS0_14default_configEfEEfPKfPfNS0_8identityIfEEEEvT1_mT2_T3_,@function
_ZN7rocprim17ROCPRIM_304000_NS6detail16transform_kernelINS1_24wrapped_transform_configINS0_14default_configEfEEfPKfPfNS0_8identityIfEEEEvT1_mT2_T3_: ; @_ZN7rocprim17ROCPRIM_304000_NS6detail16transform_kernelINS1_24wrapped_transform_configINS0_14default_configEfEEfPKfPfNS0_8identityIfEEEEvT1_mT2_T3_
; %bb.0:
	s_load_dword s7, s[4:5], 0x20
	s_load_dwordx4 s[0:3], s[4:5], 0x0
	s_load_dwordx2 s[8:9], s[4:5], 0x10
	s_lshl_b32 s10, s6, 11
	s_mov_b32 s11, 0
	s_waitcnt lgkmcnt(0)
	s_add_i32 s7, s7, -1
	s_lshl_b64 s[4:5], s[10:11], 2
	s_add_u32 s0, s0, s4
	s_addc_u32 s1, s1, s5
	v_lshlrev_b32_e32 v5, 2, v0
	v_mov_b32_e32 v2, s1
	v_add_co_u32_e32 v1, vcc, s0, v5
	s_cmp_lg_u32 s6, s7
	v_addc_co_u32_e32 v2, vcc, 0, v2, vcc
	s_cbranch_scc0 .LBB130_2
; %bb.1:
	v_add_co_u32_e32 v3, vcc, 0x1000, v1
	global_load_dword v6, v[1:2], off
	v_addc_co_u32_e32 v4, vcc, 0, v2, vcc
	global_load_dword v3, v[3:4], off
	s_add_u32 s0, s8, s4
	s_addc_u32 s1, s9, s5
	s_mov_b64 s[6:7], -1
	s_waitcnt vmcnt(1)
	global_store_dword v5, v6, s[0:1]
	s_cbranch_execz .LBB130_3
	s_branch .LBB130_10
.LBB130_2:
	s_mov_b64 s[6:7], 0
                                        ; implicit-def: $vgpr3
.LBB130_3:
	s_sub_i32 s10, s2, s10
	s_waitcnt vmcnt(1)
	v_mov_b32_e32 v3, 0
	v_cmp_gt_u32_e64 s[0:1], s10, v0
	v_mov_b32_e32 v4, v3
	s_and_saveexec_b64 s[2:3], s[0:1]
	s_cbranch_execz .LBB130_5
; %bb.4:
	global_load_dword v6, v[1:2], off
	v_mov_b32_e32 v7, v3
	s_waitcnt vmcnt(0)
	v_mov_b32_e32 v3, v6
	v_mov_b32_e32 v4, v7
.LBB130_5:
	s_or_b64 exec, exec, s[2:3]
	v_or_b32_e32 v0, 0x400, v0
	v_cmp_gt_u32_e64 s[2:3], s10, v0
	s_and_saveexec_b64 s[10:11], s[2:3]
	s_cbranch_execnz .LBB130_13
; %bb.6:
	s_or_b64 exec, exec, s[10:11]
	v_cndmask_b32_e64 v0, 0, v3, s[0:1]
	s_and_saveexec_b64 s[10:11], s[0:1]
	s_cbranch_execnz .LBB130_14
.LBB130_7:
	s_or_b64 exec, exec, s[10:11]
                                        ; implicit-def: $vgpr3
	s_and_saveexec_b64 s[0:1], s[2:3]
	s_cbranch_execz .LBB130_9
.LBB130_8:
	s_waitcnt vmcnt(0)
	v_cndmask_b32_e64 v3, 0, v4, s[2:3]
	s_or_b64 s[6:7], s[6:7], exec
.LBB130_9:
	s_or_b64 exec, exec, s[0:1]
.LBB130_10:
	s_and_saveexec_b64 s[0:1], s[6:7]
	s_cbranch_execnz .LBB130_12
; %bb.11:
	s_endpgm
.LBB130_12:
	s_add_u32 s0, s8, s4
	s_addc_u32 s1, s9, s5
	v_mov_b32_e32 v0, s1
	v_add_co_u32_e32 v1, vcc, s0, v5
	v_addc_co_u32_e32 v2, vcc, 0, v0, vcc
	v_add_co_u32_e32 v0, vcc, 0x1000, v1
	v_addc_co_u32_e32 v1, vcc, 0, v2, vcc
	s_waitcnt vmcnt(1)
	global_store_dword v[0:1], v3, off
	s_endpgm
.LBB130_13:
	v_add_co_u32_e32 v0, vcc, 0x1000, v1
	v_addc_co_u32_e32 v1, vcc, 0, v2, vcc
	global_load_dword v4, v[0:1], off
	s_or_b64 exec, exec, s[10:11]
	v_cndmask_b32_e64 v0, 0, v3, s[0:1]
	s_and_saveexec_b64 s[10:11], s[0:1]
	s_cbranch_execz .LBB130_7
.LBB130_14:
	s_add_u32 s0, s8, s4
	s_addc_u32 s1, s9, s5
	global_store_dword v5, v0, s[0:1]
	s_or_b64 exec, exec, s[10:11]
                                        ; implicit-def: $vgpr3
	s_and_saveexec_b64 s[0:1], s[2:3]
	s_cbranch_execnz .LBB130_8
	s_branch .LBB130_9
	.section	.rodata,"a",@progbits
	.p2align	6, 0x0
	.amdhsa_kernel _ZN7rocprim17ROCPRIM_304000_NS6detail16transform_kernelINS1_24wrapped_transform_configINS0_14default_configEfEEfPKfPfNS0_8identityIfEEEEvT1_mT2_T3_
		.amdhsa_group_segment_fixed_size 0
		.amdhsa_private_segment_fixed_size 0
		.amdhsa_kernarg_size 288
		.amdhsa_user_sgpr_count 6
		.amdhsa_user_sgpr_private_segment_buffer 1
		.amdhsa_user_sgpr_dispatch_ptr 0
		.amdhsa_user_sgpr_queue_ptr 0
		.amdhsa_user_sgpr_kernarg_segment_ptr 1
		.amdhsa_user_sgpr_dispatch_id 0
		.amdhsa_user_sgpr_flat_scratch_init 0
		.amdhsa_user_sgpr_private_segment_size 0
		.amdhsa_uses_dynamic_stack 0
		.amdhsa_system_sgpr_private_segment_wavefront_offset 0
		.amdhsa_system_sgpr_workgroup_id_x 1
		.amdhsa_system_sgpr_workgroup_id_y 0
		.amdhsa_system_sgpr_workgroup_id_z 0
		.amdhsa_system_sgpr_workgroup_info 0
		.amdhsa_system_vgpr_workitem_id 0
		.amdhsa_next_free_vgpr 8
		.amdhsa_next_free_sgpr 12
		.amdhsa_reserve_vcc 1
		.amdhsa_reserve_flat_scratch 0
		.amdhsa_float_round_mode_32 0
		.amdhsa_float_round_mode_16_64 0
		.amdhsa_float_denorm_mode_32 3
		.amdhsa_float_denorm_mode_16_64 3
		.amdhsa_dx10_clamp 1
		.amdhsa_ieee_mode 1
		.amdhsa_fp16_overflow 0
		.amdhsa_exception_fp_ieee_invalid_op 0
		.amdhsa_exception_fp_denorm_src 0
		.amdhsa_exception_fp_ieee_div_zero 0
		.amdhsa_exception_fp_ieee_overflow 0
		.amdhsa_exception_fp_ieee_underflow 0
		.amdhsa_exception_fp_ieee_inexact 0
		.amdhsa_exception_int_div_zero 0
	.end_amdhsa_kernel
	.section	.text._ZN7rocprim17ROCPRIM_304000_NS6detail16transform_kernelINS1_24wrapped_transform_configINS0_14default_configEfEEfPKfPfNS0_8identityIfEEEEvT1_mT2_T3_,"axG",@progbits,_ZN7rocprim17ROCPRIM_304000_NS6detail16transform_kernelINS1_24wrapped_transform_configINS0_14default_configEfEEfPKfPfNS0_8identityIfEEEEvT1_mT2_T3_,comdat
.Lfunc_end130:
	.size	_ZN7rocprim17ROCPRIM_304000_NS6detail16transform_kernelINS1_24wrapped_transform_configINS0_14default_configEfEEfPKfPfNS0_8identityIfEEEEvT1_mT2_T3_, .Lfunc_end130-_ZN7rocprim17ROCPRIM_304000_NS6detail16transform_kernelINS1_24wrapped_transform_configINS0_14default_configEfEEfPKfPfNS0_8identityIfEEEEvT1_mT2_T3_
                                        ; -- End function
	.set _ZN7rocprim17ROCPRIM_304000_NS6detail16transform_kernelINS1_24wrapped_transform_configINS0_14default_configEfEEfPKfPfNS0_8identityIfEEEEvT1_mT2_T3_.num_vgpr, 8
	.set _ZN7rocprim17ROCPRIM_304000_NS6detail16transform_kernelINS1_24wrapped_transform_configINS0_14default_configEfEEfPKfPfNS0_8identityIfEEEEvT1_mT2_T3_.num_agpr, 0
	.set _ZN7rocprim17ROCPRIM_304000_NS6detail16transform_kernelINS1_24wrapped_transform_configINS0_14default_configEfEEfPKfPfNS0_8identityIfEEEEvT1_mT2_T3_.numbered_sgpr, 12
	.set _ZN7rocprim17ROCPRIM_304000_NS6detail16transform_kernelINS1_24wrapped_transform_configINS0_14default_configEfEEfPKfPfNS0_8identityIfEEEEvT1_mT2_T3_.num_named_barrier, 0
	.set _ZN7rocprim17ROCPRIM_304000_NS6detail16transform_kernelINS1_24wrapped_transform_configINS0_14default_configEfEEfPKfPfNS0_8identityIfEEEEvT1_mT2_T3_.private_seg_size, 0
	.set _ZN7rocprim17ROCPRIM_304000_NS6detail16transform_kernelINS1_24wrapped_transform_configINS0_14default_configEfEEfPKfPfNS0_8identityIfEEEEvT1_mT2_T3_.uses_vcc, 1
	.set _ZN7rocprim17ROCPRIM_304000_NS6detail16transform_kernelINS1_24wrapped_transform_configINS0_14default_configEfEEfPKfPfNS0_8identityIfEEEEvT1_mT2_T3_.uses_flat_scratch, 0
	.set _ZN7rocprim17ROCPRIM_304000_NS6detail16transform_kernelINS1_24wrapped_transform_configINS0_14default_configEfEEfPKfPfNS0_8identityIfEEEEvT1_mT2_T3_.has_dyn_sized_stack, 0
	.set _ZN7rocprim17ROCPRIM_304000_NS6detail16transform_kernelINS1_24wrapped_transform_configINS0_14default_configEfEEfPKfPfNS0_8identityIfEEEEvT1_mT2_T3_.has_recursion, 0
	.set _ZN7rocprim17ROCPRIM_304000_NS6detail16transform_kernelINS1_24wrapped_transform_configINS0_14default_configEfEEfPKfPfNS0_8identityIfEEEEvT1_mT2_T3_.has_indirect_call, 0
	.section	.AMDGPU.csdata,"",@progbits
; Kernel info:
; codeLenInByte = 408
; TotalNumSgprs: 16
; NumVgprs: 8
; ScratchSize: 0
; MemoryBound: 0
; FloatMode: 240
; IeeeMode: 1
; LDSByteSize: 0 bytes/workgroup (compile time only)
; SGPRBlocks: 1
; VGPRBlocks: 1
; NumSGPRsForWavesPerEU: 16
; NumVGPRsForWavesPerEU: 8
; Occupancy: 10
; WaveLimiterHint : 1
; COMPUTE_PGM_RSRC2:SCRATCH_EN: 0
; COMPUTE_PGM_RSRC2:USER_SGPR: 6
; COMPUTE_PGM_RSRC2:TRAP_HANDLER: 0
; COMPUTE_PGM_RSRC2:TGID_X_EN: 1
; COMPUTE_PGM_RSRC2:TGID_Y_EN: 0
; COMPUTE_PGM_RSRC2:TGID_Z_EN: 0
; COMPUTE_PGM_RSRC2:TIDIG_COMP_CNT: 0
	.section	.text._ZN7rocprim17ROCPRIM_304000_NS6detail25onesweep_iteration_kernelINS1_34wrapped_radix_sort_onesweep_configINS0_14default_configEfN2at4cuda3cub6detail10OpaqueTypeILi8EEEEELb1EPKfPfPKSA_PSA_mNS0_19identity_decomposerEEEvT1_T2_T3_T4_jPT5_SO_PNS1_23onesweep_lookback_stateET6_jjj,"axG",@progbits,_ZN7rocprim17ROCPRIM_304000_NS6detail25onesweep_iteration_kernelINS1_34wrapped_radix_sort_onesweep_configINS0_14default_configEfN2at4cuda3cub6detail10OpaqueTypeILi8EEEEELb1EPKfPfPKSA_PSA_mNS0_19identity_decomposerEEEvT1_T2_T3_T4_jPT5_SO_PNS1_23onesweep_lookback_stateET6_jjj,comdat
	.protected	_ZN7rocprim17ROCPRIM_304000_NS6detail25onesweep_iteration_kernelINS1_34wrapped_radix_sort_onesweep_configINS0_14default_configEfN2at4cuda3cub6detail10OpaqueTypeILi8EEEEELb1EPKfPfPKSA_PSA_mNS0_19identity_decomposerEEEvT1_T2_T3_T4_jPT5_SO_PNS1_23onesweep_lookback_stateET6_jjj ; -- Begin function _ZN7rocprim17ROCPRIM_304000_NS6detail25onesweep_iteration_kernelINS1_34wrapped_radix_sort_onesweep_configINS0_14default_configEfN2at4cuda3cub6detail10OpaqueTypeILi8EEEEELb1EPKfPfPKSA_PSA_mNS0_19identity_decomposerEEEvT1_T2_T3_T4_jPT5_SO_PNS1_23onesweep_lookback_stateET6_jjj
	.globl	_ZN7rocprim17ROCPRIM_304000_NS6detail25onesweep_iteration_kernelINS1_34wrapped_radix_sort_onesweep_configINS0_14default_configEfN2at4cuda3cub6detail10OpaqueTypeILi8EEEEELb1EPKfPfPKSA_PSA_mNS0_19identity_decomposerEEEvT1_T2_T3_T4_jPT5_SO_PNS1_23onesweep_lookback_stateET6_jjj
	.p2align	8
	.type	_ZN7rocprim17ROCPRIM_304000_NS6detail25onesweep_iteration_kernelINS1_34wrapped_radix_sort_onesweep_configINS0_14default_configEfN2at4cuda3cub6detail10OpaqueTypeILi8EEEEELb1EPKfPfPKSA_PSA_mNS0_19identity_decomposerEEEvT1_T2_T3_T4_jPT5_SO_PNS1_23onesweep_lookback_stateET6_jjj,@function
_ZN7rocprim17ROCPRIM_304000_NS6detail25onesweep_iteration_kernelINS1_34wrapped_radix_sort_onesweep_configINS0_14default_configEfN2at4cuda3cub6detail10OpaqueTypeILi8EEEEELb1EPKfPfPKSA_PSA_mNS0_19identity_decomposerEEEvT1_T2_T3_T4_jPT5_SO_PNS1_23onesweep_lookback_stateET6_jjj: ; @_ZN7rocprim17ROCPRIM_304000_NS6detail25onesweep_iteration_kernelINS1_34wrapped_radix_sort_onesweep_configINS0_14default_configEfN2at4cuda3cub6detail10OpaqueTypeILi8EEEEELb1EPKfPfPKSA_PSA_mNS0_19identity_decomposerEEEvT1_T2_T3_T4_jPT5_SO_PNS1_23onesweep_lookback_stateET6_jjj
; %bb.0:
	s_load_dwordx8 s[56:63], s[4:5], 0x0
	s_load_dwordx4 s[68:71], s[4:5], 0x44
	s_load_dwordx4 s[64:67], s[4:5], 0x28
	s_load_dwordx2 s[72:73], s[4:5], 0x38
	s_mov_b32 s7, s6
	s_mov_b64 s[0:1], -1
	s_waitcnt lgkmcnt(0)
	s_cmp_ge_u32 s6, s70
	s_mul_i32 s54, s6, 0xc00
	v_mbcnt_lo_u32_b32 v29, -1, 0
	s_cbranch_scc0 .LBB131_152
; %bb.1:
	s_load_dword s2, s[4:5], 0x20
	s_mulk_i32 s70, 0xf400
	s_mov_b32 s55, 0
	s_lshl_b64 s[0:1], s[54:55], 2
	v_mbcnt_hi_u32_b32 v10, -1, v29
	s_waitcnt lgkmcnt(0)
	s_add_i32 s70, s70, s2
	s_add_u32 s0, s56, s0
	s_addc_u32 s1, s57, s1
	v_and_b32_e32 v7, 0xc0, v0
	v_lshlrev_b32_e32 v3, 2, v10
	v_mul_u32_u24_e32 v9, 12, v7
	v_mov_b32_e32 v4, s1
	v_add_co_u32_e32 v3, vcc, s0, v3
	v_addc_co_u32_e32 v4, vcc, 0, v4, vcc
	v_lshlrev_b32_e32 v5, 2, v9
	v_add_co_u32_e32 v3, vcc, v3, v5
	v_addc_co_u32_e32 v4, vcc, 0, v4, vcc
	v_or_b32_e32 v8, v10, v9
	v_mov_b32_e32 v13, -1
	v_cmp_gt_u32_e32 vcc, s70, v8
	v_mov_b32_e32 v5, -1
	s_and_saveexec_b64 s[0:1], vcc
	s_cbranch_execz .LBB131_3
; %bb.2:
	global_load_dword v5, v[3:4], off
.LBB131_3:
	s_or_b64 exec, exec, s[0:1]
	v_add_u32_e32 v6, 64, v8
	v_cmp_gt_u32_e64 s[0:1], s70, v6
	s_and_saveexec_b64 s[2:3], s[0:1]
	s_cbranch_execz .LBB131_5
; %bb.4:
	global_load_dword v13, v[3:4], off offset:256
.LBB131_5:
	s_or_b64 exec, exec, s[2:3]
	v_add_u32_e32 v6, 0x80, v8
	v_cmp_gt_u32_e64 s[2:3], s70, v6
	v_mov_b32_e32 v22, -1
	v_mov_b32_e32 v18, -1
	s_and_saveexec_b64 s[8:9], s[2:3]
	s_cbranch_execz .LBB131_7
; %bb.6:
	global_load_dword v18, v[3:4], off offset:512
.LBB131_7:
	s_or_b64 exec, exec, s[8:9]
	v_add_u32_e32 v6, 0xc0, v8
	v_cmp_gt_u32_e64 s[50:51], s70, v6
	s_and_saveexec_b64 s[8:9], s[50:51]
	s_cbranch_execz .LBB131_9
; %bb.8:
	global_load_dword v22, v[3:4], off offset:768
.LBB131_9:
	s_or_b64 exec, exec, s[8:9]
	v_add_u32_e32 v6, 0x100, v8
	v_cmp_gt_u32_e64 s[8:9], s70, v6
	v_mov_b32_e32 v36, -1
	v_mov_b32_e32 v31, -1
	s_and_saveexec_b64 s[10:11], s[8:9]
	s_cbranch_execz .LBB131_11
; %bb.10:
	global_load_dword v31, v[3:4], off offset:1024
.LBB131_11:
	;; [unrolled: 18-line block ×5, first 2 shown]
	s_or_b64 exec, exec, s[10:11]
	v_add_u32_e32 v8, 0x2c0, v8
	v_cmp_gt_u32_e64 s[10:11], s70, v8
	s_and_saveexec_b64 s[24:25], s[10:11]
	s_cbranch_execz .LBB131_25
; %bb.24:
	global_load_dword v6, v[3:4], off offset:2816
.LBB131_25:
	s_or_b64 exec, exec, s[24:25]
	s_load_dword s24, s[4:5], 0x5c
	s_load_dword s33, s[4:5], 0x50
	s_add_u32 s25, s4, 0x50
	s_addc_u32 s26, s5, 0
	v_mov_b32_e32 v3, 0
	s_waitcnt lgkmcnt(0)
	s_lshr_b32 s27, s24, 16
	s_cmp_lt_u32 s6, s33
	s_cselect_b32 s24, 12, 18
	s_add_u32 s24, s25, s24
	s_addc_u32 s25, s26, 0
	global_load_ushort v12, v3, s[24:25]
	v_bfrev_b32_e32 v15, -2
	s_waitcnt vmcnt(1)
	v_cmp_gt_i32_e64 s[24:25], 0, v5
	v_cndmask_b32_e64 v4, v15, 0, s[24:25]
	s_brev_b32 s28, 1
	v_xor_b32_e32 v8, v4, v5
	v_cmp_ne_u32_e64 s[24:25], s28, v8
	v_cndmask_b32_e64 v4, v15, v8, s[24:25]
	s_lshl_b32 s24, -1, s69
	v_lshrrev_b32_e32 v4, s68, v4
	s_not_b32 s74, s24
	v_and_b32_e32 v14, s74, v4
	v_and_b32_e32 v17, 1, v14
	v_add_co_u32_e64 v19, s[24:25], -1, v17
	v_lshlrev_b32_e32 v4, 30, v14
	v_addc_co_u32_e64 v20, s[24:25], 0, -1, s[24:25]
	v_mad_u32_u24 v5, v2, s27, v1
	v_cmp_ne_u32_e64 s[24:25], 0, v17
	v_cmp_gt_i64_e64 s[26:27], 0, v[3:4]
	v_not_b32_e32 v17, v4
	v_lshlrev_b32_e32 v4, 29, v14
	v_xor_b32_e32 v20, s25, v20
	v_xor_b32_e32 v19, s24, v19
	v_ashrrev_i32_e32 v17, 31, v17
	v_cmp_gt_i64_e64 s[24:25], 0, v[3:4]
	v_not_b32_e32 v23, v4
	v_lshlrev_b32_e32 v4, 28, v14
	v_and_b32_e32 v20, exec_hi, v20
	v_and_b32_e32 v19, exec_lo, v19
	v_xor_b32_e32 v24, s27, v17
	v_xor_b32_e32 v17, s26, v17
	v_ashrrev_i32_e32 v23, 31, v23
	v_cmp_gt_i64_e64 s[26:27], 0, v[3:4]
	v_not_b32_e32 v25, v4
	v_lshlrev_b32_e32 v4, 27, v14
	v_and_b32_e32 v20, v20, v24
	v_and_b32_e32 v17, v19, v17
	v_xor_b32_e32 v19, s25, v23
	v_xor_b32_e32 v23, s24, v23
	v_ashrrev_i32_e32 v24, 31, v25
	v_cmp_gt_i64_e64 s[24:25], 0, v[3:4]
	v_not_b32_e32 v25, v4
	v_lshlrev_b32_e32 v4, 26, v14
	v_and_b32_e32 v19, v20, v19
	v_and_b32_e32 v17, v17, v23
	;; [unrolled: 8-line block ×3, first 2 shown]
	v_xor_b32_e32 v20, s25, v24
	v_xor_b32_e32 v23, s24, v24
	v_ashrrev_i32_e32 v24, 31, v25
	v_cmp_gt_i64_e64 s[24:25], 0, v[3:4]
	v_not_b32_e32 v25, v4
	v_lshlrev_b32_e32 v4, 24, v14
	v_mul_lo_u32 v16, v14, 20
	v_and_b32_e32 v14, v19, v20
	v_and_b32_e32 v17, v17, v23
	v_xor_b32_e32 v19, s27, v24
	v_xor_b32_e32 v20, s26, v24
	v_ashrrev_i32_e32 v23, 31, v25
	v_cmp_gt_i64_e64 s[26:27], 0, v[3:4]
	v_not_b32_e32 v25, v4
	v_and_b32_e32 v17, v17, v20
	v_and_b32_e32 v14, v14, v19
	v_xor_b32_e32 v19, s25, v23
	v_mul_u32_u24_e32 v11, 20, v0
	ds_write2_b32 v11, v3, v3 offset0:4 offset1:5
	ds_write2_b32 v11, v3, v3 offset0:6 offset1:7
	ds_write_b32 v11, v3 offset:32
	s_waitcnt vmcnt(0) lgkmcnt(0)
	s_barrier
	; wave barrier
	v_mad_u64_u32 v[4:5], s[30:31], v5, v12, v[0:1]
	v_xor_b32_e32 v5, s24, v23
	v_and_b32_e32 v17, v17, v5
	v_lshrrev_b32_e32 v24, 6, v4
	v_ashrrev_i32_e32 v4, 31, v25
	v_xor_b32_e32 v5, s27, v4
	v_xor_b32_e32 v4, s26, v4
	v_and_b32_e32 v12, v14, v19
	v_and_b32_e32 v4, v17, v4
	;; [unrolled: 1-line block ×3, first 2 shown]
	v_mbcnt_lo_u32_b32 v12, v4, 0
	v_mbcnt_hi_u32_b32 v12, v5, v12
	v_cmp_ne_u64_e64 s[24:25], 0, v[4:5]
	v_cmp_eq_u32_e64 s[26:27], 0, v12
	v_lshl_add_u32 v14, v24, 2, v16
	s_and_b64 s[26:27], s[24:25], s[26:27]
	s_and_saveexec_b64 s[24:25], s[26:27]
; %bb.26:
	v_bcnt_u32_b32 v4, v4, 0
	v_bcnt_u32_b32 v4, v5, v4
	ds_write_b32 v14, v4 offset:16
; %bb.27:
	s_or_b64 exec, exec, s[24:25]
	v_cmp_gt_i32_e64 s[24:25], 0, v13
	v_cndmask_b32_e64 v4, v15, 0, s[24:25]
	v_xor_b32_e32 v13, v4, v13
	v_cmp_ne_u32_e64 s[24:25], s28, v13
	v_cndmask_b32_e64 v4, v15, v13, s[24:25]
	v_lshrrev_b32_e32 v4, s68, v4
	v_and_b32_e32 v5, s74, v4
	v_mul_lo_u32 v4, v5, 20
	; wave barrier
	v_lshl_add_u32 v16, v24, 2, v4
	v_and_b32_e32 v4, 1, v5
	v_add_co_u32_e64 v17, s[24:25], -1, v4
	v_addc_co_u32_e64 v19, s[24:25], 0, -1, s[24:25]
	v_cmp_ne_u32_e64 s[24:25], 0, v4
	v_xor_b32_e32 v4, s25, v19
	v_and_b32_e32 v19, exec_hi, v4
	v_lshlrev_b32_e32 v4, 30, v5
	v_xor_b32_e32 v17, s24, v17
	v_cmp_gt_i64_e64 s[24:25], 0, v[3:4]
	v_not_b32_e32 v4, v4
	v_ashrrev_i32_e32 v4, 31, v4
	v_and_b32_e32 v17, exec_lo, v17
	v_xor_b32_e32 v20, s25, v4
	v_xor_b32_e32 v4, s24, v4
	v_and_b32_e32 v17, v17, v4
	v_lshlrev_b32_e32 v4, 29, v5
	v_cmp_gt_i64_e64 s[24:25], 0, v[3:4]
	v_not_b32_e32 v4, v4
	v_ashrrev_i32_e32 v4, 31, v4
	v_and_b32_e32 v19, v19, v20
	v_xor_b32_e32 v20, s25, v4
	v_xor_b32_e32 v4, s24, v4
	v_and_b32_e32 v17, v17, v4
	v_lshlrev_b32_e32 v4, 28, v5
	v_cmp_gt_i64_e64 s[24:25], 0, v[3:4]
	v_not_b32_e32 v4, v4
	v_ashrrev_i32_e32 v4, 31, v4
	v_and_b32_e32 v19, v19, v20
	v_xor_b32_e32 v20, s25, v4
	v_xor_b32_e32 v4, s24, v4
	v_and_b32_e32 v17, v17, v4
	v_lshlrev_b32_e32 v4, 27, v5
	v_cmp_gt_i64_e64 s[24:25], 0, v[3:4]
	v_not_b32_e32 v4, v4
	v_ashrrev_i32_e32 v4, 31, v4
	v_and_b32_e32 v19, v19, v20
	v_xor_b32_e32 v20, s25, v4
	v_xor_b32_e32 v4, s24, v4
	v_and_b32_e32 v17, v17, v4
	v_lshlrev_b32_e32 v4, 26, v5
	v_cmp_gt_i64_e64 s[24:25], 0, v[3:4]
	v_not_b32_e32 v4, v4
	v_ashrrev_i32_e32 v4, 31, v4
	v_and_b32_e32 v19, v19, v20
	v_xor_b32_e32 v20, s25, v4
	v_xor_b32_e32 v4, s24, v4
	v_and_b32_e32 v17, v17, v4
	v_lshlrev_b32_e32 v4, 25, v5
	v_cmp_gt_i64_e64 s[24:25], 0, v[3:4]
	v_not_b32_e32 v4, v4
	v_ashrrev_i32_e32 v4, 31, v4
	v_and_b32_e32 v19, v19, v20
	v_xor_b32_e32 v20, s25, v4
	v_xor_b32_e32 v4, s24, v4
	v_and_b32_e32 v17, v17, v4
	v_lshlrev_b32_e32 v4, 24, v5
	v_cmp_gt_i64_e64 s[24:25], 0, v[3:4]
	v_not_b32_e32 v3, v4
	v_ashrrev_i32_e32 v3, 31, v3
	v_xor_b32_e32 v4, s25, v3
	v_xor_b32_e32 v3, s24, v3
	ds_read_b32 v15, v16 offset:16
	v_and_b32_e32 v19, v19, v20
	v_and_b32_e32 v3, v17, v3
	;; [unrolled: 1-line block ×3, first 2 shown]
	v_mbcnt_lo_u32_b32 v5, v3, 0
	v_mbcnt_hi_u32_b32 v17, v4, v5
	v_cmp_ne_u64_e64 s[24:25], 0, v[3:4]
	v_cmp_eq_u32_e64 s[26:27], 0, v17
	s_and_b64 s[26:27], s[24:25], s[26:27]
	; wave barrier
	s_and_saveexec_b64 s[24:25], s[26:27]
	s_cbranch_execz .LBB131_29
; %bb.28:
	v_bcnt_u32_b32 v3, v3, 0
	v_bcnt_u32_b32 v3, v4, v3
	s_waitcnt lgkmcnt(0)
	v_add_u32_e32 v3, v15, v3
	ds_write_b32 v16, v3 offset:16
.LBB131_29:
	s_or_b64 exec, exec, s[24:25]
	v_bfrev_b32_e32 v25, -2
	v_cmp_gt_i32_e64 s[24:25], 0, v18
	v_cndmask_b32_e64 v3, v25, 0, s[24:25]
	v_xor_b32_e32 v18, v3, v18
	v_cmp_ne_u32_e64 s[24:25], s28, v18
	v_cndmask_b32_e64 v3, v25, v18, s[24:25]
	v_lshrrev_b32_e32 v3, s68, v3
	v_and_b32_e32 v5, s74, v3
	v_and_b32_e32 v4, 1, v5
	v_mul_lo_u32 v3, v5, 20
	v_add_co_u32_e64 v23, s[24:25], -1, v4
	v_addc_co_u32_e64 v27, s[24:25], 0, -1, s[24:25]
	v_cmp_ne_u32_e64 s[24:25], 0, v4
	v_xor_b32_e32 v4, s25, v27
	v_lshl_add_u32 v20, v24, 2, v3
	v_mov_b32_e32 v3, 0
	v_and_b32_e32 v27, exec_hi, v4
	v_lshlrev_b32_e32 v4, 30, v5
	v_xor_b32_e32 v23, s24, v23
	v_cmp_gt_i64_e64 s[24:25], 0, v[3:4]
	v_not_b32_e32 v4, v4
	v_ashrrev_i32_e32 v4, 31, v4
	v_and_b32_e32 v23, exec_lo, v23
	v_xor_b32_e32 v28, s25, v4
	v_xor_b32_e32 v4, s24, v4
	v_and_b32_e32 v23, v23, v4
	v_lshlrev_b32_e32 v4, 29, v5
	v_cmp_gt_i64_e64 s[24:25], 0, v[3:4]
	v_not_b32_e32 v4, v4
	v_ashrrev_i32_e32 v4, 31, v4
	v_and_b32_e32 v27, v27, v28
	v_xor_b32_e32 v28, s25, v4
	v_xor_b32_e32 v4, s24, v4
	v_and_b32_e32 v23, v23, v4
	v_lshlrev_b32_e32 v4, 28, v5
	v_cmp_gt_i64_e64 s[24:25], 0, v[3:4]
	v_not_b32_e32 v4, v4
	v_ashrrev_i32_e32 v4, 31, v4
	v_and_b32_e32 v27, v27, v28
	;; [unrolled: 8-line block ×5, first 2 shown]
	v_xor_b32_e32 v28, s25, v4
	v_xor_b32_e32 v4, s24, v4
	v_and_b32_e32 v23, v23, v4
	v_lshlrev_b32_e32 v4, 24, v5
	v_cmp_gt_i64_e64 s[24:25], 0, v[3:4]
	v_not_b32_e32 v4, v4
	v_ashrrev_i32_e32 v4, 31, v4
	v_xor_b32_e32 v5, s25, v4
	v_xor_b32_e32 v4, s24, v4
	; wave barrier
	ds_read_b32 v19, v20 offset:16
	v_and_b32_e32 v27, v27, v28
	v_and_b32_e32 v4, v23, v4
	;; [unrolled: 1-line block ×3, first 2 shown]
	v_mbcnt_lo_u32_b32 v23, v4, 0
	v_mbcnt_hi_u32_b32 v23, v5, v23
	v_cmp_ne_u64_e64 s[24:25], 0, v[4:5]
	v_cmp_eq_u32_e64 s[26:27], 0, v23
	s_and_b64 s[26:27], s[24:25], s[26:27]
	; wave barrier
	s_and_saveexec_b64 s[24:25], s[26:27]
	s_cbranch_execz .LBB131_31
; %bb.30:
	v_bcnt_u32_b32 v4, v4, 0
	v_bcnt_u32_b32 v4, v5, v4
	s_waitcnt lgkmcnt(0)
	v_add_u32_e32 v4, v19, v4
	ds_write_b32 v20, v4 offset:16
.LBB131_31:
	s_or_b64 exec, exec, s[24:25]
	v_cmp_gt_i32_e64 s[24:25], 0, v22
	v_cndmask_b32_e64 v4, v25, 0, s[24:25]
	v_xor_b32_e32 v22, v4, v22
	v_cmp_ne_u32_e64 s[24:25], s28, v22
	v_cndmask_b32_e64 v4, v25, v22, s[24:25]
	v_lshrrev_b32_e32 v4, s68, v4
	v_and_b32_e32 v5, s74, v4
	v_mul_lo_u32 v4, v5, 20
	; wave barrier
	v_lshl_add_u32 v27, v24, 2, v4
	v_and_b32_e32 v4, 1, v5
	v_add_co_u32_e64 v28, s[24:25], -1, v4
	v_addc_co_u32_e64 v32, s[24:25], 0, -1, s[24:25]
	v_cmp_ne_u32_e64 s[24:25], 0, v4
	v_xor_b32_e32 v4, s25, v32
	v_and_b32_e32 v32, exec_hi, v4
	v_lshlrev_b32_e32 v4, 30, v5
	v_xor_b32_e32 v28, s24, v28
	v_cmp_gt_i64_e64 s[24:25], 0, v[3:4]
	v_not_b32_e32 v4, v4
	v_ashrrev_i32_e32 v4, 31, v4
	v_and_b32_e32 v28, exec_lo, v28
	v_xor_b32_e32 v33, s25, v4
	v_xor_b32_e32 v4, s24, v4
	v_and_b32_e32 v28, v28, v4
	v_lshlrev_b32_e32 v4, 29, v5
	v_cmp_gt_i64_e64 s[24:25], 0, v[3:4]
	v_not_b32_e32 v4, v4
	v_ashrrev_i32_e32 v4, 31, v4
	v_and_b32_e32 v32, v32, v33
	v_xor_b32_e32 v33, s25, v4
	v_xor_b32_e32 v4, s24, v4
	v_and_b32_e32 v28, v28, v4
	v_lshlrev_b32_e32 v4, 28, v5
	v_cmp_gt_i64_e64 s[24:25], 0, v[3:4]
	v_not_b32_e32 v4, v4
	v_ashrrev_i32_e32 v4, 31, v4
	v_and_b32_e32 v32, v32, v33
	;; [unrolled: 8-line block ×5, first 2 shown]
	v_xor_b32_e32 v33, s25, v4
	v_xor_b32_e32 v4, s24, v4
	v_and_b32_e32 v28, v28, v4
	v_lshlrev_b32_e32 v4, 24, v5
	v_cmp_gt_i64_e64 s[24:25], 0, v[3:4]
	v_not_b32_e32 v3, v4
	v_ashrrev_i32_e32 v3, 31, v3
	v_xor_b32_e32 v4, s25, v3
	v_xor_b32_e32 v3, s24, v3
	ds_read_b32 v25, v27 offset:16
	v_and_b32_e32 v32, v32, v33
	v_and_b32_e32 v3, v28, v3
	;; [unrolled: 1-line block ×3, first 2 shown]
	v_mbcnt_lo_u32_b32 v5, v3, 0
	v_mbcnt_hi_u32_b32 v28, v4, v5
	v_cmp_ne_u64_e64 s[24:25], 0, v[3:4]
	v_cmp_eq_u32_e64 s[26:27], 0, v28
	s_and_b64 s[26:27], s[24:25], s[26:27]
	; wave barrier
	s_and_saveexec_b64 s[24:25], s[26:27]
	s_cbranch_execz .LBB131_33
; %bb.32:
	v_bcnt_u32_b32 v3, v3, 0
	v_bcnt_u32_b32 v3, v4, v3
	s_waitcnt lgkmcnt(0)
	v_add_u32_e32 v3, v25, v3
	ds_write_b32 v27, v3 offset:16
.LBB131_33:
	s_or_b64 exec, exec, s[24:25]
	v_bfrev_b32_e32 v37, -2
	v_cmp_gt_i32_e64 s[24:25], 0, v31
	v_cndmask_b32_e64 v3, v37, 0, s[24:25]
	v_xor_b32_e32 v31, v3, v31
	v_cmp_ne_u32_e64 s[24:25], s28, v31
	v_cndmask_b32_e64 v3, v37, v31, s[24:25]
	v_lshrrev_b32_e32 v3, s68, v3
	v_and_b32_e32 v5, s74, v3
	v_and_b32_e32 v4, 1, v5
	v_mul_lo_u32 v3, v5, 20
	v_add_co_u32_e64 v34, s[24:25], -1, v4
	v_addc_co_u32_e64 v38, s[24:25], 0, -1, s[24:25]
	v_cmp_ne_u32_e64 s[24:25], 0, v4
	v_xor_b32_e32 v4, s25, v38
	v_lshl_add_u32 v33, v24, 2, v3
	v_mov_b32_e32 v3, 0
	v_and_b32_e32 v38, exec_hi, v4
	v_lshlrev_b32_e32 v4, 30, v5
	v_xor_b32_e32 v34, s24, v34
	v_cmp_gt_i64_e64 s[24:25], 0, v[3:4]
	v_not_b32_e32 v4, v4
	v_ashrrev_i32_e32 v4, 31, v4
	v_and_b32_e32 v34, exec_lo, v34
	v_xor_b32_e32 v40, s25, v4
	v_xor_b32_e32 v4, s24, v4
	v_and_b32_e32 v34, v34, v4
	v_lshlrev_b32_e32 v4, 29, v5
	v_cmp_gt_i64_e64 s[24:25], 0, v[3:4]
	v_not_b32_e32 v4, v4
	v_ashrrev_i32_e32 v4, 31, v4
	v_and_b32_e32 v38, v38, v40
	v_xor_b32_e32 v40, s25, v4
	v_xor_b32_e32 v4, s24, v4
	v_and_b32_e32 v34, v34, v4
	v_lshlrev_b32_e32 v4, 28, v5
	v_cmp_gt_i64_e64 s[24:25], 0, v[3:4]
	v_not_b32_e32 v4, v4
	v_ashrrev_i32_e32 v4, 31, v4
	v_and_b32_e32 v38, v38, v40
	;; [unrolled: 8-line block ×5, first 2 shown]
	v_xor_b32_e32 v40, s25, v4
	v_xor_b32_e32 v4, s24, v4
	v_and_b32_e32 v34, v34, v4
	v_lshlrev_b32_e32 v4, 24, v5
	v_cmp_gt_i64_e64 s[24:25], 0, v[3:4]
	v_not_b32_e32 v4, v4
	v_ashrrev_i32_e32 v4, 31, v4
	v_xor_b32_e32 v5, s25, v4
	v_xor_b32_e32 v4, s24, v4
	; wave barrier
	ds_read_b32 v32, v33 offset:16
	v_and_b32_e32 v38, v38, v40
	v_and_b32_e32 v4, v34, v4
	v_and_b32_e32 v5, v38, v5
	v_mbcnt_lo_u32_b32 v34, v4, 0
	v_mbcnt_hi_u32_b32 v34, v5, v34
	v_cmp_ne_u64_e64 s[24:25], 0, v[4:5]
	v_cmp_eq_u32_e64 s[26:27], 0, v34
	s_and_b64 s[26:27], s[24:25], s[26:27]
	; wave barrier
	s_and_saveexec_b64 s[24:25], s[26:27]
	s_cbranch_execz .LBB131_35
; %bb.34:
	v_bcnt_u32_b32 v4, v4, 0
	v_bcnt_u32_b32 v4, v5, v4
	s_waitcnt lgkmcnt(0)
	v_add_u32_e32 v4, v32, v4
	ds_write_b32 v33, v4 offset:16
.LBB131_35:
	s_or_b64 exec, exec, s[24:25]
	v_cmp_gt_i32_e64 s[24:25], 0, v36
	v_cndmask_b32_e64 v4, v37, 0, s[24:25]
	v_xor_b32_e32 v45, v4, v36
	v_cmp_ne_u32_e64 s[24:25], s28, v45
	v_cndmask_b32_e64 v4, v37, v45, s[24:25]
	v_lshrrev_b32_e32 v4, s68, v4
	v_and_b32_e32 v5, s74, v4
	v_mul_lo_u32 v4, v5, 20
	; wave barrier
	v_lshl_add_u32 v37, v24, 2, v4
	v_and_b32_e32 v4, 1, v5
	v_add_co_u32_e64 v38, s[24:25], -1, v4
	v_addc_co_u32_e64 v40, s[24:25], 0, -1, s[24:25]
	v_cmp_ne_u32_e64 s[24:25], 0, v4
	v_xor_b32_e32 v4, s25, v40
	v_and_b32_e32 v40, exec_hi, v4
	v_lshlrev_b32_e32 v4, 30, v5
	v_xor_b32_e32 v38, s24, v38
	v_cmp_gt_i64_e64 s[24:25], 0, v[3:4]
	v_not_b32_e32 v4, v4
	v_ashrrev_i32_e32 v4, 31, v4
	v_and_b32_e32 v38, exec_lo, v38
	v_xor_b32_e32 v41, s25, v4
	v_xor_b32_e32 v4, s24, v4
	v_and_b32_e32 v38, v38, v4
	v_lshlrev_b32_e32 v4, 29, v5
	v_cmp_gt_i64_e64 s[24:25], 0, v[3:4]
	v_not_b32_e32 v4, v4
	v_ashrrev_i32_e32 v4, 31, v4
	v_and_b32_e32 v40, v40, v41
	v_xor_b32_e32 v41, s25, v4
	v_xor_b32_e32 v4, s24, v4
	v_and_b32_e32 v38, v38, v4
	v_lshlrev_b32_e32 v4, 28, v5
	v_cmp_gt_i64_e64 s[24:25], 0, v[3:4]
	v_not_b32_e32 v4, v4
	v_ashrrev_i32_e32 v4, 31, v4
	v_and_b32_e32 v40, v40, v41
	;; [unrolled: 8-line block ×5, first 2 shown]
	v_xor_b32_e32 v41, s25, v4
	v_xor_b32_e32 v4, s24, v4
	v_and_b32_e32 v38, v38, v4
	v_lshlrev_b32_e32 v4, 24, v5
	v_cmp_gt_i64_e64 s[24:25], 0, v[3:4]
	v_not_b32_e32 v3, v4
	v_ashrrev_i32_e32 v3, 31, v3
	v_xor_b32_e32 v4, s25, v3
	v_xor_b32_e32 v3, s24, v3
	ds_read_b32 v36, v37 offset:16
	v_and_b32_e32 v40, v40, v41
	v_and_b32_e32 v3, v38, v3
	v_and_b32_e32 v4, v40, v4
	v_mbcnt_lo_u32_b32 v5, v3, 0
	v_mbcnt_hi_u32_b32 v38, v4, v5
	v_cmp_ne_u64_e64 s[24:25], 0, v[3:4]
	v_cmp_eq_u32_e64 s[26:27], 0, v38
	s_and_b64 s[26:27], s[24:25], s[26:27]
	; wave barrier
	s_and_saveexec_b64 s[24:25], s[26:27]
	s_cbranch_execz .LBB131_37
; %bb.36:
	v_bcnt_u32_b32 v3, v3, 0
	v_bcnt_u32_b32 v3, v4, v3
	s_waitcnt lgkmcnt(0)
	v_add_u32_e32 v3, v36, v3
	ds_write_b32 v37, v3 offset:16
.LBB131_37:
	s_or_b64 exec, exec, s[24:25]
	v_bfrev_b32_e32 v40, -2
	v_cmp_gt_i32_e64 s[24:25], 0, v39
	v_cndmask_b32_e64 v3, v40, 0, s[24:25]
	v_xor_b32_e32 v46, v3, v39
	v_cmp_ne_u32_e64 s[24:25], s28, v46
	v_cndmask_b32_e64 v3, v40, v46, s[24:25]
	v_lshrrev_b32_e32 v3, s68, v3
	v_and_b32_e32 v5, s74, v3
	v_and_b32_e32 v4, 1, v5
	v_mul_lo_u32 v3, v5, 20
	v_add_co_u32_e64 v41, s[24:25], -1, v4
	v_addc_co_u32_e64 v42, s[24:25], 0, -1, s[24:25]
	v_cmp_ne_u32_e64 s[24:25], 0, v4
	v_xor_b32_e32 v4, s25, v42
	v_lshl_add_u32 v39, v24, 2, v3
	v_mov_b32_e32 v3, 0
	v_and_b32_e32 v42, exec_hi, v4
	v_lshlrev_b32_e32 v4, 30, v5
	v_xor_b32_e32 v41, s24, v41
	v_cmp_gt_i64_e64 s[24:25], 0, v[3:4]
	v_not_b32_e32 v4, v4
	v_ashrrev_i32_e32 v4, 31, v4
	v_and_b32_e32 v41, exec_lo, v41
	v_xor_b32_e32 v43, s25, v4
	v_xor_b32_e32 v4, s24, v4
	v_and_b32_e32 v41, v41, v4
	v_lshlrev_b32_e32 v4, 29, v5
	v_cmp_gt_i64_e64 s[24:25], 0, v[3:4]
	v_not_b32_e32 v4, v4
	v_ashrrev_i32_e32 v4, 31, v4
	v_and_b32_e32 v42, v42, v43
	v_xor_b32_e32 v43, s25, v4
	v_xor_b32_e32 v4, s24, v4
	v_and_b32_e32 v41, v41, v4
	v_lshlrev_b32_e32 v4, 28, v5
	v_cmp_gt_i64_e64 s[24:25], 0, v[3:4]
	v_not_b32_e32 v4, v4
	v_ashrrev_i32_e32 v4, 31, v4
	v_and_b32_e32 v42, v42, v43
	;; [unrolled: 8-line block ×5, first 2 shown]
	v_xor_b32_e32 v43, s25, v4
	v_xor_b32_e32 v4, s24, v4
	v_and_b32_e32 v41, v41, v4
	v_lshlrev_b32_e32 v4, 24, v5
	v_cmp_gt_i64_e64 s[24:25], 0, v[3:4]
	v_not_b32_e32 v4, v4
	v_ashrrev_i32_e32 v4, 31, v4
	v_xor_b32_e32 v5, s25, v4
	v_xor_b32_e32 v4, s24, v4
	; wave barrier
	ds_read_b32 v47, v39 offset:16
	v_and_b32_e32 v42, v42, v43
	v_and_b32_e32 v4, v41, v4
	;; [unrolled: 1-line block ×3, first 2 shown]
	v_mbcnt_lo_u32_b32 v41, v4, 0
	v_mbcnt_hi_u32_b32 v49, v5, v41
	v_cmp_ne_u64_e64 s[24:25], 0, v[4:5]
	v_cmp_eq_u32_e64 s[26:27], 0, v49
	s_and_b64 s[26:27], s[24:25], s[26:27]
	; wave barrier
	s_and_saveexec_b64 s[24:25], s[26:27]
	s_cbranch_execz .LBB131_39
; %bb.38:
	v_bcnt_u32_b32 v4, v4, 0
	v_bcnt_u32_b32 v4, v5, v4
	s_waitcnt lgkmcnt(0)
	v_add_u32_e32 v4, v47, v4
	ds_write_b32 v39, v4 offset:16
.LBB131_39:
	s_or_b64 exec, exec, s[24:25]
	v_cmp_gt_i32_e64 s[24:25], 0, v35
	v_cndmask_b32_e64 v4, v40, 0, s[24:25]
	v_xor_b32_e32 v48, v4, v35
	v_cmp_ne_u32_e64 s[24:25], s28, v48
	v_cndmask_b32_e64 v4, v40, v48, s[24:25]
	v_lshrrev_b32_e32 v4, s68, v4
	v_and_b32_e32 v5, s74, v4
	v_mul_lo_u32 v4, v5, 20
	; wave barrier
	v_lshl_add_u32 v40, v24, 2, v4
	v_and_b32_e32 v4, 1, v5
	v_add_co_u32_e64 v41, s[24:25], -1, v4
	v_addc_co_u32_e64 v42, s[24:25], 0, -1, s[24:25]
	v_cmp_ne_u32_e64 s[24:25], 0, v4
	v_xor_b32_e32 v4, s25, v42
	v_and_b32_e32 v42, exec_hi, v4
	v_lshlrev_b32_e32 v4, 30, v5
	v_xor_b32_e32 v41, s24, v41
	v_cmp_gt_i64_e64 s[24:25], 0, v[3:4]
	v_not_b32_e32 v4, v4
	v_ashrrev_i32_e32 v4, 31, v4
	v_and_b32_e32 v41, exec_lo, v41
	v_xor_b32_e32 v43, s25, v4
	v_xor_b32_e32 v4, s24, v4
	v_and_b32_e32 v41, v41, v4
	v_lshlrev_b32_e32 v4, 29, v5
	v_cmp_gt_i64_e64 s[24:25], 0, v[3:4]
	v_not_b32_e32 v4, v4
	v_ashrrev_i32_e32 v4, 31, v4
	v_and_b32_e32 v42, v42, v43
	v_xor_b32_e32 v43, s25, v4
	v_xor_b32_e32 v4, s24, v4
	v_and_b32_e32 v41, v41, v4
	v_lshlrev_b32_e32 v4, 28, v5
	v_cmp_gt_i64_e64 s[24:25], 0, v[3:4]
	v_not_b32_e32 v4, v4
	v_ashrrev_i32_e32 v4, 31, v4
	v_and_b32_e32 v42, v42, v43
	;; [unrolled: 8-line block ×5, first 2 shown]
	v_xor_b32_e32 v43, s25, v4
	v_xor_b32_e32 v4, s24, v4
	v_and_b32_e32 v41, v41, v4
	v_lshlrev_b32_e32 v4, 24, v5
	v_cmp_gt_i64_e64 s[24:25], 0, v[3:4]
	v_not_b32_e32 v3, v4
	v_ashrrev_i32_e32 v3, 31, v3
	v_xor_b32_e32 v4, s25, v3
	v_xor_b32_e32 v3, s24, v3
	ds_read_b32 v35, v40 offset:16
	v_and_b32_e32 v42, v42, v43
	v_and_b32_e32 v3, v41, v3
	;; [unrolled: 1-line block ×3, first 2 shown]
	v_mbcnt_lo_u32_b32 v5, v3, 0
	v_mbcnt_hi_u32_b32 v51, v4, v5
	v_cmp_ne_u64_e64 s[24:25], 0, v[3:4]
	v_cmp_eq_u32_e64 s[26:27], 0, v51
	s_and_b64 s[26:27], s[24:25], s[26:27]
	; wave barrier
	s_and_saveexec_b64 s[24:25], s[26:27]
	s_cbranch_execz .LBB131_41
; %bb.40:
	v_bcnt_u32_b32 v3, v3, 0
	v_bcnt_u32_b32 v3, v4, v3
	s_waitcnt lgkmcnt(0)
	v_add_u32_e32 v3, v35, v3
	ds_write_b32 v40, v3 offset:16
.LBB131_41:
	s_or_b64 exec, exec, s[24:25]
	v_bfrev_b32_e32 v41, -2
	v_cmp_gt_i32_e64 s[24:25], 0, v30
	v_cndmask_b32_e64 v3, v41, 0, s[24:25]
	v_xor_b32_e32 v50, v3, v30
	v_cmp_ne_u32_e64 s[24:25], s28, v50
	v_cndmask_b32_e64 v3, v41, v50, s[24:25]
	v_lshrrev_b32_e32 v3, s68, v3
	v_and_b32_e32 v5, s74, v3
	v_and_b32_e32 v4, 1, v5
	v_mul_lo_u32 v3, v5, 20
	v_add_co_u32_e64 v42, s[24:25], -1, v4
	v_addc_co_u32_e64 v43, s[24:25], 0, -1, s[24:25]
	v_cmp_ne_u32_e64 s[24:25], 0, v4
	v_xor_b32_e32 v4, s25, v43
	v_lshl_add_u32 v30, v24, 2, v3
	v_mov_b32_e32 v3, 0
	v_and_b32_e32 v43, exec_hi, v4
	v_lshlrev_b32_e32 v4, 30, v5
	v_xor_b32_e32 v42, s24, v42
	v_cmp_gt_i64_e64 s[24:25], 0, v[3:4]
	v_not_b32_e32 v4, v4
	v_ashrrev_i32_e32 v4, 31, v4
	v_and_b32_e32 v42, exec_lo, v42
	v_xor_b32_e32 v44, s25, v4
	v_xor_b32_e32 v4, s24, v4
	v_and_b32_e32 v42, v42, v4
	v_lshlrev_b32_e32 v4, 29, v5
	v_cmp_gt_i64_e64 s[24:25], 0, v[3:4]
	v_not_b32_e32 v4, v4
	v_ashrrev_i32_e32 v4, 31, v4
	v_and_b32_e32 v43, v43, v44
	v_xor_b32_e32 v44, s25, v4
	v_xor_b32_e32 v4, s24, v4
	v_and_b32_e32 v42, v42, v4
	v_lshlrev_b32_e32 v4, 28, v5
	v_cmp_gt_i64_e64 s[24:25], 0, v[3:4]
	v_not_b32_e32 v4, v4
	v_ashrrev_i32_e32 v4, 31, v4
	v_and_b32_e32 v43, v43, v44
	;; [unrolled: 8-line block ×5, first 2 shown]
	v_xor_b32_e32 v44, s25, v4
	v_xor_b32_e32 v4, s24, v4
	v_and_b32_e32 v42, v42, v4
	v_lshlrev_b32_e32 v4, 24, v5
	v_cmp_gt_i64_e64 s[24:25], 0, v[3:4]
	v_not_b32_e32 v4, v4
	v_ashrrev_i32_e32 v4, 31, v4
	v_xor_b32_e32 v5, s25, v4
	v_xor_b32_e32 v4, s24, v4
	; wave barrier
	ds_read_b32 v52, v30 offset:16
	v_and_b32_e32 v43, v43, v44
	v_and_b32_e32 v4, v42, v4
	;; [unrolled: 1-line block ×3, first 2 shown]
	v_mbcnt_lo_u32_b32 v42, v4, 0
	v_mbcnt_hi_u32_b32 v53, v5, v42
	v_cmp_ne_u64_e64 s[24:25], 0, v[4:5]
	v_cmp_eq_u32_e64 s[26:27], 0, v53
	s_and_b64 s[26:27], s[24:25], s[26:27]
	; wave barrier
	s_and_saveexec_b64 s[24:25], s[26:27]
	s_cbranch_execz .LBB131_43
; %bb.42:
	v_bcnt_u32_b32 v4, v4, 0
	v_bcnt_u32_b32 v4, v5, v4
	s_waitcnt lgkmcnt(0)
	v_add_u32_e32 v4, v52, v4
	ds_write_b32 v30, v4 offset:16
.LBB131_43:
	s_or_b64 exec, exec, s[24:25]
	v_cmp_gt_i32_e64 s[24:25], 0, v26
	v_cndmask_b32_e64 v4, v41, 0, s[24:25]
	v_xor_b32_e32 v26, v4, v26
	v_cmp_ne_u32_e64 s[24:25], s28, v26
	v_cndmask_b32_e64 v4, v41, v26, s[24:25]
	v_lshrrev_b32_e32 v4, s68, v4
	v_and_b32_e32 v5, s74, v4
	v_mul_lo_u32 v4, v5, 20
	; wave barrier
	v_lshl_add_u32 v41, v24, 2, v4
	v_and_b32_e32 v4, 1, v5
	v_add_co_u32_e64 v42, s[24:25], -1, v4
	v_addc_co_u32_e64 v43, s[24:25], 0, -1, s[24:25]
	v_cmp_ne_u32_e64 s[24:25], 0, v4
	v_xor_b32_e32 v4, s25, v43
	v_and_b32_e32 v43, exec_hi, v4
	v_lshlrev_b32_e32 v4, 30, v5
	v_xor_b32_e32 v42, s24, v42
	v_cmp_gt_i64_e64 s[24:25], 0, v[3:4]
	v_not_b32_e32 v4, v4
	v_ashrrev_i32_e32 v4, 31, v4
	v_and_b32_e32 v42, exec_lo, v42
	v_xor_b32_e32 v44, s25, v4
	v_xor_b32_e32 v4, s24, v4
	v_and_b32_e32 v42, v42, v4
	v_lshlrev_b32_e32 v4, 29, v5
	v_cmp_gt_i64_e64 s[24:25], 0, v[3:4]
	v_not_b32_e32 v4, v4
	v_ashrrev_i32_e32 v4, 31, v4
	v_and_b32_e32 v43, v43, v44
	v_xor_b32_e32 v44, s25, v4
	v_xor_b32_e32 v4, s24, v4
	v_and_b32_e32 v42, v42, v4
	v_lshlrev_b32_e32 v4, 28, v5
	v_cmp_gt_i64_e64 s[24:25], 0, v[3:4]
	v_not_b32_e32 v4, v4
	v_ashrrev_i32_e32 v4, 31, v4
	v_and_b32_e32 v43, v43, v44
	;; [unrolled: 8-line block ×5, first 2 shown]
	v_xor_b32_e32 v44, s25, v4
	v_xor_b32_e32 v4, s24, v4
	v_and_b32_e32 v42, v42, v4
	v_lshlrev_b32_e32 v4, 24, v5
	v_cmp_gt_i64_e64 s[24:25], 0, v[3:4]
	v_not_b32_e32 v3, v4
	v_ashrrev_i32_e32 v3, 31, v3
	v_xor_b32_e32 v4, s25, v3
	v_xor_b32_e32 v3, s24, v3
	ds_read_b32 v54, v41 offset:16
	v_and_b32_e32 v43, v43, v44
	v_and_b32_e32 v3, v42, v3
	;; [unrolled: 1-line block ×3, first 2 shown]
	v_mbcnt_lo_u32_b32 v5, v3, 0
	v_mbcnt_hi_u32_b32 v55, v4, v5
	v_cmp_ne_u64_e64 s[24:25], 0, v[3:4]
	v_cmp_eq_u32_e64 s[26:27], 0, v55
	s_and_b64 s[26:27], s[24:25], s[26:27]
	; wave barrier
	s_and_saveexec_b64 s[24:25], s[26:27]
	s_cbranch_execz .LBB131_45
; %bb.44:
	v_bcnt_u32_b32 v3, v3, 0
	v_bcnt_u32_b32 v3, v4, v3
	s_waitcnt lgkmcnt(0)
	v_add_u32_e32 v3, v54, v3
	ds_write_b32 v41, v3 offset:16
.LBB131_45:
	s_or_b64 exec, exec, s[24:25]
	v_bfrev_b32_e32 v43, -2
	v_cmp_gt_i32_e64 s[24:25], 0, v21
	v_cndmask_b32_e64 v3, v43, 0, s[24:25]
	v_xor_b32_e32 v21, v3, v21
	v_cmp_ne_u32_e64 s[24:25], s28, v21
	v_cndmask_b32_e64 v3, v43, v21, s[24:25]
	v_lshrrev_b32_e32 v3, s68, v3
	v_and_b32_e32 v5, s74, v3
	v_and_b32_e32 v4, 1, v5
	v_mul_lo_u32 v3, v5, 20
	v_add_co_u32_e64 v44, s[24:25], -1, v4
	v_addc_co_u32_e64 v57, s[24:25], 0, -1, s[24:25]
	v_cmp_ne_u32_e64 s[24:25], 0, v4
	v_xor_b32_e32 v4, s25, v57
	v_lshl_add_u32 v42, v24, 2, v3
	v_mov_b32_e32 v3, 0
	v_and_b32_e32 v57, exec_hi, v4
	v_lshlrev_b32_e32 v4, 30, v5
	v_xor_b32_e32 v44, s24, v44
	v_cmp_gt_i64_e64 s[24:25], 0, v[3:4]
	v_not_b32_e32 v4, v4
	v_ashrrev_i32_e32 v4, 31, v4
	v_and_b32_e32 v44, exec_lo, v44
	v_xor_b32_e32 v58, s25, v4
	v_xor_b32_e32 v4, s24, v4
	v_and_b32_e32 v44, v44, v4
	v_lshlrev_b32_e32 v4, 29, v5
	v_cmp_gt_i64_e64 s[24:25], 0, v[3:4]
	v_not_b32_e32 v4, v4
	v_ashrrev_i32_e32 v4, 31, v4
	v_and_b32_e32 v57, v57, v58
	v_xor_b32_e32 v58, s25, v4
	v_xor_b32_e32 v4, s24, v4
	v_and_b32_e32 v44, v44, v4
	v_lshlrev_b32_e32 v4, 28, v5
	v_cmp_gt_i64_e64 s[24:25], 0, v[3:4]
	v_not_b32_e32 v4, v4
	v_ashrrev_i32_e32 v4, 31, v4
	v_and_b32_e32 v57, v57, v58
	;; [unrolled: 8-line block ×5, first 2 shown]
	v_xor_b32_e32 v58, s25, v4
	v_xor_b32_e32 v4, s24, v4
	v_and_b32_e32 v44, v44, v4
	v_lshlrev_b32_e32 v4, 24, v5
	v_cmp_gt_i64_e64 s[24:25], 0, v[3:4]
	v_not_b32_e32 v4, v4
	v_ashrrev_i32_e32 v4, 31, v4
	v_xor_b32_e32 v5, s25, v4
	v_xor_b32_e32 v4, s24, v4
	; wave barrier
	ds_read_b32 v56, v42 offset:16
	v_and_b32_e32 v57, v57, v58
	v_and_b32_e32 v4, v44, v4
	;; [unrolled: 1-line block ×3, first 2 shown]
	v_mbcnt_lo_u32_b32 v44, v4, 0
	v_mbcnt_hi_u32_b32 v58, v5, v44
	v_cmp_ne_u64_e64 s[24:25], 0, v[4:5]
	v_cmp_eq_u32_e64 s[26:27], 0, v58
	s_and_b64 s[26:27], s[24:25], s[26:27]
	; wave barrier
	s_and_saveexec_b64 s[24:25], s[26:27]
	s_cbranch_execz .LBB131_47
; %bb.46:
	v_bcnt_u32_b32 v4, v4, 0
	v_bcnt_u32_b32 v4, v5, v4
	s_waitcnt lgkmcnt(0)
	v_add_u32_e32 v4, v56, v4
	ds_write_b32 v42, v4 offset:16
.LBB131_47:
	s_or_b64 exec, exec, s[24:25]
	v_cmp_gt_i32_e64 s[24:25], 0, v6
	v_cndmask_b32_e64 v4, v43, 0, s[24:25]
	v_xor_b32_e32 v57, v4, v6
	v_cmp_ne_u32_e64 s[24:25], s28, v57
	v_cndmask_b32_e64 v4, v43, v57, s[24:25]
	v_lshrrev_b32_e32 v4, s68, v4
	v_and_b32_e32 v5, s74, v4
	v_mul_lo_u32 v4, v5, 20
	; wave barrier
	v_lshl_add_u32 v43, v24, 2, v4
	v_and_b32_e32 v4, 1, v5
	v_add_co_u32_e64 v6, s[24:25], -1, v4
	v_addc_co_u32_e64 v44, s[24:25], 0, -1, s[24:25]
	v_cmp_ne_u32_e64 s[24:25], 0, v4
	v_xor_b32_e32 v4, s25, v44
	v_and_b32_e32 v44, exec_hi, v4
	v_lshlrev_b32_e32 v4, 30, v5
	v_xor_b32_e32 v6, s24, v6
	v_cmp_gt_i64_e64 s[24:25], 0, v[3:4]
	v_not_b32_e32 v4, v4
	v_ashrrev_i32_e32 v4, 31, v4
	v_and_b32_e32 v6, exec_lo, v6
	v_xor_b32_e32 v59, s25, v4
	v_xor_b32_e32 v4, s24, v4
	v_and_b32_e32 v6, v6, v4
	v_lshlrev_b32_e32 v4, 29, v5
	v_cmp_gt_i64_e64 s[24:25], 0, v[3:4]
	v_not_b32_e32 v4, v4
	v_ashrrev_i32_e32 v4, 31, v4
	v_and_b32_e32 v44, v44, v59
	v_xor_b32_e32 v59, s25, v4
	v_xor_b32_e32 v4, s24, v4
	v_and_b32_e32 v6, v6, v4
	v_lshlrev_b32_e32 v4, 28, v5
	v_cmp_gt_i64_e64 s[24:25], 0, v[3:4]
	v_not_b32_e32 v4, v4
	v_ashrrev_i32_e32 v4, 31, v4
	v_and_b32_e32 v44, v44, v59
	;; [unrolled: 8-line block ×5, first 2 shown]
	v_xor_b32_e32 v59, s25, v4
	v_xor_b32_e32 v4, s24, v4
	v_and_b32_e32 v6, v6, v4
	v_lshlrev_b32_e32 v4, 24, v5
	v_cmp_gt_i64_e64 s[24:25], 0, v[3:4]
	v_not_b32_e32 v3, v4
	v_ashrrev_i32_e32 v3, 31, v3
	v_xor_b32_e32 v4, s25, v3
	v_xor_b32_e32 v3, s24, v3
	ds_read_b32 v24, v43 offset:16
	v_and_b32_e32 v44, v44, v59
	v_and_b32_e32 v3, v6, v3
	;; [unrolled: 1-line block ×3, first 2 shown]
	v_mbcnt_lo_u32_b32 v5, v3, 0
	v_mbcnt_hi_u32_b32 v59, v4, v5
	v_cmp_ne_u64_e64 s[24:25], 0, v[3:4]
	v_cmp_eq_u32_e64 s[26:27], 0, v59
	s_and_b64 s[26:27], s[24:25], s[26:27]
	; wave barrier
	s_and_saveexec_b64 s[24:25], s[26:27]
	s_cbranch_execz .LBB131_49
; %bb.48:
	v_bcnt_u32_b32 v3, v3, 0
	v_bcnt_u32_b32 v3, v4, v3
	s_waitcnt lgkmcnt(0)
	v_add_u32_e32 v3, v24, v3
	ds_write_b32 v43, v3 offset:16
.LBB131_49:
	s_or_b64 exec, exec, s[24:25]
	; wave barrier
	s_waitcnt lgkmcnt(0)
	s_barrier
	ds_read2_b32 v[5:6], v11 offset0:4 offset1:5
	ds_read2_b32 v[3:4], v11 offset0:6 offset1:7
	ds_read_b32 v44, v11 offset:32
	v_min_u32_e32 v7, 0xc0, v7
	v_or_b32_e32 v7, 63, v7
	s_waitcnt lgkmcnt(1)
	v_add3_u32 v60, v6, v5, v3
	s_waitcnt lgkmcnt(0)
	v_add3_u32 v44, v60, v4, v44
	v_and_b32_e32 v60, 15, v10
	v_cmp_ne_u32_e64 s[24:25], 0, v60
	v_mov_b32_dpp v61, v44 row_shr:1 row_mask:0xf bank_mask:0xf
	v_cndmask_b32_e64 v61, 0, v61, s[24:25]
	v_add_u32_e32 v44, v61, v44
	v_cmp_lt_u32_e64 s[24:25], 1, v60
	s_nop 0
	v_mov_b32_dpp v61, v44 row_shr:2 row_mask:0xf bank_mask:0xf
	v_cndmask_b32_e64 v61, 0, v61, s[24:25]
	v_add_u32_e32 v44, v44, v61
	v_cmp_lt_u32_e64 s[24:25], 3, v60
	s_nop 0
	;; [unrolled: 5-line block ×3, first 2 shown]
	v_mov_b32_dpp v61, v44 row_shr:8 row_mask:0xf bank_mask:0xf
	v_cndmask_b32_e64 v60, 0, v61, s[24:25]
	v_add_u32_e32 v44, v44, v60
	v_bfe_i32 v61, v10, 4, 1
	v_cmp_lt_u32_e64 s[24:25], 31, v10
	v_mov_b32_dpp v60, v44 row_bcast:15 row_mask:0xf bank_mask:0xf
	v_and_b32_e32 v60, v61, v60
	v_add_u32_e32 v44, v44, v60
	s_nop 1
	v_mov_b32_dpp v60, v44 row_bcast:31 row_mask:0xf bank_mask:0xf
	v_cndmask_b32_e64 v60, 0, v60, s[24:25]
	v_add_u32_e32 v44, v44, v60
	v_lshrrev_b32_e32 v60, 6, v0
	v_cmp_eq_u32_e64 s[24:25], v0, v7
	s_and_saveexec_b64 s[26:27], s[24:25]
; %bb.50:
	v_lshlrev_b32_e32 v7, 2, v60
	ds_write_b32 v7, v44
; %bb.51:
	s_or_b64 exec, exec, s[26:27]
	v_cmp_gt_u32_e64 s[24:25], 4, v0
	s_waitcnt lgkmcnt(0)
	s_barrier
	s_and_saveexec_b64 s[26:27], s[24:25]
	s_cbranch_execz .LBB131_53
; %bb.52:
	v_lshlrev_b32_e32 v7, 2, v0
	ds_read_b32 v61, v7
	v_and_b32_e32 v62, 3, v10
	v_cmp_ne_u32_e64 s[24:25], 0, v62
	s_waitcnt lgkmcnt(0)
	v_mov_b32_dpp v63, v61 row_shr:1 row_mask:0xf bank_mask:0xf
	v_cndmask_b32_e64 v63, 0, v63, s[24:25]
	v_add_u32_e32 v61, v63, v61
	v_cmp_lt_u32_e64 s[24:25], 1, v62
	s_nop 0
	v_mov_b32_dpp v63, v61 row_shr:2 row_mask:0xf bank_mask:0xf
	v_cndmask_b32_e64 v62, 0, v63, s[24:25]
	v_add_u32_e32 v61, v61, v62
	ds_write_b32 v7, v61
.LBB131_53:
	s_or_b64 exec, exec, s[26:27]
	v_cmp_lt_u32_e64 s[24:25], 63, v0
	v_mov_b32_e32 v7, 0
	s_waitcnt lgkmcnt(0)
	s_barrier
	s_and_saveexec_b64 s[26:27], s[24:25]
; %bb.54:
	v_lshl_add_u32 v7, v60, 2, -4
	ds_read_b32 v7, v7
; %bb.55:
	s_or_b64 exec, exec, s[26:27]
	v_add_u32_e32 v60, -1, v10
	v_and_b32_e32 v61, 64, v10
	v_cmp_lt_i32_e64 s[24:25], v60, v61
	v_cndmask_b32_e64 v60, v60, v10, s[24:25]
	s_waitcnt lgkmcnt(0)
	v_add_u32_e32 v44, v7, v44
	v_lshlrev_b32_e32 v60, 2, v60
	ds_bpermute_b32 v44, v60, v44
	v_cmp_eq_u32_e64 s[24:25], 0, v10
	s_waitcnt lgkmcnt(0)
	v_cndmask_b32_e64 v7, v44, v7, s[24:25]
	v_cmp_ne_u32_e64 s[24:25], 0, v0
	v_cndmask_b32_e64 v7, 0, v7, s[24:25]
	v_add_u32_e32 v5, v7, v5
	v_add_u32_e32 v6, v5, v6
	;; [unrolled: 1-line block ×4, first 2 shown]
	ds_write2_b32 v11, v7, v5 offset0:4 offset1:5
	ds_write2_b32 v11, v6, v3 offset0:6 offset1:7
	ds_write_b32 v11, v4 offset:32
	s_waitcnt lgkmcnt(0)
	s_barrier
	ds_read_b32 v4, v40 offset:16
	ds_read_b32 v5, v30 offset:16
	;; [unrolled: 1-line block ×13, first 2 shown]
	v_add_u32_e32 v11, 1, v0
	s_movk_i32 s24, 0x100
	v_cmp_ne_u32_e64 s[24:25], s24, v11
	v_mov_b32_e32 v3, 0xc00
	s_and_saveexec_b64 s[26:27], s[24:25]
; %bb.56:
	v_mul_u32_u24_e32 v3, 20, v11
	ds_read_b32 v3, v3 offset:16
; %bb.57:
	s_or_b64 exec, exec, s[26:27]
	s_waitcnt lgkmcnt(7)
	v_add_u32_e32 v44, v14, v12
	s_waitcnt lgkmcnt(6)
	v_add3_u32 v43, v17, v15, v16
	s_waitcnt lgkmcnt(2)
	v_add3_u32 v39, v38, v36, v37
	v_add3_u32 v37, v51, v35, v4
	v_lshlrev_b32_e32 v4, 2, v44
	v_add3_u32 v42, v23, v19, v20
	s_waitcnt lgkmcnt(0)
	s_barrier
	ds_write_b32 v4, v8 offset:2048
	v_lshlrev_b32_e32 v4, 2, v43
	v_add3_u32 v41, v28, v25, v27
	ds_write_b32 v4, v13 offset:2048
	v_lshlrev_b32_e32 v4, 2, v42
	v_add3_u32 v40, v34, v32, v33
	ds_write_b32 v4, v18 offset:2048
	v_lshlrev_b32_e32 v4, 2, v41
	ds_write_b32 v4, v22 offset:2048
	v_lshlrev_b32_e32 v4, 2, v40
	v_add3_u32 v38, v49, v47, v61
	ds_write_b32 v4, v31 offset:2048
	v_lshlrev_b32_e32 v4, 2, v39
	;; [unrolled: 5-line block ×3, first 2 shown]
	v_add3_u32 v35, v55, v54, v6
	ds_write_b32 v4, v48 offset:2048
	v_lshlrev_b32_e32 v4, 2, v36
	v_add3_u32 v34, v58, v56, v7
	ds_write_b32 v4, v50 offset:2048
	v_lshlrev_b32_e32 v4, 2, v35
	;; [unrolled: 3-line block ×3, first 2 shown]
	ds_write_b32 v4, v21 offset:2048
	v_lshlrev_b32_e32 v4, 2, v33
	v_lshl_or_b32 v5, s6, 8, v0
	v_mov_b32_e32 v6, 0
	ds_write_b32 v4, v57 offset:2048
	v_sub_u32_e32 v31, v3, v30
	v_lshlrev_b64 v[3:4], 2, v[5:6]
	v_mov_b32_e32 v11, s73
	v_add_co_u32_e64 v3, s[24:25], s72, v3
	v_addc_co_u32_e64 v4, s[24:25], v11, v4, s[24:25]
	v_or_b32_e32 v5, 2.0, v31
	s_mov_b64 s[26:27], 0
	s_brev_b32 s34, -4
	s_mov_b32 s35, s7
	v_mov_b32_e32 v12, 0
	s_waitcnt lgkmcnt(0)
	s_barrier
	global_store_dword v[3:4], v5, off
                                        ; implicit-def: $sgpr24_sgpr25
	s_branch .LBB131_60
.LBB131_58:                             ;   in Loop: Header=BB131_60 Depth=1
	s_or_b64 exec, exec, s[30:31]
.LBB131_59:                             ;   in Loop: Header=BB131_60 Depth=1
	s_or_b64 exec, exec, s[28:29]
	v_and_b32_e32 v7, 0x3fffffff, v5
	v_add_u32_e32 v12, v7, v12
	v_cmp_gt_i32_e64 s[24:25], -2.0, v5
	s_and_b64 s[28:29], exec, s[24:25]
	s_or_b64 s[26:27], s[28:29], s[26:27]
	s_andn2_b64 exec, exec, s[26:27]
	s_cbranch_execz .LBB131_65
.LBB131_60:                             ; =>This Loop Header: Depth=1
                                        ;     Child Loop BB131_63 Depth 2
	s_or_b64 s[24:25], s[24:25], exec
	s_cmp_eq_u32 s35, 0
	s_cbranch_scc1 .LBB131_64
; %bb.61:                               ;   in Loop: Header=BB131_60 Depth=1
	s_add_i32 s35, s35, -1
	v_lshl_or_b32 v5, s35, 8, v0
	v_lshlrev_b64 v[7:8], 2, v[5:6]
	v_add_co_u32_e64 v7, s[24:25], s72, v7
	v_addc_co_u32_e64 v8, s[24:25], v11, v8, s[24:25]
	global_load_dword v5, v[7:8], off glc
	s_waitcnt vmcnt(0)
	v_cmp_gt_u32_e64 s[24:25], 2.0, v5
	s_and_saveexec_b64 s[28:29], s[24:25]
	s_cbranch_execz .LBB131_59
; %bb.62:                               ;   in Loop: Header=BB131_60 Depth=1
	s_mov_b64 s[30:31], 0
.LBB131_63:                             ;   Parent Loop BB131_60 Depth=1
                                        ; =>  This Inner Loop Header: Depth=2
	global_load_dword v5, v[7:8], off glc
	s_waitcnt vmcnt(0)
	v_cmp_lt_u32_e64 s[24:25], s34, v5
	s_or_b64 s[30:31], s[24:25], s[30:31]
	s_andn2_b64 exec, exec, s[30:31]
	s_cbranch_execnz .LBB131_63
	s_branch .LBB131_58
.LBB131_64:                             ;   in Loop: Header=BB131_60 Depth=1
                                        ; implicit-def: $sgpr35
	s_and_b64 s[28:29], exec, s[24:25]
	s_or_b64 s[26:27], s[28:29], s[26:27]
	s_andn2_b64 exec, exec, s[26:27]
	s_cbranch_execnz .LBB131_60
.LBB131_65:
	s_or_b64 exec, exec, s[26:27]
	v_add_u32_e32 v5, v12, v31
	v_or_b32_e32 v5, 0x80000000, v5
	v_lshlrev_b32_e32 v32, 3, v0
	global_store_dword v[3:4], v5, off
	global_load_dwordx2 v[3:4], v32, s[64:65]
	v_sub_co_u32_e64 v5, s[24:25], v12, v30
	v_subb_co_u32_e64 v6, s[24:25], 0, 0, s[24:25]
	s_brev_b32 s26, 1
	s_waitcnt vmcnt(0)
	v_add_co_u32_e64 v3, s[24:25], v5, v3
	v_addc_co_u32_e64 v4, s[24:25], v6, v4, s[24:25]
	v_cmp_gt_u32_e64 s[24:25], s70, v0
	ds_write_b64 v32, v[3:4]
	s_waitcnt lgkmcnt(0)
	s_barrier
	s_and_saveexec_b64 s[28:29], s[24:25]
	s_cbranch_execz .LBB131_67
; %bb.66:
	v_lshlrev_b32_e32 v5, 2, v0
	v_sub_u32_e32 v3, v32, v5
	ds_read_b32 v6, v3 offset:2048
	v_bfrev_b32_e32 v7, -2
	v_mov_b32_e32 v8, s59
	s_waitcnt lgkmcnt(0)
	v_cmp_ne_u32_e64 s[26:27], s26, v6
	v_cndmask_b32_e64 v3, v7, v6, s[26:27]
	v_lshrrev_b32_e32 v3, s68, v3
	v_and_b32_e32 v3, s74, v3
	v_lshlrev_b32_e32 v3, 3, v3
	ds_read_b64 v[3:4], v3
	v_cmp_gt_i32_e64 s[26:27], 0, v6
	v_cndmask_b32_e64 v7, v7, 0, s[26:27]
	v_xor_b32_e32 v6, v7, v6
	s_waitcnt lgkmcnt(0)
	v_lshlrev_b64 v[3:4], 2, v[3:4]
	v_add_co_u32_e64 v3, s[26:27], s58, v3
	v_addc_co_u32_e64 v4, s[26:27], v8, v4, s[26:27]
	v_add_co_u32_e64 v3, s[26:27], v3, v5
	v_addc_co_u32_e64 v4, s[26:27], 0, v4, s[26:27]
	global_store_dword v[3:4], v6, off
.LBB131_67:
	s_or_b64 exec, exec, s[28:29]
	v_or_b32_e32 v3, 0x100, v0
	v_cmp_gt_u32_e64 s[26:27], s70, v3
	s_and_saveexec_b64 s[30:31], s[26:27]
	s_cbranch_execz .LBB131_69
; %bb.68:
	v_lshlrev_b32_e32 v5, 2, v0
	v_sub_u32_e32 v3, v32, v5
	ds_read_b32 v6, v3 offset:3072
	s_brev_b32 s28, 1
	v_bfrev_b32_e32 v7, -2
	v_mov_b32_e32 v8, s59
	s_waitcnt lgkmcnt(0)
	v_cmp_ne_u32_e64 s[28:29], s28, v6
	v_cndmask_b32_e64 v3, v7, v6, s[28:29]
	v_lshrrev_b32_e32 v3, s68, v3
	v_and_b32_e32 v3, s74, v3
	v_lshlrev_b32_e32 v3, 3, v3
	ds_read_b64 v[3:4], v3
	v_cmp_gt_i32_e64 s[28:29], 0, v6
	v_cndmask_b32_e64 v7, v7, 0, s[28:29]
	v_xor_b32_e32 v6, v7, v6
	s_waitcnt lgkmcnt(0)
	v_lshlrev_b64 v[3:4], 2, v[3:4]
	v_add_co_u32_e64 v3, s[28:29], s58, v3
	v_addc_co_u32_e64 v4, s[28:29], v8, v4, s[28:29]
	v_add_co_u32_e64 v3, s[28:29], v3, v5
	v_addc_co_u32_e64 v4, s[28:29], 0, v4, s[28:29]
	global_store_dword v[3:4], v6, off offset:1024
.LBB131_69:
	s_or_b64 exec, exec, s[30:31]
	v_or_b32_e32 v45, 0x200, v0
	v_cmp_gt_u32_e64 s[28:29], s70, v45
	s_and_saveexec_b64 s[34:35], s[28:29]
	s_cbranch_execz .LBB131_71
; %bb.70:
	v_lshlrev_b32_e32 v5, 2, v0
	v_sub_u32_e32 v3, v32, v5
	ds_read_b32 v6, v3 offset:4096
	s_brev_b32 s30, 1
	v_bfrev_b32_e32 v7, -2
	v_mov_b32_e32 v8, s59
	s_waitcnt lgkmcnt(0)
	v_cmp_ne_u32_e64 s[30:31], s30, v6
	v_cndmask_b32_e64 v3, v7, v6, s[30:31]
	v_lshrrev_b32_e32 v3, s68, v3
	v_and_b32_e32 v3, s74, v3
	v_lshlrev_b32_e32 v3, 3, v3
	ds_read_b64 v[3:4], v3
	v_cmp_gt_i32_e64 s[30:31], 0, v6
	v_cndmask_b32_e64 v7, v7, 0, s[30:31]
	v_xor_b32_e32 v6, v7, v6
	s_waitcnt lgkmcnt(0)
	v_lshlrev_b64 v[3:4], 2, v[3:4]
	v_add_co_u32_e64 v3, s[30:31], s58, v3
	v_addc_co_u32_e64 v4, s[30:31], v8, v4, s[30:31]
	v_add_co_u32_e64 v3, s[30:31], v3, v5
	v_addc_co_u32_e64 v4, s[30:31], 0, v4, s[30:31]
	global_store_dword v[3:4], v6, off offset:2048
.LBB131_71:
	;; [unrolled: 30-line block ×3, first 2 shown]
	s_or_b64 exec, exec, s[36:37]
	v_or_b32_e32 v47, 0x400, v0
	v_cmp_gt_u32_e64 s[34:35], s70, v47
	s_and_saveexec_b64 s[38:39], s[34:35]
	s_cbranch_execz .LBB131_75
; %bb.74:
	v_lshlrev_b32_e32 v3, 2, v0
	v_sub_u32_e32 v3, v32, v3
	ds_read_b32 v5, v3 offset:6144
	s_brev_b32 s36, 1
	v_bfrev_b32_e32 v6, -2
	v_mov_b32_e32 v7, s59
	s_waitcnt lgkmcnt(0)
	v_cmp_ne_u32_e64 s[36:37], s36, v5
	v_cndmask_b32_e64 v3, v6, v5, s[36:37]
	v_lshrrev_b32_e32 v3, s68, v3
	v_and_b32_e32 v3, s74, v3
	v_lshlrev_b32_e32 v3, 3, v3
	ds_read_b64 v[3:4], v3
	v_cmp_gt_i32_e64 s[36:37], 0, v5
	v_cndmask_b32_e64 v6, v6, 0, s[36:37]
	v_xor_b32_e32 v5, v6, v5
	v_lshlrev_b32_e32 v6, 2, v47
	s_waitcnt lgkmcnt(0)
	v_lshlrev_b64 v[3:4], 2, v[3:4]
	v_add_co_u32_e64 v3, s[36:37], s58, v3
	v_addc_co_u32_e64 v4, s[36:37], v7, v4, s[36:37]
	v_add_co_u32_e64 v3, s[36:37], v3, v6
	v_addc_co_u32_e64 v4, s[36:37], 0, v4, s[36:37]
	global_store_dword v[3:4], v5, off
.LBB131_75:
	s_or_b64 exec, exec, s[38:39]
	v_or_b32_e32 v48, 0x500, v0
	v_cmp_gt_u32_e64 s[36:37], s70, v48
	s_and_saveexec_b64 s[40:41], s[36:37]
	s_cbranch_execz .LBB131_77
; %bb.76:
	v_lshlrev_b32_e32 v3, 2, v0
	v_sub_u32_e32 v3, v32, v3
	ds_read_b32 v5, v3 offset:7168
	s_brev_b32 s38, 1
	v_bfrev_b32_e32 v6, -2
	v_mov_b32_e32 v7, s59
	s_waitcnt lgkmcnt(0)
	v_cmp_ne_u32_e64 s[38:39], s38, v5
	v_cndmask_b32_e64 v3, v6, v5, s[38:39]
	v_lshrrev_b32_e32 v3, s68, v3
	v_and_b32_e32 v3, s74, v3
	v_lshlrev_b32_e32 v3, 3, v3
	ds_read_b64 v[3:4], v3
	v_cmp_gt_i32_e64 s[38:39], 0, v5
	v_cndmask_b32_e64 v6, v6, 0, s[38:39]
	v_xor_b32_e32 v5, v6, v5
	v_lshlrev_b32_e32 v6, 2, v48
	s_waitcnt lgkmcnt(0)
	v_lshlrev_b64 v[3:4], 2, v[3:4]
	v_add_co_u32_e64 v3, s[38:39], s58, v3
	v_addc_co_u32_e64 v4, s[38:39], v7, v4, s[38:39]
	v_add_co_u32_e64 v3, s[38:39], v3, v6
	v_addc_co_u32_e64 v4, s[38:39], 0, v4, s[38:39]
	global_store_dword v[3:4], v5, off
.LBB131_77:
	s_or_b64 exec, exec, s[40:41]
	v_or_b32_e32 v49, 0x600, v0
	v_cmp_gt_u32_e64 s[38:39], s70, v49
	s_and_saveexec_b64 s[42:43], s[38:39]
	s_cbranch_execz .LBB131_79
; %bb.78:
	v_lshlrev_b32_e32 v3, 2, v0
	v_sub_u32_e32 v3, v32, v3
	ds_read_b32 v5, v3 offset:8192
	s_brev_b32 s40, 1
	v_bfrev_b32_e32 v6, -2
	v_mov_b32_e32 v7, s59
	s_waitcnt lgkmcnt(0)
	v_cmp_ne_u32_e64 s[40:41], s40, v5
	v_cndmask_b32_e64 v3, v6, v5, s[40:41]
	v_lshrrev_b32_e32 v3, s68, v3
	v_and_b32_e32 v3, s74, v3
	v_lshlrev_b32_e32 v3, 3, v3
	ds_read_b64 v[3:4], v3
	v_cmp_gt_i32_e64 s[40:41], 0, v5
	v_cndmask_b32_e64 v6, v6, 0, s[40:41]
	v_xor_b32_e32 v5, v6, v5
	v_lshlrev_b32_e32 v6, 2, v49
	s_waitcnt lgkmcnt(0)
	v_lshlrev_b64 v[3:4], 2, v[3:4]
	v_add_co_u32_e64 v3, s[40:41], s58, v3
	v_addc_co_u32_e64 v4, s[40:41], v7, v4, s[40:41]
	v_add_co_u32_e64 v3, s[40:41], v3, v6
	v_addc_co_u32_e64 v4, s[40:41], 0, v4, s[40:41]
	global_store_dword v[3:4], v5, off
.LBB131_79:
	s_or_b64 exec, exec, s[42:43]
	v_or_b32_e32 v50, 0x700, v0
	v_cmp_gt_u32_e64 s[40:41], s70, v50
	s_and_saveexec_b64 s[44:45], s[40:41]
	s_cbranch_execz .LBB131_81
; %bb.80:
	v_lshlrev_b32_e32 v3, 2, v0
	ds_read_b32 v5, v3 offset:9216
	s_brev_b32 s42, 1
	v_bfrev_b32_e32 v6, -2
	v_mov_b32_e32 v7, s59
	s_waitcnt lgkmcnt(0)
	v_cmp_ne_u32_e64 s[42:43], s42, v5
	v_cndmask_b32_e64 v3, v6, v5, s[42:43]
	v_lshrrev_b32_e32 v3, s68, v3
	v_and_b32_e32 v3, s74, v3
	v_lshlrev_b32_e32 v3, 3, v3
	ds_read_b64 v[3:4], v3
	v_cmp_gt_i32_e64 s[42:43], 0, v5
	v_cndmask_b32_e64 v6, v6, 0, s[42:43]
	v_xor_b32_e32 v5, v6, v5
	v_lshlrev_b32_e32 v6, 2, v50
	s_waitcnt lgkmcnt(0)
	v_lshlrev_b64 v[3:4], 2, v[3:4]
	v_add_co_u32_e64 v3, s[42:43], s58, v3
	v_addc_co_u32_e64 v4, s[42:43], v7, v4, s[42:43]
	v_add_co_u32_e64 v3, s[42:43], v3, v6
	v_addc_co_u32_e64 v4, s[42:43], 0, v4, s[42:43]
	global_store_dword v[3:4], v5, off
.LBB131_81:
	s_or_b64 exec, exec, s[44:45]
	v_or_b32_e32 v51, 0x800, v0
	v_cmp_gt_u32_e64 s[42:43], s70, v51
	s_and_saveexec_b64 s[46:47], s[42:43]
	s_cbranch_execz .LBB131_83
; %bb.82:
	v_lshlrev_b32_e32 v3, 2, v0
	ds_read_b32 v5, v3 offset:10240
	s_brev_b32 s44, 1
	v_bfrev_b32_e32 v6, -2
	v_mov_b32_e32 v7, s59
	s_waitcnt lgkmcnt(0)
	v_cmp_ne_u32_e64 s[44:45], s44, v5
	v_cndmask_b32_e64 v3, v6, v5, s[44:45]
	v_lshrrev_b32_e32 v3, s68, v3
	v_and_b32_e32 v3, s74, v3
	v_lshlrev_b32_e32 v3, 3, v3
	ds_read_b64 v[3:4], v3
	v_cmp_gt_i32_e64 s[44:45], 0, v5
	v_cndmask_b32_e64 v6, v6, 0, s[44:45]
	v_xor_b32_e32 v5, v6, v5
	v_lshlrev_b32_e32 v6, 2, v51
	s_waitcnt lgkmcnt(0)
	v_lshlrev_b64 v[3:4], 2, v[3:4]
	v_add_co_u32_e64 v3, s[44:45], s58, v3
	v_addc_co_u32_e64 v4, s[44:45], v7, v4, s[44:45]
	v_add_co_u32_e64 v3, s[44:45], v3, v6
	v_addc_co_u32_e64 v4, s[44:45], 0, v4, s[44:45]
	global_store_dword v[3:4], v5, off
.LBB131_83:
	;; [unrolled: 30-line block ×5, first 2 shown]
	s_or_b64 exec, exec, s[70:71]
	s_lshl_b64 s[52:53], s[54:55], 3
	s_add_u32 s52, s60, s52
	s_addc_u32 s53, s61, s53
	v_lshlrev_b32_e32 v3, 3, v10
	v_mov_b32_e32 v4, s53
	v_add_co_u32_e64 v3, s[52:53], s52, v3
	v_addc_co_u32_e64 v4, s[52:53], 0, v4, s[52:53]
	v_lshlrev_b32_e32 v5, 3, v9
	v_add_co_u32_e64 v27, s[52:53], v3, v5
	v_addc_co_u32_e64 v28, s[52:53], 0, v4, s[52:53]
                                        ; implicit-def: $vgpr3_vgpr4
	s_and_saveexec_b64 s[52:53], vcc
	s_xor_b64 s[52:53], exec, s[52:53]
	s_cbranch_execz .LBB131_101
; %bb.90:
	global_load_dwordx2 v[3:4], v[27:28], off
	s_or_b64 exec, exec, s[52:53]
                                        ; implicit-def: $vgpr5_vgpr6
	s_and_saveexec_b64 s[52:53], s[0:1]
	s_cbranch_execnz .LBB131_102
.LBB131_91:
	s_or_b64 exec, exec, s[52:53]
                                        ; implicit-def: $vgpr7_vgpr8
	s_and_saveexec_b64 s[0:1], s[2:3]
	s_cbranch_execz .LBB131_103
.LBB131_92:
	global_load_dwordx2 v[7:8], v[27:28], off offset:1024
	s_or_b64 exec, exec, s[0:1]
                                        ; implicit-def: $vgpr9_vgpr10
	s_and_saveexec_b64 s[0:1], s[50:51]
	s_cbranch_execnz .LBB131_104
.LBB131_93:
	s_or_b64 exec, exec, s[0:1]
                                        ; implicit-def: $vgpr11_vgpr12
	s_and_saveexec_b64 s[0:1], s[8:9]
	s_cbranch_execz .LBB131_105
.LBB131_94:
	global_load_dwordx2 v[11:12], v[27:28], off offset:2048
	s_or_b64 exec, exec, s[0:1]
                                        ; implicit-def: $vgpr13_vgpr14
	s_and_saveexec_b64 s[0:1], s[12:13]
	s_cbranch_execnz .LBB131_106
.LBB131_95:
	s_or_b64 exec, exec, s[0:1]
                                        ; implicit-def: $vgpr15_vgpr16
	s_and_saveexec_b64 s[0:1], s[16:17]
	s_cbranch_execz .LBB131_107
.LBB131_96:
	global_load_dwordx2 v[15:16], v[27:28], off offset:3072
	s_or_b64 exec, exec, s[0:1]
                                        ; implicit-def: $vgpr17_vgpr18
	s_and_saveexec_b64 s[0:1], s[20:21]
	s_cbranch_execnz .LBB131_108
.LBB131_97:
	s_or_b64 exec, exec, s[0:1]
                                        ; implicit-def: $vgpr19_vgpr20
	s_and_saveexec_b64 s[0:1], s[22:23]
	s_cbranch_execz .LBB131_109
.LBB131_98:
	v_add_co_u32_e32 v19, vcc, 0x1000, v27
	v_addc_co_u32_e32 v20, vcc, 0, v28, vcc
	global_load_dwordx2 v[19:20], v[19:20], off
	s_or_b64 exec, exec, s[0:1]
                                        ; implicit-def: $vgpr21_vgpr22
	s_and_saveexec_b64 s[0:1], s[18:19]
	s_cbranch_execnz .LBB131_110
.LBB131_99:
	s_or_b64 exec, exec, s[0:1]
                                        ; implicit-def: $vgpr23_vgpr24
	s_and_saveexec_b64 s[0:1], s[14:15]
	s_cbranch_execz .LBB131_111
.LBB131_100:
	v_add_co_u32_e32 v23, vcc, 0x1000, v27
	v_addc_co_u32_e32 v24, vcc, 0, v28, vcc
	global_load_dwordx2 v[23:24], v[23:24], off offset:1024
	s_or_b64 exec, exec, s[0:1]
                                        ; implicit-def: $vgpr25_vgpr26
	s_and_saveexec_b64 s[0:1], s[10:11]
	s_cbranch_execnz .LBB131_112
	s_branch .LBB131_113
.LBB131_101:
	s_or_b64 exec, exec, s[52:53]
                                        ; implicit-def: $vgpr5_vgpr6
	s_and_saveexec_b64 s[52:53], s[0:1]
	s_cbranch_execz .LBB131_91
.LBB131_102:
	global_load_dwordx2 v[5:6], v[27:28], off offset:512
	s_or_b64 exec, exec, s[52:53]
                                        ; implicit-def: $vgpr7_vgpr8
	s_and_saveexec_b64 s[0:1], s[2:3]
	s_cbranch_execnz .LBB131_92
.LBB131_103:
	s_or_b64 exec, exec, s[0:1]
                                        ; implicit-def: $vgpr9_vgpr10
	s_and_saveexec_b64 s[0:1], s[50:51]
	s_cbranch_execz .LBB131_93
.LBB131_104:
	global_load_dwordx2 v[9:10], v[27:28], off offset:1536
	s_or_b64 exec, exec, s[0:1]
                                        ; implicit-def: $vgpr11_vgpr12
	s_and_saveexec_b64 s[0:1], s[8:9]
	s_cbranch_execnz .LBB131_94
.LBB131_105:
	s_or_b64 exec, exec, s[0:1]
                                        ; implicit-def: $vgpr13_vgpr14
	s_and_saveexec_b64 s[0:1], s[12:13]
	s_cbranch_execz .LBB131_95
.LBB131_106:
	global_load_dwordx2 v[13:14], v[27:28], off offset:2560
	s_or_b64 exec, exec, s[0:1]
                                        ; implicit-def: $vgpr15_vgpr16
	s_and_saveexec_b64 s[0:1], s[16:17]
	s_cbranch_execnz .LBB131_96
.LBB131_107:
	s_or_b64 exec, exec, s[0:1]
                                        ; implicit-def: $vgpr17_vgpr18
	s_and_saveexec_b64 s[0:1], s[20:21]
	s_cbranch_execz .LBB131_97
.LBB131_108:
	global_load_dwordx2 v[17:18], v[27:28], off offset:3584
	s_or_b64 exec, exec, s[0:1]
                                        ; implicit-def: $vgpr19_vgpr20
	s_and_saveexec_b64 s[0:1], s[22:23]
	s_cbranch_execnz .LBB131_98
.LBB131_109:
	s_or_b64 exec, exec, s[0:1]
                                        ; implicit-def: $vgpr21_vgpr22
	s_and_saveexec_b64 s[0:1], s[18:19]
	s_cbranch_execz .LBB131_99
.LBB131_110:
	v_add_co_u32_e32 v21, vcc, 0x1000, v27
	v_addc_co_u32_e32 v22, vcc, 0, v28, vcc
	global_load_dwordx2 v[21:22], v[21:22], off offset:512
	s_or_b64 exec, exec, s[0:1]
                                        ; implicit-def: $vgpr23_vgpr24
	s_and_saveexec_b64 s[0:1], s[14:15]
	s_cbranch_execnz .LBB131_100
.LBB131_111:
	s_or_b64 exec, exec, s[0:1]
                                        ; implicit-def: $vgpr25_vgpr26
	s_and_saveexec_b64 s[0:1], s[10:11]
	s_cbranch_execz .LBB131_113
.LBB131_112:
	v_add_co_u32_e32 v25, vcc, 0x1000, v27
	v_addc_co_u32_e32 v26, vcc, 0, v28, vcc
	global_load_dwordx2 v[25:26], v[25:26], off offset:1536
.LBB131_113:
	s_or_b64 exec, exec, s[0:1]
	v_mov_b32_e32 v60, 0
	v_mov_b32_e32 v64, 0
	s_and_saveexec_b64 s[0:1], s[24:25]
	s_cbranch_execz .LBB131_115
; %bb.114:
	v_lshlrev_b32_e32 v27, 2, v0
	ds_read_b32 v27, v27 offset:2048
	s_brev_b32 s2, 1
	v_bfrev_b32_e32 v28, -2
	s_waitcnt lgkmcnt(0)
	v_cmp_ne_u32_e32 vcc, s2, v27
	v_cndmask_b32_e32 v27, v28, v27, vcc
	v_lshrrev_b32_e32 v27, s68, v27
	v_and_b32_e32 v64, s74, v27
.LBB131_115:
	s_or_b64 exec, exec, s[0:1]
	s_and_saveexec_b64 s[0:1], s[26:27]
	s_cbranch_execz .LBB131_117
; %bb.116:
	v_lshlrev_b32_e32 v27, 2, v0
	ds_read_b32 v27, v27 offset:3072
	s_brev_b32 s2, 1
	v_bfrev_b32_e32 v28, -2
	s_waitcnt lgkmcnt(0)
	v_cmp_ne_u32_e32 vcc, s2, v27
	v_cndmask_b32_e32 v27, v28, v27, vcc
	v_lshrrev_b32_e32 v27, s68, v27
	v_and_b32_e32 v60, s74, v27
.LBB131_117:
	s_or_b64 exec, exec, s[0:1]
	v_mov_b32_e32 v58, 0
	v_mov_b32_e32 v63, 0
	s_and_saveexec_b64 s[0:1], s[28:29]
	s_cbranch_execz .LBB131_119
; %bb.118:
	v_lshlrev_b32_e32 v27, 2, v0
	ds_read_b32 v27, v27 offset:4096
	s_brev_b32 s2, 1
	v_bfrev_b32_e32 v28, -2
	s_waitcnt lgkmcnt(0)
	v_cmp_ne_u32_e32 vcc, s2, v27
	v_cndmask_b32_e32 v27, v28, v27, vcc
	v_lshrrev_b32_e32 v27, s68, v27
	v_and_b32_e32 v63, s74, v27
.LBB131_119:
	s_or_b64 exec, exec, s[0:1]
	s_and_saveexec_b64 s[0:1], s[30:31]
	s_cbranch_execz .LBB131_121
; %bb.120:
	v_lshlrev_b32_e32 v27, 2, v0
	ds_read_b32 v27, v27 offset:5120
	s_brev_b32 s2, 1
	v_bfrev_b32_e32 v28, -2
	s_waitcnt lgkmcnt(0)
	v_cmp_ne_u32_e32 vcc, s2, v27
	v_cndmask_b32_e32 v27, v28, v27, vcc
	v_lshrrev_b32_e32 v27, s68, v27
	v_and_b32_e32 v58, s74, v27
.LBB131_121:
	;; [unrolled: 30-line block ×6, first 2 shown]
	s_or_b64 exec, exec, s[0:1]
	v_lshlrev_b32_e32 v44, 3, v44
	s_waitcnt vmcnt(0)
	s_barrier
	ds_write_b64 v44, v[3:4] offset:2048
	v_lshlrev_b32_e32 v3, 3, v43
	ds_write_b64 v3, v[5:6] offset:2048
	v_lshlrev_b32_e32 v3, 3, v42
	;; [unrolled: 2-line block ×11, first 2 shown]
	ds_write_b64 v3, v[25:26] offset:2048
	s_waitcnt lgkmcnt(0)
	s_barrier
	s_and_saveexec_b64 s[0:1], s[24:25]
	s_cbranch_execz .LBB131_196
; %bb.138:
	v_lshlrev_b32_e32 v3, 3, v64
	ds_read_b64 v[3:4], v3
	ds_read_b64 v[5:6], v32 offset:2048
	v_mov_b32_e32 v7, s63
	s_waitcnt lgkmcnt(1)
	v_lshlrev_b64 v[3:4], 3, v[3:4]
	v_add_co_u32_e32 v3, vcc, s62, v3
	v_addc_co_u32_e32 v4, vcc, v7, v4, vcc
	v_add_co_u32_e32 v3, vcc, v3, v32
	v_addc_co_u32_e32 v4, vcc, 0, v4, vcc
	s_waitcnt lgkmcnt(0)
	global_store_dwordx2 v[3:4], v[5:6], off
	s_or_b64 exec, exec, s[0:1]
	s_and_saveexec_b64 s[0:1], s[26:27]
	s_cbranch_execnz .LBB131_197
.LBB131_139:
	s_or_b64 exec, exec, s[0:1]
	s_and_saveexec_b64 s[0:1], s[28:29]
	s_cbranch_execz .LBB131_198
.LBB131_140:
	v_lshlrev_b32_e32 v3, 3, v63
	ds_read_b64 v[3:4], v3
	ds_read_b64 v[5:6], v32 offset:6144
	v_mov_b32_e32 v7, s63
	s_waitcnt lgkmcnt(1)
	v_lshlrev_b64 v[3:4], 3, v[3:4]
	v_add_co_u32_e32 v3, vcc, s62, v3
	v_addc_co_u32_e32 v4, vcc, v7, v4, vcc
	v_lshlrev_b32_e32 v7, 3, v45
	v_add_co_u32_e32 v3, vcc, v3, v7
	v_addc_co_u32_e32 v4, vcc, 0, v4, vcc
	s_waitcnt lgkmcnt(0)
	global_store_dwordx2 v[3:4], v[5:6], off
	s_or_b64 exec, exec, s[0:1]
	s_and_saveexec_b64 s[0:1], s[30:31]
	s_cbranch_execnz .LBB131_199
.LBB131_141:
	s_or_b64 exec, exec, s[0:1]
	s_and_saveexec_b64 s[0:1], s[34:35]
	s_cbranch_execz .LBB131_200
.LBB131_142:
	v_lshlrev_b32_e32 v3, 3, v62
	ds_read_b64 v[3:4], v3
	ds_read_b64 v[5:6], v32 offset:10240
	v_mov_b32_e32 v7, s63
	s_waitcnt lgkmcnt(1)
	v_lshlrev_b64 v[3:4], 3, v[3:4]
	v_add_co_u32_e32 v3, vcc, s62, v3
	v_addc_co_u32_e32 v4, vcc, v7, v4, vcc
	v_lshlrev_b32_e32 v7, 3, v47
	v_add_co_u32_e32 v3, vcc, v3, v7
	v_addc_co_u32_e32 v4, vcc, 0, v4, vcc
	s_waitcnt lgkmcnt(0)
	global_store_dwordx2 v[3:4], v[5:6], off
	s_or_b64 exec, exec, s[0:1]
	s_and_saveexec_b64 s[0:1], s[36:37]
	s_cbranch_execnz .LBB131_201
.LBB131_143:
	s_or_b64 exec, exec, s[0:1]
	s_and_saveexec_b64 s[0:1], s[38:39]
	s_cbranch_execz .LBB131_202
.LBB131_144:
	v_lshlrev_b32_e32 v3, 3, v61
	ds_read_b64 v[3:4], v3
	ds_read_b64 v[5:6], v32 offset:14336
	v_mov_b32_e32 v7, s63
	s_waitcnt lgkmcnt(1)
	v_lshlrev_b64 v[3:4], 3, v[3:4]
	v_add_co_u32_e32 v3, vcc, s62, v3
	v_addc_co_u32_e32 v4, vcc, v7, v4, vcc
	v_lshlrev_b32_e32 v7, 3, v49
	v_add_co_u32_e32 v3, vcc, v3, v7
	v_addc_co_u32_e32 v4, vcc, 0, v4, vcc
	s_waitcnt lgkmcnt(0)
	global_store_dwordx2 v[3:4], v[5:6], off
	s_or_b64 exec, exec, s[0:1]
	s_and_saveexec_b64 s[0:1], s[40:41]
	s_cbranch_execnz .LBB131_203
.LBB131_145:
	s_or_b64 exec, exec, s[0:1]
	s_and_saveexec_b64 s[0:1], s[42:43]
	s_cbranch_execz .LBB131_204
.LBB131_146:
	v_lshlrev_b32_e32 v3, 3, v59
	ds_read_b64 v[3:4], v3
	ds_read_b64 v[5:6], v32 offset:18432
	v_mov_b32_e32 v7, s63
	s_waitcnt lgkmcnt(1)
	v_lshlrev_b64 v[3:4], 3, v[3:4]
	v_add_co_u32_e32 v3, vcc, s62, v3
	v_addc_co_u32_e32 v4, vcc, v7, v4, vcc
	v_lshlrev_b32_e32 v7, 3, v51
	v_add_co_u32_e32 v3, vcc, v3, v7
	v_addc_co_u32_e32 v4, vcc, 0, v4, vcc
	s_waitcnt lgkmcnt(0)
	global_store_dwordx2 v[3:4], v[5:6], off
	s_or_b64 exec, exec, s[0:1]
	s_and_saveexec_b64 s[0:1], s[44:45]
	s_cbranch_execnz .LBB131_205
.LBB131_147:
	s_or_b64 exec, exec, s[0:1]
	s_and_saveexec_b64 s[0:1], s[46:47]
	s_cbranch_execz .LBB131_206
.LBB131_148:
	v_lshlrev_b32_e32 v3, 3, v57
	ds_read_b64 v[3:4], v3
	ds_read_b64 v[5:6], v32 offset:22528
	v_mov_b32_e32 v7, s63
	s_waitcnt lgkmcnt(1)
	v_lshlrev_b64 v[3:4], 3, v[3:4]
	v_add_co_u32_e32 v3, vcc, s62, v3
	v_addc_co_u32_e32 v4, vcc, v7, v4, vcc
	v_lshlrev_b32_e32 v7, 3, v53
	v_add_co_u32_e32 v3, vcc, v3, v7
	v_addc_co_u32_e32 v4, vcc, 0, v4, vcc
	s_waitcnt lgkmcnt(0)
	global_store_dwordx2 v[3:4], v[5:6], off
	s_or_b64 exec, exec, s[0:1]
	s_and_saveexec_b64 s[0:1], s[48:49]
	s_cbranch_execnz .LBB131_207
.LBB131_149:
	s_or_b64 exec, exec, s[0:1]
	s_add_i32 s33, s33, -1
	s_cmp_eq_u32 s6, s33
	s_cbranch_scc0 .LBB131_151
.LBB131_150:
	ds_read_b64 v[3:4], v32
	v_add_co_u32_e32 v5, vcc, v31, v30
	v_addc_co_u32_e64 v6, s[0:1], 0, 0, vcc
	s_waitcnt lgkmcnt(0)
	v_add_co_u32_e32 v3, vcc, v5, v3
	v_addc_co_u32_e32 v4, vcc, v6, v4, vcc
	global_store_dwordx2 v32, v[3:4], s[66:67]
.LBB131_151:
	s_mov_b64 s[0:1], 0
.LBB131_152:
	s_and_b64 vcc, exec, s[0:1]
	s_cbranch_vccz .LBB131_195
; %bb.153:
	s_mov_b32 s55, 0
	s_lshl_b64 s[0:1], s[54:55], 2
	v_mbcnt_hi_u32_b32 v8, -1, v29
	s_add_u32 s0, s56, s0
	v_lshlrev_b32_e32 v4, 2, v8
	v_add_co_u32_e32 v4, vcc, s0, v4
	s_load_dword s8, s[4:5], 0x50
	s_load_dword s0, s[4:5], 0x5c
	s_addc_u32 s1, s57, s1
	v_and_b32_e32 v9, 0xc0, v0
	v_mul_u32_u24_e32 v7, 12, v9
	v_mov_b32_e32 v5, s1
	v_addc_co_u32_e32 v5, vcc, 0, v5, vcc
	v_lshlrev_b32_e32 v6, 2, v7
	v_add_co_u32_e32 v4, vcc, v4, v6
	s_add_u32 s1, s4, 0x50
	v_addc_co_u32_e32 v5, vcc, 0, v5, vcc
	s_addc_u32 s2, s5, 0
	s_waitcnt lgkmcnt(0)
	s_lshr_b32 s3, s0, 16
	global_load_dword v10, v[4:5], off
	s_cmp_lt_u32 s6, s8
	s_cselect_b32 s0, 12, 18
	s_add_u32 s0, s1, s0
	v_mov_b32_e32 v3, 0
	s_addc_u32 s1, s2, 0
	global_load_ushort v11, v3, s[0:1]
	v_mul_u32_u24_e32 v6, 20, v0
	ds_write2_b32 v6, v3, v3 offset0:4 offset1:5
	ds_write2_b32 v6, v3, v3 offset0:6 offset1:7
	ds_write_b32 v6, v3 offset:32
	global_load_dword v12, v[4:5], off offset:256
	global_load_dword v16, v[4:5], off offset:512
	;; [unrolled: 1-line block ×11, first 2 shown]
	v_bfrev_b32_e32 v13, -2
	v_mad_u32_u24 v1, v2, s3, v1
	s_brev_b32 s2, 1
	s_lshl_b32 s0, -1, s69
	s_not_b32 s9, s0
	s_waitcnt vmcnt(0) lgkmcnt(0)
	s_barrier
	; wave barrier
	v_cmp_gt_i32_e32 vcc, 0, v10
	v_cndmask_b32_e64 v2, v13, 0, vcc
	v_xor_b32_e32 v5, v2, v10
	v_cmp_ne_u32_e32 vcc, s2, v5
	v_cndmask_b32_e32 v4, v13, v5, vcc
	v_mad_u64_u32 v[1:2], s[0:1], v1, v11, v[0:1]
	v_lshrrev_b32_e32 v2, s68, v4
	v_and_b32_e32 v2, s9, v2
	v_and_b32_e32 v11, 1, v2
	v_add_co_u32_e32 v14, vcc, -1, v11
	v_lshlrev_b32_e32 v4, 30, v2
	v_addc_co_u32_e64 v15, s[0:1], 0, -1, vcc
	v_cmp_ne_u32_e32 vcc, 0, v11
	v_cmp_gt_i64_e64 s[0:1], 0, v[3:4]
	v_not_b32_e32 v11, v4
	v_lshlrev_b32_e32 v4, 29, v2
	v_lshrrev_b32_e32 v19, 6, v1
	v_xor_b32_e32 v1, vcc_hi, v15
	v_xor_b32_e32 v14, vcc_lo, v14
	v_ashrrev_i32_e32 v11, 31, v11
	v_cmp_gt_i64_e32 vcc, 0, v[3:4]
	v_not_b32_e32 v15, v4
	v_lshlrev_b32_e32 v4, 28, v2
	v_and_b32_e32 v1, exec_hi, v1
	v_and_b32_e32 v14, exec_lo, v14
	v_xor_b32_e32 v18, s1, v11
	v_xor_b32_e32 v11, s0, v11
	v_ashrrev_i32_e32 v15, 31, v15
	v_cmp_gt_i64_e64 s[0:1], 0, v[3:4]
	v_not_b32_e32 v4, v4
	v_and_b32_e32 v1, v1, v18
	v_and_b32_e32 v11, v14, v11
	v_xor_b32_e32 v14, vcc_hi, v15
	v_xor_b32_e32 v15, vcc_lo, v15
	v_ashrrev_i32_e32 v4, 31, v4
	v_and_b32_e32 v1, v1, v14
	v_and_b32_e32 v11, v11, v15
	v_xor_b32_e32 v14, s1, v4
	v_xor_b32_e32 v4, s0, v4
	v_and_b32_e32 v11, v11, v4
	v_lshlrev_b32_e32 v4, 27, v2
	v_cmp_gt_i64_e32 vcc, 0, v[3:4]
	v_not_b32_e32 v4, v4
	v_ashrrev_i32_e32 v4, 31, v4
	v_and_b32_e32 v1, v1, v14
	v_xor_b32_e32 v14, vcc_hi, v4
	v_xor_b32_e32 v4, vcc_lo, v4
	v_and_b32_e32 v11, v11, v4
	v_lshlrev_b32_e32 v4, 26, v2
	v_cmp_gt_i64_e32 vcc, 0, v[3:4]
	v_not_b32_e32 v4, v4
	v_ashrrev_i32_e32 v4, 31, v4
	v_and_b32_e32 v1, v1, v14
	v_xor_b32_e32 v14, vcc_hi, v4
	v_xor_b32_e32 v4, vcc_lo, v4
	;; [unrolled: 8-line block ×3, first 2 shown]
	v_and_b32_e32 v11, v11, v4
	v_lshlrev_b32_e32 v4, 24, v2
	v_mul_lo_u32 v10, v2, 20
	v_cmp_gt_i64_e32 vcc, 0, v[3:4]
	v_not_b32_e32 v2, v4
	v_ashrrev_i32_e32 v2, 31, v2
	v_and_b32_e32 v1, v1, v14
	v_xor_b32_e32 v4, vcc_hi, v2
	v_xor_b32_e32 v14, vcc_lo, v2
	v_and_b32_e32 v2, v1, v4
	v_and_b32_e32 v1, v11, v14
	v_mbcnt_lo_u32_b32 v4, v1, 0
	v_mbcnt_hi_u32_b32 v11, v2, v4
	v_cmp_ne_u64_e32 vcc, 0, v[1:2]
	v_cmp_eq_u32_e64 s[0:1], 0, v11
	v_lshl_add_u32 v10, v19, 2, v10
	s_and_b64 s[4:5], vcc, s[0:1]
	s_and_saveexec_b64 s[0:1], s[4:5]
; %bb.154:
	v_bcnt_u32_b32 v1, v1, 0
	v_bcnt_u32_b32 v1, v2, v1
	ds_write_b32 v10, v1 offset:16
; %bb.155:
	s_or_b64 exec, exec, s[0:1]
	v_cmp_gt_i32_e32 vcc, 0, v12
	v_cndmask_b32_e64 v1, v13, 0, vcc
	v_xor_b32_e32 v12, v1, v12
	v_cmp_ne_u32_e32 vcc, s2, v12
	v_cndmask_b32_e32 v1, v13, v12, vcc
	v_lshrrev_b32_e32 v1, s68, v1
	v_and_b32_e32 v1, s9, v1
	v_mul_lo_u32 v2, v1, 20
	; wave barrier
	v_lshl_add_u32 v14, v19, 2, v2
	v_and_b32_e32 v2, 1, v1
	v_add_co_u32_e32 v4, vcc, -1, v2
	v_addc_co_u32_e64 v15, s[0:1], 0, -1, vcc
	v_cmp_ne_u32_e32 vcc, 0, v2
	v_xor_b32_e32 v4, vcc_lo, v4
	v_xor_b32_e32 v2, vcc_hi, v15
	v_and_b32_e32 v15, exec_lo, v4
	v_lshlrev_b32_e32 v4, 30, v1
	v_cmp_gt_i64_e32 vcc, 0, v[3:4]
	v_not_b32_e32 v4, v4
	v_ashrrev_i32_e32 v4, 31, v4
	v_xor_b32_e32 v18, vcc_hi, v4
	v_xor_b32_e32 v4, vcc_lo, v4
	v_and_b32_e32 v15, v15, v4
	v_lshlrev_b32_e32 v4, 29, v1
	v_cmp_gt_i64_e32 vcc, 0, v[3:4]
	v_not_b32_e32 v4, v4
	v_and_b32_e32 v2, exec_hi, v2
	v_ashrrev_i32_e32 v4, 31, v4
	v_and_b32_e32 v2, v2, v18
	v_xor_b32_e32 v18, vcc_hi, v4
	v_xor_b32_e32 v4, vcc_lo, v4
	v_and_b32_e32 v15, v15, v4
	v_lshlrev_b32_e32 v4, 28, v1
	v_cmp_gt_i64_e32 vcc, 0, v[3:4]
	v_not_b32_e32 v4, v4
	v_ashrrev_i32_e32 v4, 31, v4
	v_and_b32_e32 v2, v2, v18
	v_xor_b32_e32 v18, vcc_hi, v4
	v_xor_b32_e32 v4, vcc_lo, v4
	v_and_b32_e32 v15, v15, v4
	v_lshlrev_b32_e32 v4, 27, v1
	v_cmp_gt_i64_e32 vcc, 0, v[3:4]
	v_not_b32_e32 v4, v4
	;; [unrolled: 8-line block ×5, first 2 shown]
	v_ashrrev_i32_e32 v1, 31, v1
	v_xor_b32_e32 v3, vcc_hi, v1
	v_xor_b32_e32 v1, vcc_lo, v1
	ds_read_b32 v13, v14 offset:16
	v_and_b32_e32 v2, v2, v18
	v_and_b32_e32 v1, v15, v1
	;; [unrolled: 1-line block ×3, first 2 shown]
	v_mbcnt_lo_u32_b32 v3, v1, 0
	v_mbcnt_hi_u32_b32 v15, v2, v3
	v_cmp_ne_u64_e32 vcc, 0, v[1:2]
	v_cmp_eq_u32_e64 s[0:1], 0, v15
	s_and_b64 s[2:3], vcc, s[0:1]
	; wave barrier
	s_and_saveexec_b64 s[0:1], s[2:3]
	s_cbranch_execz .LBB131_157
; %bb.156:
	v_bcnt_u32_b32 v1, v1, 0
	v_bcnt_u32_b32 v1, v2, v1
	s_waitcnt lgkmcnt(0)
	v_add_u32_e32 v1, v13, v1
	ds_write_b32 v14, v1 offset:16
.LBB131_157:
	s_or_b64 exec, exec, s[0:1]
	v_bfrev_b32_e32 v4, -2
	v_cmp_gt_i32_e32 vcc, 0, v16
	v_cndmask_b32_e64 v1, v4, 0, vcc
	v_xor_b32_e32 v16, v1, v16
	s_brev_b32 s2, 1
	v_cmp_ne_u32_e32 vcc, s2, v16
	v_cndmask_b32_e32 v1, v4, v16, vcc
	v_lshrrev_b32_e32 v1, s68, v1
	v_and_b32_e32 v3, s9, v1
	v_mul_lo_u32 v1, v3, 20
	v_and_b32_e32 v2, 1, v3
	v_add_co_u32_e32 v22, vcc, -1, v2
	v_addc_co_u32_e64 v24, s[0:1], 0, -1, vcc
	v_cmp_ne_u32_e32 vcc, 0, v2
	v_xor_b32_e32 v2, vcc_hi, v24
	v_lshl_add_u32 v20, v19, 2, v1
	v_mov_b32_e32 v1, 0
	v_and_b32_e32 v24, exec_hi, v2
	v_lshlrev_b32_e32 v2, 30, v3
	v_xor_b32_e32 v22, vcc_lo, v22
	v_cmp_gt_i64_e32 vcc, 0, v[1:2]
	v_not_b32_e32 v2, v2
	v_ashrrev_i32_e32 v2, 31, v2
	v_and_b32_e32 v22, exec_lo, v22
	v_xor_b32_e32 v25, vcc_hi, v2
	v_xor_b32_e32 v2, vcc_lo, v2
	v_and_b32_e32 v22, v22, v2
	v_lshlrev_b32_e32 v2, 29, v3
	v_cmp_gt_i64_e32 vcc, 0, v[1:2]
	v_not_b32_e32 v2, v2
	v_ashrrev_i32_e32 v2, 31, v2
	v_and_b32_e32 v24, v24, v25
	v_xor_b32_e32 v25, vcc_hi, v2
	v_xor_b32_e32 v2, vcc_lo, v2
	v_and_b32_e32 v22, v22, v2
	v_lshlrev_b32_e32 v2, 28, v3
	v_cmp_gt_i64_e32 vcc, 0, v[1:2]
	v_not_b32_e32 v2, v2
	v_ashrrev_i32_e32 v2, 31, v2
	v_and_b32_e32 v24, v24, v25
	v_xor_b32_e32 v25, vcc_hi, v2
	v_xor_b32_e32 v2, vcc_lo, v2
	v_and_b32_e32 v22, v22, v2
	v_lshlrev_b32_e32 v2, 27, v3
	v_cmp_gt_i64_e32 vcc, 0, v[1:2]
	v_not_b32_e32 v2, v2
	v_ashrrev_i32_e32 v2, 31, v2
	v_and_b32_e32 v24, v24, v25
	v_xor_b32_e32 v25, vcc_hi, v2
	v_xor_b32_e32 v2, vcc_lo, v2
	v_and_b32_e32 v22, v22, v2
	v_lshlrev_b32_e32 v2, 26, v3
	v_cmp_gt_i64_e32 vcc, 0, v[1:2]
	v_not_b32_e32 v2, v2
	v_ashrrev_i32_e32 v2, 31, v2
	v_and_b32_e32 v24, v24, v25
	v_xor_b32_e32 v25, vcc_hi, v2
	v_xor_b32_e32 v2, vcc_lo, v2
	v_and_b32_e32 v22, v22, v2
	v_lshlrev_b32_e32 v2, 25, v3
	v_cmp_gt_i64_e32 vcc, 0, v[1:2]
	v_not_b32_e32 v2, v2
	v_ashrrev_i32_e32 v2, 31, v2
	v_and_b32_e32 v24, v24, v25
	v_xor_b32_e32 v25, vcc_hi, v2
	v_xor_b32_e32 v2, vcc_lo, v2
	v_and_b32_e32 v22, v22, v2
	v_lshlrev_b32_e32 v2, 24, v3
	v_cmp_gt_i64_e32 vcc, 0, v[1:2]
	v_not_b32_e32 v2, v2
	v_ashrrev_i32_e32 v2, 31, v2
	v_xor_b32_e32 v3, vcc_hi, v2
	v_xor_b32_e32 v2, vcc_lo, v2
	; wave barrier
	ds_read_b32 v18, v20 offset:16
	v_and_b32_e32 v24, v24, v25
	v_and_b32_e32 v2, v22, v2
	;; [unrolled: 1-line block ×3, first 2 shown]
	v_mbcnt_lo_u32_b32 v22, v2, 0
	v_mbcnt_hi_u32_b32 v22, v3, v22
	v_cmp_ne_u64_e32 vcc, 0, v[2:3]
	v_cmp_eq_u32_e64 s[0:1], 0, v22
	s_and_b64 s[4:5], vcc, s[0:1]
	; wave barrier
	s_and_saveexec_b64 s[0:1], s[4:5]
	s_cbranch_execz .LBB131_159
; %bb.158:
	v_bcnt_u32_b32 v2, v2, 0
	v_bcnt_u32_b32 v2, v3, v2
	s_waitcnt lgkmcnt(0)
	v_add_u32_e32 v2, v18, v2
	ds_write_b32 v20, v2 offset:16
.LBB131_159:
	s_or_b64 exec, exec, s[0:1]
	v_cmp_gt_i32_e32 vcc, 0, v21
	v_cndmask_b32_e64 v2, v4, 0, vcc
	v_xor_b32_e32 v21, v2, v21
	v_cmp_ne_u32_e32 vcc, s2, v21
	v_cndmask_b32_e32 v2, v4, v21, vcc
	v_lshrrev_b32_e32 v2, s68, v2
	v_and_b32_e32 v3, s9, v2
	v_mul_lo_u32 v2, v3, 20
	; wave barrier
	v_lshl_add_u32 v25, v19, 2, v2
	v_and_b32_e32 v2, 1, v3
	v_add_co_u32_e32 v4, vcc, -1, v2
	v_addc_co_u32_e64 v26, s[0:1], 0, -1, vcc
	v_cmp_ne_u32_e32 vcc, 0, v2
	v_xor_b32_e32 v2, vcc_hi, v26
	v_and_b32_e32 v26, exec_hi, v2
	v_lshlrev_b32_e32 v2, 30, v3
	v_xor_b32_e32 v4, vcc_lo, v4
	v_cmp_gt_i64_e32 vcc, 0, v[1:2]
	v_not_b32_e32 v2, v2
	v_ashrrev_i32_e32 v2, 31, v2
	v_and_b32_e32 v4, exec_lo, v4
	v_xor_b32_e32 v29, vcc_hi, v2
	v_xor_b32_e32 v2, vcc_lo, v2
	v_and_b32_e32 v4, v4, v2
	v_lshlrev_b32_e32 v2, 29, v3
	v_cmp_gt_i64_e32 vcc, 0, v[1:2]
	v_not_b32_e32 v2, v2
	v_ashrrev_i32_e32 v2, 31, v2
	v_and_b32_e32 v26, v26, v29
	v_xor_b32_e32 v29, vcc_hi, v2
	v_xor_b32_e32 v2, vcc_lo, v2
	v_and_b32_e32 v4, v4, v2
	v_lshlrev_b32_e32 v2, 28, v3
	v_cmp_gt_i64_e32 vcc, 0, v[1:2]
	v_not_b32_e32 v2, v2
	v_ashrrev_i32_e32 v2, 31, v2
	v_and_b32_e32 v26, v26, v29
	;; [unrolled: 8-line block ×5, first 2 shown]
	v_xor_b32_e32 v29, vcc_hi, v2
	v_xor_b32_e32 v2, vcc_lo, v2
	v_and_b32_e32 v4, v4, v2
	v_lshlrev_b32_e32 v2, 24, v3
	v_cmp_gt_i64_e32 vcc, 0, v[1:2]
	v_not_b32_e32 v1, v2
	v_ashrrev_i32_e32 v1, 31, v1
	v_xor_b32_e32 v2, vcc_hi, v1
	v_xor_b32_e32 v1, vcc_lo, v1
	ds_read_b32 v24, v25 offset:16
	v_and_b32_e32 v26, v26, v29
	v_and_b32_e32 v1, v4, v1
	;; [unrolled: 1-line block ×3, first 2 shown]
	v_mbcnt_lo_u32_b32 v3, v1, 0
	v_mbcnt_hi_u32_b32 v26, v2, v3
	v_cmp_ne_u64_e32 vcc, 0, v[1:2]
	v_cmp_eq_u32_e64 s[0:1], 0, v26
	s_and_b64 s[2:3], vcc, s[0:1]
	; wave barrier
	s_and_saveexec_b64 s[0:1], s[2:3]
	s_cbranch_execz .LBB131_161
; %bb.160:
	v_bcnt_u32_b32 v1, v1, 0
	v_bcnt_u32_b32 v1, v2, v1
	s_waitcnt lgkmcnt(0)
	v_add_u32_e32 v1, v24, v1
	ds_write_b32 v25, v1 offset:16
.LBB131_161:
	s_or_b64 exec, exec, s[0:1]
	v_bfrev_b32_e32 v4, -2
	v_cmp_gt_i32_e32 vcc, 0, v27
	v_cndmask_b32_e64 v1, v4, 0, vcc
	v_xor_b32_e32 v27, v1, v27
	s_brev_b32 s2, 1
	v_cmp_ne_u32_e32 vcc, s2, v27
	v_cndmask_b32_e32 v1, v4, v27, vcc
	v_lshrrev_b32_e32 v1, s68, v1
	v_and_b32_e32 v3, s9, v1
	v_mul_lo_u32 v1, v3, 20
	v_and_b32_e32 v2, 1, v3
	v_add_co_u32_e32 v32, vcc, -1, v2
	v_addc_co_u32_e64 v34, s[0:1], 0, -1, vcc
	v_cmp_ne_u32_e32 vcc, 0, v2
	v_xor_b32_e32 v2, vcc_hi, v34
	v_lshl_add_u32 v30, v19, 2, v1
	v_mov_b32_e32 v1, 0
	v_and_b32_e32 v34, exec_hi, v2
	v_lshlrev_b32_e32 v2, 30, v3
	v_xor_b32_e32 v32, vcc_lo, v32
	v_cmp_gt_i64_e32 vcc, 0, v[1:2]
	v_not_b32_e32 v2, v2
	v_ashrrev_i32_e32 v2, 31, v2
	v_and_b32_e32 v32, exec_lo, v32
	v_xor_b32_e32 v35, vcc_hi, v2
	v_xor_b32_e32 v2, vcc_lo, v2
	v_and_b32_e32 v32, v32, v2
	v_lshlrev_b32_e32 v2, 29, v3
	v_cmp_gt_i64_e32 vcc, 0, v[1:2]
	v_not_b32_e32 v2, v2
	v_ashrrev_i32_e32 v2, 31, v2
	v_and_b32_e32 v34, v34, v35
	v_xor_b32_e32 v35, vcc_hi, v2
	v_xor_b32_e32 v2, vcc_lo, v2
	v_and_b32_e32 v32, v32, v2
	v_lshlrev_b32_e32 v2, 28, v3
	v_cmp_gt_i64_e32 vcc, 0, v[1:2]
	v_not_b32_e32 v2, v2
	v_ashrrev_i32_e32 v2, 31, v2
	v_and_b32_e32 v34, v34, v35
	;; [unrolled: 8-line block ×5, first 2 shown]
	v_xor_b32_e32 v35, vcc_hi, v2
	v_xor_b32_e32 v2, vcc_lo, v2
	v_and_b32_e32 v32, v32, v2
	v_lshlrev_b32_e32 v2, 24, v3
	v_cmp_gt_i64_e32 vcc, 0, v[1:2]
	v_not_b32_e32 v2, v2
	v_ashrrev_i32_e32 v2, 31, v2
	v_xor_b32_e32 v3, vcc_hi, v2
	v_xor_b32_e32 v2, vcc_lo, v2
	; wave barrier
	ds_read_b32 v29, v30 offset:16
	v_and_b32_e32 v34, v34, v35
	v_and_b32_e32 v2, v32, v2
	;; [unrolled: 1-line block ×3, first 2 shown]
	v_mbcnt_lo_u32_b32 v32, v2, 0
	v_mbcnt_hi_u32_b32 v32, v3, v32
	v_cmp_ne_u64_e32 vcc, 0, v[2:3]
	v_cmp_eq_u32_e64 s[0:1], 0, v32
	s_and_b64 s[4:5], vcc, s[0:1]
	; wave barrier
	s_and_saveexec_b64 s[0:1], s[4:5]
	s_cbranch_execz .LBB131_163
; %bb.162:
	v_bcnt_u32_b32 v2, v2, 0
	v_bcnt_u32_b32 v2, v3, v2
	s_waitcnt lgkmcnt(0)
	v_add_u32_e32 v2, v29, v2
	ds_write_b32 v30, v2 offset:16
.LBB131_163:
	s_or_b64 exec, exec, s[0:1]
	v_cmp_gt_i32_e32 vcc, 0, v31
	v_cndmask_b32_e64 v2, v4, 0, vcc
	v_xor_b32_e32 v31, v2, v31
	v_cmp_ne_u32_e32 vcc, s2, v31
	v_cndmask_b32_e32 v2, v4, v31, vcc
	v_lshrrev_b32_e32 v2, s68, v2
	v_and_b32_e32 v3, s9, v2
	v_mul_lo_u32 v2, v3, 20
	; wave barrier
	v_lshl_add_u32 v35, v19, 2, v2
	v_and_b32_e32 v2, 1, v3
	v_add_co_u32_e32 v4, vcc, -1, v2
	v_addc_co_u32_e64 v37, s[0:1], 0, -1, vcc
	v_cmp_ne_u32_e32 vcc, 0, v2
	v_xor_b32_e32 v2, vcc_hi, v37
	v_and_b32_e32 v37, exec_hi, v2
	v_lshlrev_b32_e32 v2, 30, v3
	v_xor_b32_e32 v4, vcc_lo, v4
	v_cmp_gt_i64_e32 vcc, 0, v[1:2]
	v_not_b32_e32 v2, v2
	v_ashrrev_i32_e32 v2, 31, v2
	v_and_b32_e32 v4, exec_lo, v4
	v_xor_b32_e32 v39, vcc_hi, v2
	v_xor_b32_e32 v2, vcc_lo, v2
	v_and_b32_e32 v4, v4, v2
	v_lshlrev_b32_e32 v2, 29, v3
	v_cmp_gt_i64_e32 vcc, 0, v[1:2]
	v_not_b32_e32 v2, v2
	v_ashrrev_i32_e32 v2, 31, v2
	v_and_b32_e32 v37, v37, v39
	v_xor_b32_e32 v39, vcc_hi, v2
	v_xor_b32_e32 v2, vcc_lo, v2
	v_and_b32_e32 v4, v4, v2
	v_lshlrev_b32_e32 v2, 28, v3
	v_cmp_gt_i64_e32 vcc, 0, v[1:2]
	v_not_b32_e32 v2, v2
	v_ashrrev_i32_e32 v2, 31, v2
	v_and_b32_e32 v37, v37, v39
	;; [unrolled: 8-line block ×5, first 2 shown]
	v_xor_b32_e32 v39, vcc_hi, v2
	v_xor_b32_e32 v2, vcc_lo, v2
	v_and_b32_e32 v4, v4, v2
	v_lshlrev_b32_e32 v2, 24, v3
	v_cmp_gt_i64_e32 vcc, 0, v[1:2]
	v_not_b32_e32 v1, v2
	v_ashrrev_i32_e32 v1, 31, v1
	v_xor_b32_e32 v2, vcc_hi, v1
	v_xor_b32_e32 v1, vcc_lo, v1
	ds_read_b32 v34, v35 offset:16
	v_and_b32_e32 v37, v37, v39
	v_and_b32_e32 v1, v4, v1
	;; [unrolled: 1-line block ×3, first 2 shown]
	v_mbcnt_lo_u32_b32 v3, v1, 0
	v_mbcnt_hi_u32_b32 v37, v2, v3
	v_cmp_ne_u64_e32 vcc, 0, v[1:2]
	v_cmp_eq_u32_e64 s[0:1], 0, v37
	s_and_b64 s[2:3], vcc, s[0:1]
	; wave barrier
	s_and_saveexec_b64 s[0:1], s[2:3]
	s_cbranch_execz .LBB131_165
; %bb.164:
	v_bcnt_u32_b32 v1, v1, 0
	v_bcnt_u32_b32 v1, v2, v1
	s_waitcnt lgkmcnt(0)
	v_add_u32_e32 v1, v34, v1
	ds_write_b32 v35, v1 offset:16
.LBB131_165:
	s_or_b64 exec, exec, s[0:1]
	v_bfrev_b32_e32 v4, -2
	v_cmp_gt_i32_e32 vcc, 0, v36
	v_cndmask_b32_e64 v1, v4, 0, vcc
	v_xor_b32_e32 v36, v1, v36
	s_brev_b32 s2, 1
	v_cmp_ne_u32_e32 vcc, s2, v36
	v_cndmask_b32_e32 v1, v4, v36, vcc
	v_lshrrev_b32_e32 v1, s68, v1
	v_and_b32_e32 v3, s9, v1
	v_mul_lo_u32 v1, v3, 20
	v_and_b32_e32 v2, 1, v3
	v_add_co_u32_e32 v41, vcc, -1, v2
	v_addc_co_u32_e64 v42, s[0:1], 0, -1, vcc
	v_cmp_ne_u32_e32 vcc, 0, v2
	v_xor_b32_e32 v2, vcc_hi, v42
	v_lshl_add_u32 v40, v19, 2, v1
	v_mov_b32_e32 v1, 0
	v_and_b32_e32 v42, exec_hi, v2
	v_lshlrev_b32_e32 v2, 30, v3
	v_xor_b32_e32 v41, vcc_lo, v41
	v_cmp_gt_i64_e32 vcc, 0, v[1:2]
	v_not_b32_e32 v2, v2
	v_ashrrev_i32_e32 v2, 31, v2
	v_and_b32_e32 v41, exec_lo, v41
	v_xor_b32_e32 v43, vcc_hi, v2
	v_xor_b32_e32 v2, vcc_lo, v2
	v_and_b32_e32 v41, v41, v2
	v_lshlrev_b32_e32 v2, 29, v3
	v_cmp_gt_i64_e32 vcc, 0, v[1:2]
	v_not_b32_e32 v2, v2
	v_ashrrev_i32_e32 v2, 31, v2
	v_and_b32_e32 v42, v42, v43
	v_xor_b32_e32 v43, vcc_hi, v2
	v_xor_b32_e32 v2, vcc_lo, v2
	v_and_b32_e32 v41, v41, v2
	v_lshlrev_b32_e32 v2, 28, v3
	v_cmp_gt_i64_e32 vcc, 0, v[1:2]
	v_not_b32_e32 v2, v2
	v_ashrrev_i32_e32 v2, 31, v2
	v_and_b32_e32 v42, v42, v43
	;; [unrolled: 8-line block ×5, first 2 shown]
	v_xor_b32_e32 v43, vcc_hi, v2
	v_xor_b32_e32 v2, vcc_lo, v2
	v_and_b32_e32 v41, v41, v2
	v_lshlrev_b32_e32 v2, 24, v3
	v_cmp_gt_i64_e32 vcc, 0, v[1:2]
	v_not_b32_e32 v2, v2
	v_ashrrev_i32_e32 v2, 31, v2
	v_xor_b32_e32 v3, vcc_hi, v2
	v_xor_b32_e32 v2, vcc_lo, v2
	; wave barrier
	ds_read_b32 v39, v40 offset:16
	v_and_b32_e32 v42, v42, v43
	v_and_b32_e32 v2, v41, v2
	v_and_b32_e32 v3, v42, v3
	v_mbcnt_lo_u32_b32 v41, v2, 0
	v_mbcnt_hi_u32_b32 v41, v3, v41
	v_cmp_ne_u64_e32 vcc, 0, v[2:3]
	v_cmp_eq_u32_e64 s[0:1], 0, v41
	s_and_b64 s[4:5], vcc, s[0:1]
	; wave barrier
	s_and_saveexec_b64 s[0:1], s[4:5]
	s_cbranch_execz .LBB131_167
; %bb.166:
	v_bcnt_u32_b32 v2, v2, 0
	v_bcnt_u32_b32 v2, v3, v2
	s_waitcnt lgkmcnt(0)
	v_add_u32_e32 v2, v39, v2
	ds_write_b32 v40, v2 offset:16
.LBB131_167:
	s_or_b64 exec, exec, s[0:1]
	v_cmp_gt_i32_e32 vcc, 0, v38
	v_cndmask_b32_e64 v2, v4, 0, vcc
	v_xor_b32_e32 v38, v2, v38
	v_cmp_ne_u32_e32 vcc, s2, v38
	v_cndmask_b32_e32 v2, v4, v38, vcc
	v_lshrrev_b32_e32 v2, s68, v2
	v_and_b32_e32 v3, s9, v2
	v_mul_lo_u32 v2, v3, 20
	; wave barrier
	v_lshl_add_u32 v43, v19, 2, v2
	v_and_b32_e32 v2, 1, v3
	v_add_co_u32_e32 v4, vcc, -1, v2
	v_addc_co_u32_e64 v44, s[0:1], 0, -1, vcc
	v_cmp_ne_u32_e32 vcc, 0, v2
	v_xor_b32_e32 v2, vcc_hi, v44
	v_and_b32_e32 v44, exec_hi, v2
	v_lshlrev_b32_e32 v2, 30, v3
	v_xor_b32_e32 v4, vcc_lo, v4
	v_cmp_gt_i64_e32 vcc, 0, v[1:2]
	v_not_b32_e32 v2, v2
	v_ashrrev_i32_e32 v2, 31, v2
	v_and_b32_e32 v4, exec_lo, v4
	v_xor_b32_e32 v45, vcc_hi, v2
	v_xor_b32_e32 v2, vcc_lo, v2
	v_and_b32_e32 v4, v4, v2
	v_lshlrev_b32_e32 v2, 29, v3
	v_cmp_gt_i64_e32 vcc, 0, v[1:2]
	v_not_b32_e32 v2, v2
	v_ashrrev_i32_e32 v2, 31, v2
	v_and_b32_e32 v44, v44, v45
	v_xor_b32_e32 v45, vcc_hi, v2
	v_xor_b32_e32 v2, vcc_lo, v2
	v_and_b32_e32 v4, v4, v2
	v_lshlrev_b32_e32 v2, 28, v3
	v_cmp_gt_i64_e32 vcc, 0, v[1:2]
	v_not_b32_e32 v2, v2
	v_ashrrev_i32_e32 v2, 31, v2
	v_and_b32_e32 v44, v44, v45
	;; [unrolled: 8-line block ×5, first 2 shown]
	v_xor_b32_e32 v45, vcc_hi, v2
	v_xor_b32_e32 v2, vcc_lo, v2
	v_and_b32_e32 v4, v4, v2
	v_lshlrev_b32_e32 v2, 24, v3
	v_cmp_gt_i64_e32 vcc, 0, v[1:2]
	v_not_b32_e32 v1, v2
	v_ashrrev_i32_e32 v1, 31, v1
	v_xor_b32_e32 v2, vcc_hi, v1
	v_xor_b32_e32 v1, vcc_lo, v1
	ds_read_b32 v42, v43 offset:16
	v_and_b32_e32 v44, v44, v45
	v_and_b32_e32 v1, v4, v1
	;; [unrolled: 1-line block ×3, first 2 shown]
	v_mbcnt_lo_u32_b32 v3, v1, 0
	v_mbcnt_hi_u32_b32 v44, v2, v3
	v_cmp_ne_u64_e32 vcc, 0, v[1:2]
	v_cmp_eq_u32_e64 s[0:1], 0, v44
	s_and_b64 s[2:3], vcc, s[0:1]
	; wave barrier
	s_and_saveexec_b64 s[0:1], s[2:3]
	s_cbranch_execz .LBB131_169
; %bb.168:
	v_bcnt_u32_b32 v1, v1, 0
	v_bcnt_u32_b32 v1, v2, v1
	s_waitcnt lgkmcnt(0)
	v_add_u32_e32 v1, v42, v1
	ds_write_b32 v43, v1 offset:16
.LBB131_169:
	s_or_b64 exec, exec, s[0:1]
	v_bfrev_b32_e32 v4, -2
	v_cmp_gt_i32_e32 vcc, 0, v33
	v_cndmask_b32_e64 v1, v4, 0, vcc
	v_xor_b32_e32 v33, v1, v33
	s_brev_b32 s2, 1
	v_cmp_ne_u32_e32 vcc, s2, v33
	v_cndmask_b32_e32 v1, v4, v33, vcc
	v_lshrrev_b32_e32 v1, s68, v1
	v_and_b32_e32 v3, s9, v1
	v_mul_lo_u32 v1, v3, 20
	v_and_b32_e32 v2, 1, v3
	v_add_co_u32_e32 v47, vcc, -1, v2
	v_addc_co_u32_e64 v48, s[0:1], 0, -1, vcc
	v_cmp_ne_u32_e32 vcc, 0, v2
	v_xor_b32_e32 v2, vcc_hi, v48
	v_lshl_add_u32 v46, v19, 2, v1
	v_mov_b32_e32 v1, 0
	v_and_b32_e32 v48, exec_hi, v2
	v_lshlrev_b32_e32 v2, 30, v3
	v_xor_b32_e32 v47, vcc_lo, v47
	v_cmp_gt_i64_e32 vcc, 0, v[1:2]
	v_not_b32_e32 v2, v2
	v_ashrrev_i32_e32 v2, 31, v2
	v_and_b32_e32 v47, exec_lo, v47
	v_xor_b32_e32 v49, vcc_hi, v2
	v_xor_b32_e32 v2, vcc_lo, v2
	v_and_b32_e32 v47, v47, v2
	v_lshlrev_b32_e32 v2, 29, v3
	v_cmp_gt_i64_e32 vcc, 0, v[1:2]
	v_not_b32_e32 v2, v2
	v_ashrrev_i32_e32 v2, 31, v2
	v_and_b32_e32 v48, v48, v49
	v_xor_b32_e32 v49, vcc_hi, v2
	v_xor_b32_e32 v2, vcc_lo, v2
	v_and_b32_e32 v47, v47, v2
	v_lshlrev_b32_e32 v2, 28, v3
	v_cmp_gt_i64_e32 vcc, 0, v[1:2]
	v_not_b32_e32 v2, v2
	v_ashrrev_i32_e32 v2, 31, v2
	v_and_b32_e32 v48, v48, v49
	;; [unrolled: 8-line block ×5, first 2 shown]
	v_xor_b32_e32 v49, vcc_hi, v2
	v_xor_b32_e32 v2, vcc_lo, v2
	v_and_b32_e32 v47, v47, v2
	v_lshlrev_b32_e32 v2, 24, v3
	v_cmp_gt_i64_e32 vcc, 0, v[1:2]
	v_not_b32_e32 v2, v2
	v_ashrrev_i32_e32 v2, 31, v2
	v_xor_b32_e32 v3, vcc_hi, v2
	v_xor_b32_e32 v2, vcc_lo, v2
	; wave barrier
	ds_read_b32 v45, v46 offset:16
	v_and_b32_e32 v48, v48, v49
	v_and_b32_e32 v2, v47, v2
	;; [unrolled: 1-line block ×3, first 2 shown]
	v_mbcnt_lo_u32_b32 v47, v2, 0
	v_mbcnt_hi_u32_b32 v48, v3, v47
	v_cmp_ne_u64_e32 vcc, 0, v[2:3]
	v_cmp_eq_u32_e64 s[0:1], 0, v48
	s_and_b64 s[4:5], vcc, s[0:1]
	; wave barrier
	s_and_saveexec_b64 s[0:1], s[4:5]
	s_cbranch_execz .LBB131_171
; %bb.170:
	v_bcnt_u32_b32 v2, v2, 0
	v_bcnt_u32_b32 v2, v3, v2
	s_waitcnt lgkmcnt(0)
	v_add_u32_e32 v2, v45, v2
	ds_write_b32 v46, v2 offset:16
.LBB131_171:
	s_or_b64 exec, exec, s[0:1]
	v_cmp_gt_i32_e32 vcc, 0, v28
	v_cndmask_b32_e64 v2, v4, 0, vcc
	v_xor_b32_e32 v47, v2, v28
	v_cmp_ne_u32_e32 vcc, s2, v47
	v_cndmask_b32_e32 v2, v4, v47, vcc
	v_lshrrev_b32_e32 v2, s68, v2
	v_and_b32_e32 v3, s9, v2
	v_mul_lo_u32 v2, v3, 20
	; wave barrier
	v_lshl_add_u32 v28, v19, 2, v2
	v_and_b32_e32 v2, 1, v3
	v_add_co_u32_e32 v4, vcc, -1, v2
	v_addc_co_u32_e64 v50, s[0:1], 0, -1, vcc
	v_cmp_ne_u32_e32 vcc, 0, v2
	v_xor_b32_e32 v2, vcc_hi, v50
	v_and_b32_e32 v50, exec_hi, v2
	v_lshlrev_b32_e32 v2, 30, v3
	v_xor_b32_e32 v4, vcc_lo, v4
	v_cmp_gt_i64_e32 vcc, 0, v[1:2]
	v_not_b32_e32 v2, v2
	v_ashrrev_i32_e32 v2, 31, v2
	v_and_b32_e32 v4, exec_lo, v4
	v_xor_b32_e32 v51, vcc_hi, v2
	v_xor_b32_e32 v2, vcc_lo, v2
	v_and_b32_e32 v4, v4, v2
	v_lshlrev_b32_e32 v2, 29, v3
	v_cmp_gt_i64_e32 vcc, 0, v[1:2]
	v_not_b32_e32 v2, v2
	v_ashrrev_i32_e32 v2, 31, v2
	v_and_b32_e32 v50, v50, v51
	v_xor_b32_e32 v51, vcc_hi, v2
	v_xor_b32_e32 v2, vcc_lo, v2
	v_and_b32_e32 v4, v4, v2
	v_lshlrev_b32_e32 v2, 28, v3
	v_cmp_gt_i64_e32 vcc, 0, v[1:2]
	v_not_b32_e32 v2, v2
	v_ashrrev_i32_e32 v2, 31, v2
	v_and_b32_e32 v50, v50, v51
	;; [unrolled: 8-line block ×5, first 2 shown]
	v_xor_b32_e32 v51, vcc_hi, v2
	v_xor_b32_e32 v2, vcc_lo, v2
	v_and_b32_e32 v4, v4, v2
	v_lshlrev_b32_e32 v2, 24, v3
	v_cmp_gt_i64_e32 vcc, 0, v[1:2]
	v_not_b32_e32 v1, v2
	v_ashrrev_i32_e32 v1, 31, v1
	v_xor_b32_e32 v2, vcc_hi, v1
	v_xor_b32_e32 v1, vcc_lo, v1
	ds_read_b32 v49, v28 offset:16
	v_and_b32_e32 v50, v50, v51
	v_and_b32_e32 v1, v4, v1
	;; [unrolled: 1-line block ×3, first 2 shown]
	v_mbcnt_lo_u32_b32 v3, v1, 0
	v_mbcnt_hi_u32_b32 v51, v2, v3
	v_cmp_ne_u64_e32 vcc, 0, v[1:2]
	v_cmp_eq_u32_e64 s[0:1], 0, v51
	s_and_b64 s[2:3], vcc, s[0:1]
	; wave barrier
	s_and_saveexec_b64 s[0:1], s[2:3]
	s_cbranch_execz .LBB131_173
; %bb.172:
	v_bcnt_u32_b32 v1, v1, 0
	v_bcnt_u32_b32 v1, v2, v1
	s_waitcnt lgkmcnt(0)
	v_add_u32_e32 v1, v49, v1
	ds_write_b32 v28, v1 offset:16
.LBB131_173:
	s_or_b64 exec, exec, s[0:1]
	v_bfrev_b32_e32 v4, -2
	v_cmp_gt_i32_e32 vcc, 0, v23
	v_cndmask_b32_e64 v1, v4, 0, vcc
	v_xor_b32_e32 v50, v1, v23
	s_brev_b32 s2, 1
	v_cmp_ne_u32_e32 vcc, s2, v50
	v_cndmask_b32_e32 v1, v4, v50, vcc
	v_lshrrev_b32_e32 v1, s68, v1
	v_and_b32_e32 v3, s9, v1
	v_mul_lo_u32 v1, v3, 20
	v_and_b32_e32 v2, 1, v3
	v_add_co_u32_e32 v52, vcc, -1, v2
	v_addc_co_u32_e64 v54, s[0:1], 0, -1, vcc
	v_cmp_ne_u32_e32 vcc, 0, v2
	v_xor_b32_e32 v2, vcc_hi, v54
	v_lshl_add_u32 v23, v19, 2, v1
	v_mov_b32_e32 v1, 0
	v_and_b32_e32 v54, exec_hi, v2
	v_lshlrev_b32_e32 v2, 30, v3
	v_xor_b32_e32 v52, vcc_lo, v52
	v_cmp_gt_i64_e32 vcc, 0, v[1:2]
	v_not_b32_e32 v2, v2
	v_ashrrev_i32_e32 v2, 31, v2
	v_and_b32_e32 v52, exec_lo, v52
	v_xor_b32_e32 v55, vcc_hi, v2
	v_xor_b32_e32 v2, vcc_lo, v2
	v_and_b32_e32 v52, v52, v2
	v_lshlrev_b32_e32 v2, 29, v3
	v_cmp_gt_i64_e32 vcc, 0, v[1:2]
	v_not_b32_e32 v2, v2
	v_ashrrev_i32_e32 v2, 31, v2
	v_and_b32_e32 v54, v54, v55
	v_xor_b32_e32 v55, vcc_hi, v2
	v_xor_b32_e32 v2, vcc_lo, v2
	v_and_b32_e32 v52, v52, v2
	v_lshlrev_b32_e32 v2, 28, v3
	v_cmp_gt_i64_e32 vcc, 0, v[1:2]
	v_not_b32_e32 v2, v2
	v_ashrrev_i32_e32 v2, 31, v2
	v_and_b32_e32 v54, v54, v55
	;; [unrolled: 8-line block ×5, first 2 shown]
	v_xor_b32_e32 v55, vcc_hi, v2
	v_xor_b32_e32 v2, vcc_lo, v2
	v_and_b32_e32 v52, v52, v2
	v_lshlrev_b32_e32 v2, 24, v3
	v_cmp_gt_i64_e32 vcc, 0, v[1:2]
	v_not_b32_e32 v2, v2
	v_ashrrev_i32_e32 v2, 31, v2
	v_xor_b32_e32 v3, vcc_hi, v2
	v_xor_b32_e32 v2, vcc_lo, v2
	; wave barrier
	ds_read_b32 v53, v23 offset:16
	v_and_b32_e32 v54, v54, v55
	v_and_b32_e32 v2, v52, v2
	v_and_b32_e32 v3, v54, v3
	v_mbcnt_lo_u32_b32 v52, v2, 0
	v_mbcnt_hi_u32_b32 v55, v3, v52
	v_cmp_ne_u64_e32 vcc, 0, v[2:3]
	v_cmp_eq_u32_e64 s[0:1], 0, v55
	s_and_b64 s[4:5], vcc, s[0:1]
	; wave barrier
	s_and_saveexec_b64 s[0:1], s[4:5]
	s_cbranch_execz .LBB131_175
; %bb.174:
	v_bcnt_u32_b32 v2, v2, 0
	v_bcnt_u32_b32 v2, v3, v2
	s_waitcnt lgkmcnt(0)
	v_add_u32_e32 v2, v53, v2
	ds_write_b32 v23, v2 offset:16
.LBB131_175:
	s_or_b64 exec, exec, s[0:1]
	v_cmp_gt_i32_e32 vcc, 0, v17
	v_cndmask_b32_e64 v2, v4, 0, vcc
	v_xor_b32_e32 v54, v2, v17
	v_cmp_ne_u32_e32 vcc, s2, v54
	v_cndmask_b32_e32 v2, v4, v54, vcc
	v_lshrrev_b32_e32 v2, s68, v2
	v_and_b32_e32 v3, s9, v2
	v_mul_lo_u32 v2, v3, 20
	; wave barrier
	v_lshl_add_u32 v17, v19, 2, v2
	v_and_b32_e32 v2, 1, v3
	v_add_co_u32_e32 v4, vcc, -1, v2
	v_addc_co_u32_e64 v19, s[0:1], 0, -1, vcc
	v_cmp_ne_u32_e32 vcc, 0, v2
	v_xor_b32_e32 v2, vcc_hi, v19
	v_and_b32_e32 v19, exec_hi, v2
	v_lshlrev_b32_e32 v2, 30, v3
	v_xor_b32_e32 v4, vcc_lo, v4
	v_cmp_gt_i64_e32 vcc, 0, v[1:2]
	v_not_b32_e32 v2, v2
	v_ashrrev_i32_e32 v2, 31, v2
	v_and_b32_e32 v4, exec_lo, v4
	v_xor_b32_e32 v52, vcc_hi, v2
	v_xor_b32_e32 v2, vcc_lo, v2
	v_and_b32_e32 v4, v4, v2
	v_lshlrev_b32_e32 v2, 29, v3
	v_cmp_gt_i64_e32 vcc, 0, v[1:2]
	v_not_b32_e32 v2, v2
	v_ashrrev_i32_e32 v2, 31, v2
	v_and_b32_e32 v19, v19, v52
	v_xor_b32_e32 v52, vcc_hi, v2
	v_xor_b32_e32 v2, vcc_lo, v2
	v_and_b32_e32 v4, v4, v2
	v_lshlrev_b32_e32 v2, 28, v3
	v_cmp_gt_i64_e32 vcc, 0, v[1:2]
	v_not_b32_e32 v2, v2
	v_ashrrev_i32_e32 v2, 31, v2
	v_and_b32_e32 v19, v19, v52
	;; [unrolled: 8-line block ×5, first 2 shown]
	v_xor_b32_e32 v52, vcc_hi, v2
	v_xor_b32_e32 v2, vcc_lo, v2
	v_and_b32_e32 v4, v4, v2
	v_lshlrev_b32_e32 v2, 24, v3
	v_cmp_gt_i64_e32 vcc, 0, v[1:2]
	v_not_b32_e32 v1, v2
	v_ashrrev_i32_e32 v1, 31, v1
	v_xor_b32_e32 v2, vcc_hi, v1
	v_xor_b32_e32 v1, vcc_lo, v1
	ds_read_b32 v56, v17 offset:16
	v_and_b32_e32 v19, v19, v52
	v_and_b32_e32 v1, v4, v1
	v_and_b32_e32 v2, v19, v2
	v_mbcnt_lo_u32_b32 v3, v1, 0
	v_mbcnt_hi_u32_b32 v57, v2, v3
	v_cmp_ne_u64_e32 vcc, 0, v[1:2]
	v_cmp_eq_u32_e64 s[0:1], 0, v57
	s_and_b64 s[2:3], vcc, s[0:1]
	; wave barrier
	s_and_saveexec_b64 s[0:1], s[2:3]
	s_cbranch_execz .LBB131_177
; %bb.176:
	v_bcnt_u32_b32 v1, v1, 0
	v_bcnt_u32_b32 v1, v2, v1
	s_waitcnt lgkmcnt(0)
	v_add_u32_e32 v1, v56, v1
	ds_write_b32 v17, v1 offset:16
.LBB131_177:
	s_or_b64 exec, exec, s[0:1]
	; wave barrier
	s_waitcnt lgkmcnt(0)
	s_barrier
	ds_read2_b32 v[3:4], v6 offset0:4 offset1:5
	ds_read2_b32 v[1:2], v6 offset0:6 offset1:7
	ds_read_b32 v19, v6 offset:32
	v_min_u32_e32 v9, 0xc0, v9
	v_or_b32_e32 v9, 63, v9
	s_waitcnt lgkmcnt(1)
	v_add3_u32 v52, v4, v3, v1
	s_waitcnt lgkmcnt(0)
	v_add3_u32 v19, v52, v2, v19
	v_and_b32_e32 v52, 15, v8
	v_cmp_ne_u32_e32 vcc, 0, v52
	v_mov_b32_dpp v58, v19 row_shr:1 row_mask:0xf bank_mask:0xf
	v_cndmask_b32_e32 v58, 0, v58, vcc
	v_add_u32_e32 v19, v58, v19
	v_cmp_lt_u32_e32 vcc, 1, v52
	s_nop 0
	v_mov_b32_dpp v58, v19 row_shr:2 row_mask:0xf bank_mask:0xf
	v_cndmask_b32_e32 v58, 0, v58, vcc
	v_add_u32_e32 v19, v19, v58
	v_cmp_lt_u32_e32 vcc, 3, v52
	s_nop 0
	;; [unrolled: 5-line block ×3, first 2 shown]
	v_mov_b32_dpp v58, v19 row_shr:8 row_mask:0xf bank_mask:0xf
	v_cndmask_b32_e32 v52, 0, v58, vcc
	v_add_u32_e32 v19, v19, v52
	v_bfe_i32 v58, v8, 4, 1
	v_cmp_lt_u32_e32 vcc, 31, v8
	v_mov_b32_dpp v52, v19 row_bcast:15 row_mask:0xf bank_mask:0xf
	v_and_b32_e32 v52, v58, v52
	v_add_u32_e32 v19, v19, v52
	v_lshrrev_b32_e32 v58, 6, v0
	s_nop 0
	v_mov_b32_dpp v52, v19 row_bcast:31 row_mask:0xf bank_mask:0xf
	v_cndmask_b32_e32 v52, 0, v52, vcc
	v_add_u32_e32 v19, v19, v52
	v_cmp_eq_u32_e32 vcc, v0, v9
	s_and_saveexec_b64 s[0:1], vcc
; %bb.178:
	v_lshlrev_b32_e32 v9, 2, v58
	ds_write_b32 v9, v19
; %bb.179:
	s_or_b64 exec, exec, s[0:1]
	v_cmp_gt_u32_e32 vcc, 4, v0
	v_lshlrev_b32_e32 v52, 2, v0
	s_waitcnt lgkmcnt(0)
	s_barrier
	s_and_saveexec_b64 s[0:1], vcc
	s_cbranch_execz .LBB131_181
; %bb.180:
	ds_read_b32 v9, v52
	v_and_b32_e32 v59, 3, v8
	v_cmp_ne_u32_e32 vcc, 0, v59
	s_waitcnt lgkmcnt(0)
	v_mov_b32_dpp v60, v9 row_shr:1 row_mask:0xf bank_mask:0xf
	v_cndmask_b32_e32 v60, 0, v60, vcc
	v_add_u32_e32 v9, v60, v9
	v_cmp_lt_u32_e32 vcc, 1, v59
	s_nop 0
	v_mov_b32_dpp v60, v9 row_shr:2 row_mask:0xf bank_mask:0xf
	v_cndmask_b32_e32 v59, 0, v60, vcc
	v_add_u32_e32 v9, v9, v59
	ds_write_b32 v52, v9
.LBB131_181:
	s_or_b64 exec, exec, s[0:1]
	v_cmp_lt_u32_e32 vcc, 63, v0
	v_mov_b32_e32 v9, 0
	s_waitcnt lgkmcnt(0)
	s_barrier
	s_and_saveexec_b64 s[0:1], vcc
; %bb.182:
	v_lshl_add_u32 v9, v58, 2, -4
	ds_read_b32 v9, v9
; %bb.183:
	s_or_b64 exec, exec, s[0:1]
	v_add_u32_e32 v58, -1, v8
	v_and_b32_e32 v59, 64, v8
	v_cmp_lt_i32_e32 vcc, v58, v59
	v_cndmask_b32_e32 v58, v58, v8, vcc
	s_waitcnt lgkmcnt(0)
	v_add_u32_e32 v19, v9, v19
	v_lshlrev_b32_e32 v58, 2, v58
	ds_bpermute_b32 v19, v58, v19
	v_cmp_eq_u32_e32 vcc, 0, v8
	s_movk_i32 s0, 0x100
	s_waitcnt lgkmcnt(0)
	v_cndmask_b32_e32 v9, v19, v9, vcc
	v_cmp_ne_u32_e32 vcc, 0, v0
	v_cndmask_b32_e32 v9, 0, v9, vcc
	v_add_u32_e32 v3, v9, v3
	v_add_u32_e32 v4, v3, v4
	;; [unrolled: 1-line block ×4, first 2 shown]
	ds_write2_b32 v6, v9, v3 offset0:4 offset1:5
	ds_write2_b32 v6, v4, v1 offset0:6 offset1:7
	ds_write_b32 v6, v2 offset:32
	s_waitcnt lgkmcnt(0)
	s_barrier
	ds_read_b32 v2, v43 offset:16
	ds_read_b32 v3, v46 offset:16
	;; [unrolled: 1-line block ×13, first 2 shown]
	v_add_u32_e32 v6, 1, v0
	v_cmp_ne_u32_e32 vcc, s0, v6
	v_mov_b32_e32 v1, 0xc00
	s_and_saveexec_b64 s[0:1], vcc
; %bb.184:
	v_mul_u32_u24_e32 v1, 20, v6
	ds_read_b32 v1, v1 offset:16
; %bb.185:
	s_or_b64 exec, exec, s[0:1]
	s_waitcnt lgkmcnt(7)
	v_add_u32_e32 v28, v10, v11
	s_waitcnt lgkmcnt(6)
	v_add3_u32 v25, v15, v13, v14
	s_waitcnt lgkmcnt(5)
	v_add3_u32 v23, v22, v18, v17
	v_add3_u32 v17, v44, v42, v2
	v_lshlrev_b32_e32 v2, 2, v28
	s_waitcnt lgkmcnt(0)
	s_barrier
	ds_write_b32 v2, v5 offset:2048
	v_lshlrev_b32_e32 v2, 2, v25
	v_add3_u32 v22, v26, v24, v19
	ds_write_b32 v2, v12 offset:2048
	v_lshlrev_b32_e32 v2, 2, v23
	v_add3_u32 v20, v32, v29, v20
	;; [unrolled: 3-line block ×4, first 2 shown]
	ds_write_b32 v2, v27 offset:2048
	v_lshlrev_b32_e32 v2, 2, v19
	ds_write_b32 v2, v31 offset:2048
	v_lshlrev_b32_e32 v2, 2, v18
	v_add3_u32 v15, v48, v45, v3
	ds_write_b32 v2, v36 offset:2048
	v_lshlrev_b32_e32 v2, 2, v17
	v_add3_u32 v14, v51, v49, v4
	;; [unrolled: 3-line block ×4, first 2 shown]
	ds_write_b32 v2, v47 offset:2048
	v_lshlrev_b32_e32 v2, 2, v13
	ds_write_b32 v2, v50 offset:2048
	v_lshlrev_b32_e32 v2, 2, v11
	v_lshl_or_b32 v3, s6, 8, v0
	v_mov_b32_e32 v4, 0
	ds_write_b32 v2, v54 offset:2048
	v_sub_u32_e32 v10, v1, v9
	v_lshlrev_b64 v[1:2], 2, v[3:4]
	v_mov_b32_e32 v12, s73
	v_add_co_u32_e32 v1, vcc, s72, v1
	v_addc_co_u32_e32 v2, vcc, v12, v2, vcc
	v_or_b32_e32 v3, 2.0, v10
	s_mov_b64 s[0:1], 0
	s_brev_b32 s10, -4
	v_mov_b32_e32 v16, 0
	s_waitcnt lgkmcnt(0)
	s_barrier
	global_store_dword v[1:2], v3, off
                                        ; implicit-def: $sgpr2_sgpr3
	s_branch .LBB131_188
.LBB131_186:                            ;   in Loop: Header=BB131_188 Depth=1
	s_or_b64 exec, exec, s[4:5]
.LBB131_187:                            ;   in Loop: Header=BB131_188 Depth=1
	s_or_b64 exec, exec, s[2:3]
	v_and_b32_e32 v5, 0x3fffffff, v3
	v_add_u32_e32 v16, v5, v16
	v_cmp_gt_i32_e64 s[2:3], -2.0, v3
	s_and_b64 s[4:5], exec, s[2:3]
	s_or_b64 s[0:1], s[4:5], s[0:1]
	s_andn2_b64 exec, exec, s[0:1]
	s_cbranch_execz .LBB131_193
.LBB131_188:                            ; =>This Loop Header: Depth=1
                                        ;     Child Loop BB131_191 Depth 2
	s_or_b64 s[2:3], s[2:3], exec
	s_cmp_eq_u32 s7, 0
	s_cbranch_scc1 .LBB131_192
; %bb.189:                              ;   in Loop: Header=BB131_188 Depth=1
	s_add_i32 s7, s7, -1
	v_lshl_or_b32 v3, s7, 8, v0
	v_lshlrev_b64 v[5:6], 2, v[3:4]
	v_add_co_u32_e32 v5, vcc, s72, v5
	v_addc_co_u32_e32 v6, vcc, v12, v6, vcc
	global_load_dword v3, v[5:6], off glc
	s_waitcnt vmcnt(0)
	v_cmp_gt_u32_e32 vcc, 2.0, v3
	s_and_saveexec_b64 s[2:3], vcc
	s_cbranch_execz .LBB131_187
; %bb.190:                              ;   in Loop: Header=BB131_188 Depth=1
	s_mov_b64 s[4:5], 0
.LBB131_191:                            ;   Parent Loop BB131_188 Depth=1
                                        ; =>  This Inner Loop Header: Depth=2
	global_load_dword v3, v[5:6], off glc
	s_waitcnt vmcnt(0)
	v_cmp_lt_u32_e32 vcc, s10, v3
	s_or_b64 s[4:5], vcc, s[4:5]
	s_andn2_b64 exec, exec, s[4:5]
	s_cbranch_execnz .LBB131_191
	s_branch .LBB131_186
.LBB131_192:                            ;   in Loop: Header=BB131_188 Depth=1
                                        ; implicit-def: $sgpr7
	s_and_b64 s[4:5], exec, s[2:3]
	s_or_b64 s[0:1], s[4:5], s[0:1]
	s_andn2_b64 exec, exec, s[0:1]
	s_cbranch_execnz .LBB131_188
.LBB131_193:
	s_or_b64 exec, exec, s[0:1]
	v_add_u32_e32 v4, v16, v10
	v_or_b32_e32 v4, 0x80000000, v4
	v_lshlrev_b32_e32 v3, 3, v0
	global_store_dword v[1:2], v4, off
	global_load_dwordx2 v[1:2], v3, s[64:65]
	v_sub_co_u32_e32 v4, vcc, v16, v9
	v_subb_co_u32_e64 v5, s[2:3], 0, 0, vcc
	v_sub_u32_e32 v21, v3, v52
	s_brev_b32 s0, 1
	v_bfrev_b32_e32 v12, -2
	v_mov_b32_e32 v6, s59
	v_mov_b32_e32 v16, s59
	v_mov_b32_e32 v24, s59
	v_mov_b32_e32 v35, s59
	v_or_b32_e32 v65, 0x500, v0
	v_or_b32_e32 v66, 0x600, v0
	;; [unrolled: 1-line block ×3, first 2 shown]
	v_lshlrev_b32_e32 v7, 3, v7
	v_or_b32_e32 v68, 0x800, v0
	v_lshlrev_b32_e32 v55, 2, v68
	s_waitcnt vmcnt(0)
	v_add_co_u32_e32 v1, vcc, v4, v1
	v_addc_co_u32_e32 v2, vcc, v5, v2, vcc
	ds_write_b64 v3, v[1:2]
	s_waitcnt lgkmcnt(0)
	s_barrier
	ds_read2st64_b32 v[1:2], v21 offset0:8 offset1:12
	ds_read2st64_b32 v[4:5], v21 offset0:16 offset1:20
	;; [unrolled: 1-line block ×3, first 2 shown]
	s_waitcnt lgkmcnt(2)
	v_cmp_ne_u32_e32 vcc, s0, v1
	v_cndmask_b32_e32 v29, v12, v1, vcc
	v_cmp_gt_i32_e32 vcc, 0, v1
	v_cndmask_b32_e64 v30, v12, 0, vcc
	v_cmp_ne_u32_e32 vcc, s0, v2
	v_cndmask_b32_e32 v31, v12, v2, vcc
	v_cmp_gt_i32_e32 vcc, 0, v2
	v_cndmask_b32_e64 v32, v12, 0, vcc
	s_waitcnt lgkmcnt(1)
	v_cmp_ne_u32_e32 vcc, s0, v4
	v_cndmask_b32_e32 v33, v12, v4, vcc
	v_cmp_gt_i32_e32 vcc, 0, v4
	v_cndmask_b32_e64 v34, v12, 0, vcc
	v_cmp_ne_u32_e32 vcc, s0, v5
	v_cndmask_b32_e32 v36, v12, v5, vcc
	v_lshrrev_b32_e32 v29, s68, v29
	v_xor_b32_e32 v38, v30, v1
	v_lshrrev_b32_e32 v1, s68, v31
	v_xor_b32_e32 v39, v32, v2
	;; [unrolled: 2-line block ×3, first 2 shown]
	v_lshrrev_b32_e32 v4, s68, v36
	v_and_b32_e32 v29, s9, v29
	v_and_b32_e32 v1, s9, v1
	;; [unrolled: 1-line block ×4, first 2 shown]
	v_lshlrev_b32_e32 v57, 3, v29
	v_lshlrev_b32_e32 v58, 3, v1
	;; [unrolled: 1-line block ×4, first 2 shown]
	ds_read_b64 v[1:2], v57
	ds_read_b64 v[29:30], v58
	;; [unrolled: 1-line block ×4, first 2 shown]
	v_cmp_gt_i32_e32 vcc, 0, v5
	s_waitcnt lgkmcnt(3)
	v_lshlrev_b64 v[1:2], 2, v[1:2]
	v_cndmask_b32_e64 v37, v12, 0, vcc
	v_xor_b32_e32 v36, v37, v5
	s_waitcnt lgkmcnt(2)
	v_lshlrev_b64 v[4:5], 2, v[29:30]
	v_add_co_u32_e32 v1, vcc, s58, v1
	v_addc_co_u32_e32 v2, vcc, v6, v2, vcc
	s_waitcnt lgkmcnt(1)
	v_lshlrev_b64 v[29:30], 2, v[31:32]
	v_add_co_u32_e32 v4, vcc, s58, v4
	v_addc_co_u32_e32 v5, vcc, v16, v5, vcc
	;; [unrolled: 4-line block ×3, first 2 shown]
	v_add_co_u32_e32 v24, vcc, s58, v31
	v_addc_co_u32_e32 v32, vcc, v35, v32, vcc
	v_add_co_u32_e32 v1, vcc, v1, v52
	v_addc_co_u32_e32 v2, vcc, 0, v2, vcc
	;; [unrolled: 2-line block ×5, first 2 shown]
	v_cmp_ne_u32_e32 vcc, s0, v26
	global_store_dword v[1:2], v38, off
	global_store_dword v[4:5], v39, off offset:1024
	global_store_dword v[29:30], v40, off offset:2048
	;; [unrolled: 1-line block ×3, first 2 shown]
	v_cndmask_b32_e32 v1, v12, v26, vcc
	v_lshrrev_b32_e32 v1, s68, v1
	v_and_b32_e32 v1, s9, v1
	v_cmp_gt_i32_e32 vcc, 0, v26
	v_cndmask_b32_e64 v2, v12, 0, vcc
	v_lshlrev_b32_e32 v61, 3, v1
	v_xor_b32_e32 v6, v2, v26
	ds_read_b64 v[1:2], v61
	ds_read2st64_b32 v[4:5], v21 offset0:32 offset1:36
	v_cmp_ne_u32_e32 vcc, s0, v27
	v_cndmask_b32_e32 v16, v12, v27, vcc
	v_lshrrev_b32_e32 v16, s68, v16
	v_and_b32_e32 v16, s9, v16
	s_waitcnt lgkmcnt(0)
	v_cmp_ne_u32_e32 vcc, s0, v4
	v_lshlrev_b32_e32 v62, 3, v16
	v_cndmask_b32_e32 v16, v12, v4, vcc
	v_lshrrev_b32_e32 v16, s68, v16
	v_and_b32_e32 v16, s9, v16
	v_cmp_ne_u32_e32 vcc, s0, v5
	v_lshlrev_b32_e32 v63, 3, v16
	v_cndmask_b32_e32 v16, v12, v5, vcc
	v_lshrrev_b32_e32 v16, s68, v16
	v_lshlrev_b64 v[1:2], 2, v[1:2]
	v_and_b32_e32 v16, s9, v16
	v_or_b32_e32 v24, 0x400, v0
	v_lshlrev_b32_e32 v64, 3, v16
	v_mov_b32_e32 v16, s59
	v_add_co_u32_e32 v1, vcc, s58, v1
	v_addc_co_u32_e32 v2, vcc, v16, v2, vcc
	v_lshlrev_b32_e32 v16, 2, v24
	v_add_co_u32_e32 v1, vcc, v1, v16
	ds_read_b64 v[29:30], v62
	ds_read_b64 v[31:32], v63
	;; [unrolled: 1-line block ×3, first 2 shown]
	v_addc_co_u32_e32 v2, vcc, 0, v2, vcc
	v_cmp_gt_i32_e32 vcc, 0, v27
	global_store_dword v[1:2], v6, off
	v_cndmask_b32_e64 v1, v12, 0, vcc
	v_xor_b32_e32 v6, v1, v27
	s_waitcnt lgkmcnt(2)
	v_lshlrev_b64 v[1:2], 2, v[29:30]
	v_mov_b32_e32 v16, s59
	v_add_co_u32_e32 v1, vcc, s58, v1
	v_addc_co_u32_e32 v2, vcc, v16, v2, vcc
	v_lshlrev_b32_e32 v16, 2, v65
	v_add_co_u32_e32 v1, vcc, v1, v16
	v_addc_co_u32_e32 v2, vcc, 0, v2, vcc
	v_cmp_gt_i32_e32 vcc, 0, v4
	global_store_dword v[1:2], v6, off
	v_cndmask_b32_e64 v1, v12, 0, vcc
	v_xor_b32_e32 v4, v1, v4
	s_waitcnt lgkmcnt(1)
	v_lshlrev_b64 v[1:2], 2, v[31:32]
	v_mov_b32_e32 v6, s59
	v_add_co_u32_e32 v1, vcc, s58, v1
	v_addc_co_u32_e32 v2, vcc, v6, v2, vcc
	v_lshlrev_b32_e32 v6, 2, v66
	v_add_co_u32_e32 v1, vcc, v1, v6
	v_addc_co_u32_e32 v2, vcc, 0, v2, vcc
	v_cmp_gt_i32_e32 vcc, 0, v5
	global_store_dword v[1:2], v4, off
	v_cndmask_b32_e64 v1, v12, 0, vcc
	v_xor_b32_e32 v6, v1, v5
	s_waitcnt lgkmcnt(0)
	v_lshlrev_b64 v[1:2], 2, v[33:34]
	v_mov_b32_e32 v4, s59
	v_add_co_u32_e32 v5, vcc, s58, v1
	v_addc_co_u32_e32 v16, vcc, v4, v2, vcc
	ds_read2st64_b32 v[1:2], v21 offset0:40 offset1:44
	v_lshlrev_b32_e32 v4, 2, v67
	v_add_co_u32_e32 v4, vcc, v5, v4
	v_addc_co_u32_e32 v5, vcc, 0, v16, vcc
	s_waitcnt lgkmcnt(0)
	v_cmp_ne_u32_e32 vcc, s0, v1
	global_store_dword v[4:5], v6, off
	v_cndmask_b32_e32 v4, v12, v1, vcc
	v_lshrrev_b32_e32 v4, s68, v4
	v_and_b32_e32 v4, s9, v4
	v_cmp_gt_i32_e32 vcc, 0, v1
	v_cndmask_b32_e64 v5, v12, 0, vcc
	v_lshlrev_b32_e32 v69, 3, v4
	v_xor_b32_e32 v1, v5, v1
	ds_read_b64 v[4:5], v69
	ds_read2st64_b32 v[26:27], v21 offset0:48 offset1:52
	v_cmp_ne_u32_e32 vcc, s0, v2
	v_cndmask_b32_e32 v6, v12, v2, vcc
	v_lshrrev_b32_e32 v6, s68, v6
	v_and_b32_e32 v6, s9, v6
	s_waitcnt lgkmcnt(0)
	v_cmp_ne_u32_e32 vcc, s0, v26
	v_lshlrev_b32_e32 v21, 3, v6
	v_cndmask_b32_e32 v6, v12, v26, vcc
	v_lshrrev_b32_e32 v6, s68, v6
	v_and_b32_e32 v6, s9, v6
	v_cmp_ne_u32_e32 vcc, s0, v27
	v_lshlrev_b32_e32 v70, 3, v6
	v_cndmask_b32_e32 v6, v12, v27, vcc
	v_lshrrev_b32_e32 v6, s68, v6
	s_lshl_b64 s[0:1], s[54:55], 3
	v_and_b32_e32 v6, s9, v6
	s_add_u32 s0, s60, s0
	v_lshlrev_b32_e32 v71, 3, v6
	s_addc_u32 s1, s61, s1
	v_lshlrev_b32_e32 v6, 3, v8
	v_mov_b32_e32 v8, s1
	v_add_co_u32_e32 v6, vcc, s0, v6
	v_addc_co_u32_e32 v8, vcc, 0, v8, vcc
	v_add_co_u32_e32 v6, vcc, v6, v7
	v_addc_co_u32_e32 v7, vcc, 0, v8, vcc
	ds_read_b64 v[29:30], v21
	ds_read_b64 v[31:32], v70
	;; [unrolled: 1-line block ×3, first 2 shown]
	global_load_dwordx2 v[35:36], v[6:7], off
	s_movk_i32 s0, 0x1000
	v_lshlrev_b64 v[4:5], 2, v[4:5]
	global_load_dwordx2 v[37:38], v[6:7], off offset:512
	global_load_dwordx2 v[39:40], v[6:7], off offset:1024
	global_load_dwordx2 v[41:42], v[6:7], off offset:1536
	global_load_dwordx2 v[43:44], v[6:7], off offset:2048
	global_load_dwordx2 v[45:46], v[6:7], off offset:2560
	global_load_dwordx2 v[47:48], v[6:7], off offset:3072
	global_load_dwordx2 v[49:50], v[6:7], off offset:3584
	v_add_co_u32_e32 v6, vcc, s0, v6
	v_addc_co_u32_e32 v7, vcc, 0, v7, vcc
	v_mov_b32_e32 v8, s59
	global_load_dwordx2 v[51:52], v[6:7], off
	global_load_dwordx2 v[53:54], v[6:7], off offset:512
	v_add_co_u32_e32 v16, vcc, s58, v4
	v_addc_co_u32_e32 v8, vcc, v8, v5, vcc
	global_load_dwordx2 v[4:5], v[6:7], off offset:1024
	v_add_co_u32_e32 v55, vcc, v16, v55
	global_load_dwordx2 v[6:7], v[6:7], off offset:1536
	v_addc_co_u32_e32 v56, vcc, 0, v8, vcc
	v_cmp_gt_i32_e32 vcc, 0, v2
	global_store_dword v[55:56], v1, off
	v_cndmask_b32_e64 v1, v12, 0, vcc
	v_xor_b32_e32 v16, v1, v2
	s_waitcnt lgkmcnt(2)
	v_lshlrev_b64 v[1:2], 2, v[29:30]
	v_or_b32_e32 v8, 0x900, v0
	v_mov_b32_e32 v29, s59
	v_add_co_u32_e32 v1, vcc, s58, v1
	v_addc_co_u32_e32 v2, vcc, v29, v2, vcc
	v_lshlrev_b32_e32 v29, 2, v8
	v_add_co_u32_e32 v1, vcc, v1, v29
	v_addc_co_u32_e32 v2, vcc, 0, v2, vcc
	v_cmp_gt_i32_e32 vcc, 0, v26
	global_store_dword v[1:2], v16, off
	v_cndmask_b32_e64 v1, v12, 0, vcc
	v_xor_b32_e32 v16, v1, v26
	s_waitcnt lgkmcnt(1)
	v_lshlrev_b64 v[1:2], 2, v[31:32]
	v_or_b32_e32 v29, 0xa00, v0
	v_mov_b32_e32 v26, s59
	v_add_co_u32_e32 v1, vcc, s58, v1
	v_addc_co_u32_e32 v2, vcc, v26, v2, vcc
	v_lshlrev_b32_e32 v26, 2, v29
	v_add_co_u32_e32 v1, vcc, v1, v26
	v_addc_co_u32_e32 v2, vcc, 0, v2, vcc
	v_cmp_gt_i32_e32 vcc, 0, v27
	global_store_dword v[1:2], v16, off
	v_or_b32_e32 v2, 0xb00, v0
	v_cndmask_b32_e64 v0, v12, 0, vcc
	v_xor_b32_e32 v12, v0, v27
	s_waitcnt lgkmcnt(0)
	v_lshlrev_b64 v[0:1], 2, v[33:34]
	v_mov_b32_e32 v16, s59
	v_add_co_u32_e32 v0, vcc, s58, v0
	v_addc_co_u32_e32 v1, vcc, v16, v1, vcc
	v_lshlrev_b32_e32 v16, 2, v2
	v_add_co_u32_e32 v0, vcc, v0, v16
	v_addc_co_u32_e32 v1, vcc, 0, v1, vcc
	global_store_dword v[0:1], v12, off
	v_lshlrev_b32_e32 v0, 3, v28
	s_waitcnt vmcnt(0)
	s_barrier
	v_lshlrev_b32_e32 v2, 3, v2
	s_add_i32 s8, s8, -1
	s_cmp_lg_u32 s6, s8
	ds_write_b64 v0, v[35:36] offset:2048
	v_lshlrev_b32_e32 v0, 3, v25
	ds_write_b64 v0, v[37:38] offset:2048
	v_lshlrev_b32_e32 v0, 3, v23
	;; [unrolled: 2-line block ×11, first 2 shown]
	ds_write_b64 v0, v[6:7] offset:2048
	s_waitcnt lgkmcnt(0)
	s_barrier
	ds_read_b64 v[0:1], v57
	ds_read2st64_b64 v[4:7], v3 offset0:4 offset1:8
	ds_read_b64 v[11:12], v58
	ds_read_b64 v[13:14], v59
	;; [unrolled: 1-line block ×3, first 2 shown]
	s_waitcnt lgkmcnt(4)
	v_lshlrev_b64 v[0:1], 3, v[0:1]
	v_mov_b32_e32 v17, s63
	v_add_co_u32_e32 v0, vcc, s62, v0
	v_addc_co_u32_e32 v1, vcc, v17, v1, vcc
	v_add_co_u32_e32 v0, vcc, v0, v3
	v_addc_co_u32_e32 v1, vcc, 0, v1, vcc
	s_waitcnt lgkmcnt(3)
	global_store_dwordx2 v[0:1], v[4:5], off
	s_waitcnt lgkmcnt(2)
	v_lshlrev_b64 v[0:1], 3, v[11:12]
	v_mov_b32_e32 v4, s63
	v_add_co_u32_e32 v0, vcc, s62, v0
	v_addc_co_u32_e32 v1, vcc, v4, v1, vcc
	v_add_co_u32_e32 v0, vcc, v0, v3
	v_addc_co_u32_e32 v1, vcc, 0, v1, vcc
	global_store_dwordx2 v[0:1], v[6:7], off offset:2048
	s_waitcnt lgkmcnt(1)
	v_lshlrev_b64 v[0:1], 3, v[13:14]
	ds_read2st64_b64 v[4:7], v3 offset0:12 offset1:16
	v_mov_b32_e32 v11, s63
	v_add_co_u32_e32 v0, vcc, s62, v0
	v_addc_co_u32_e32 v1, vcc, v11, v1, vcc
	v_or_b32_e32 v11, 0x1000, v3
	v_add_co_u32_e32 v0, vcc, v0, v11
	v_addc_co_u32_e32 v1, vcc, 0, v1, vcc
	s_waitcnt lgkmcnt(0)
	global_store_dwordx2 v[0:1], v[4:5], off
	v_lshlrev_b64 v[0:1], 3, v[15:16]
	v_mov_b32_e32 v4, s63
	v_add_co_u32_e32 v0, vcc, s62, v0
	v_addc_co_u32_e32 v1, vcc, v4, v1, vcc
	v_or_b32_e32 v4, 0x1800, v3
	v_add_co_u32_e32 v0, vcc, v0, v4
	v_addc_co_u32_e32 v1, vcc, 0, v1, vcc
	global_store_dwordx2 v[0:1], v[6:7], off
	ds_read_b64 v[0:1], v61
	ds_read2st64_b64 v[4:7], v3 offset0:20 offset1:24
	ds_read_b64 v[11:12], v62
	ds_read_b64 v[13:14], v63
	;; [unrolled: 1-line block ×3, first 2 shown]
	s_waitcnt lgkmcnt(4)
	v_lshlrev_b64 v[0:1], 3, v[0:1]
	v_add_co_u32_e32 v0, vcc, s62, v0
	v_addc_co_u32_e32 v1, vcc, v17, v1, vcc
	v_lshlrev_b32_e32 v17, 3, v24
	v_add_co_u32_e32 v0, vcc, v0, v17
	v_addc_co_u32_e32 v1, vcc, 0, v1, vcc
	s_waitcnt lgkmcnt(3)
	global_store_dwordx2 v[0:1], v[4:5], off
	s_waitcnt lgkmcnt(2)
	v_lshlrev_b64 v[0:1], 3, v[11:12]
	v_mov_b32_e32 v4, s63
	v_add_co_u32_e32 v0, vcc, s62, v0
	v_addc_co_u32_e32 v1, vcc, v4, v1, vcc
	v_lshlrev_b32_e32 v4, 3, v65
	v_add_co_u32_e32 v0, vcc, v0, v4
	v_addc_co_u32_e32 v1, vcc, 0, v1, vcc
	global_store_dwordx2 v[0:1], v[6:7], off
	s_waitcnt lgkmcnt(1)
	v_lshlrev_b64 v[0:1], 3, v[13:14]
	ds_read2st64_b64 v[4:7], v3 offset0:28 offset1:32
	v_mov_b32_e32 v11, s63
	v_add_co_u32_e32 v0, vcc, s62, v0
	v_addc_co_u32_e32 v1, vcc, v11, v1, vcc
	v_lshlrev_b32_e32 v11, 3, v66
	v_add_co_u32_e32 v0, vcc, v0, v11
	v_addc_co_u32_e32 v1, vcc, 0, v1, vcc
	s_waitcnt lgkmcnt(0)
	global_store_dwordx2 v[0:1], v[4:5], off
	v_lshlrev_b64 v[0:1], 3, v[15:16]
	v_mov_b32_e32 v4, s63
	v_add_co_u32_e32 v0, vcc, s62, v0
	v_addc_co_u32_e32 v1, vcc, v4, v1, vcc
	v_lshlrev_b32_e32 v4, 3, v67
	v_add_co_u32_e32 v0, vcc, v0, v4
	v_addc_co_u32_e32 v1, vcc, 0, v1, vcc
	global_store_dwordx2 v[0:1], v[6:7], off
	ds_read_b64 v[0:1], v69
	ds_read2st64_b64 v[4:7], v3 offset0:36 offset1:40
	ds_read_b64 v[11:12], v21
	ds_read_b64 v[13:14], v70
	;; [unrolled: 1-line block ×3, first 2 shown]
	s_waitcnt lgkmcnt(4)
	v_lshlrev_b64 v[0:1], 3, v[0:1]
	v_mov_b32_e32 v17, s63
	v_add_co_u32_e32 v0, vcc, s62, v0
	v_addc_co_u32_e32 v1, vcc, v17, v1, vcc
	v_lshlrev_b32_e32 v17, 3, v68
	v_add_co_u32_e32 v0, vcc, v0, v17
	v_addc_co_u32_e32 v1, vcc, 0, v1, vcc
	s_waitcnt lgkmcnt(3)
	global_store_dwordx2 v[0:1], v[4:5], off
	s_waitcnt lgkmcnt(2)
	v_lshlrev_b64 v[0:1], 3, v[11:12]
	v_mov_b32_e32 v4, s63
	v_add_co_u32_e32 v0, vcc, s62, v0
	v_addc_co_u32_e32 v1, vcc, v4, v1, vcc
	v_lshlrev_b32_e32 v4, 3, v8
	v_add_co_u32_e32 v0, vcc, v0, v4
	v_addc_co_u32_e32 v1, vcc, 0, v1, vcc
	global_store_dwordx2 v[0:1], v[6:7], off
	s_waitcnt lgkmcnt(1)
	v_lshlrev_b64 v[0:1], 3, v[13:14]
	ds_read2st64_b64 v[4:7], v3 offset0:44 offset1:48
	v_mov_b32_e32 v8, s63
	v_add_co_u32_e32 v0, vcc, s62, v0
	v_addc_co_u32_e32 v1, vcc, v8, v1, vcc
	v_lshlrev_b32_e32 v8, 3, v29
	v_add_co_u32_e32 v0, vcc, v0, v8
	v_addc_co_u32_e32 v1, vcc, 0, v1, vcc
	s_waitcnt lgkmcnt(0)
	global_store_dwordx2 v[0:1], v[4:5], off
	v_lshlrev_b64 v[0:1], 3, v[15:16]
	v_mov_b32_e32 v4, s63
	v_add_co_u32_e32 v0, vcc, s62, v0
	v_addc_co_u32_e32 v1, vcc, v4, v1, vcc
	v_add_co_u32_e32 v0, vcc, v0, v2
	v_addc_co_u32_e32 v1, vcc, 0, v1, vcc
	global_store_dwordx2 v[0:1], v[6:7], off
	s_cbranch_scc1 .LBB131_195
; %bb.194:
	ds_read_b64 v[0:1], v3
	v_add_co_u32_e32 v2, vcc, v10, v9
	v_addc_co_u32_e64 v4, s[0:1], 0, 0, vcc
	s_waitcnt lgkmcnt(0)
	v_add_co_u32_e32 v0, vcc, v2, v0
	v_addc_co_u32_e32 v1, vcc, v4, v1, vcc
	global_store_dwordx2 v3, v[0:1], s[66:67]
.LBB131_195:
	s_endpgm
.LBB131_196:
	s_or_b64 exec, exec, s[0:1]
	s_and_saveexec_b64 s[0:1], s[26:27]
	s_cbranch_execz .LBB131_139
.LBB131_197:
	v_lshlrev_b32_e32 v3, 3, v60
	ds_read_b64 v[3:4], v3
	ds_read_b64 v[5:6], v32 offset:4096
	v_mov_b32_e32 v7, s63
	s_waitcnt lgkmcnt(1)
	v_lshlrev_b64 v[3:4], 3, v[3:4]
	v_add_co_u32_e32 v3, vcc, s62, v3
	v_addc_co_u32_e32 v4, vcc, v7, v4, vcc
	v_add_co_u32_e32 v3, vcc, v3, v32
	v_addc_co_u32_e32 v4, vcc, 0, v4, vcc
	s_waitcnt lgkmcnt(0)
	global_store_dwordx2 v[3:4], v[5:6], off offset:2048
	s_or_b64 exec, exec, s[0:1]
	s_and_saveexec_b64 s[0:1], s[28:29]
	s_cbranch_execnz .LBB131_140
.LBB131_198:
	s_or_b64 exec, exec, s[0:1]
	s_and_saveexec_b64 s[0:1], s[30:31]
	s_cbranch_execz .LBB131_141
.LBB131_199:
	v_lshlrev_b32_e32 v3, 3, v58
	ds_read_b64 v[3:4], v3
	ds_read_b64 v[5:6], v32 offset:8192
	v_mov_b32_e32 v7, s63
	s_waitcnt lgkmcnt(1)
	v_lshlrev_b64 v[3:4], 3, v[3:4]
	v_add_co_u32_e32 v3, vcc, s62, v3
	v_addc_co_u32_e32 v4, vcc, v7, v4, vcc
	v_lshlrev_b32_e32 v7, 3, v46
	v_add_co_u32_e32 v3, vcc, v3, v7
	v_addc_co_u32_e32 v4, vcc, 0, v4, vcc
	s_waitcnt lgkmcnt(0)
	global_store_dwordx2 v[3:4], v[5:6], off
	s_or_b64 exec, exec, s[0:1]
	s_and_saveexec_b64 s[0:1], s[34:35]
	s_cbranch_execnz .LBB131_142
.LBB131_200:
	s_or_b64 exec, exec, s[0:1]
	s_and_saveexec_b64 s[0:1], s[36:37]
	s_cbranch_execz .LBB131_143
.LBB131_201:
	v_lshlrev_b32_e32 v3, 3, v56
	ds_read_b64 v[3:4], v3
	ds_read_b64 v[5:6], v32 offset:12288
	v_mov_b32_e32 v7, s63
	s_waitcnt lgkmcnt(1)
	v_lshlrev_b64 v[3:4], 3, v[3:4]
	v_add_co_u32_e32 v3, vcc, s62, v3
	v_addc_co_u32_e32 v4, vcc, v7, v4, vcc
	v_lshlrev_b32_e32 v7, 3, v48
	v_add_co_u32_e32 v3, vcc, v3, v7
	v_addc_co_u32_e32 v4, vcc, 0, v4, vcc
	s_waitcnt lgkmcnt(0)
	global_store_dwordx2 v[3:4], v[5:6], off
	s_or_b64 exec, exec, s[0:1]
	s_and_saveexec_b64 s[0:1], s[38:39]
	s_cbranch_execnz .LBB131_144
.LBB131_202:
	s_or_b64 exec, exec, s[0:1]
	s_and_saveexec_b64 s[0:1], s[40:41]
	s_cbranch_execz .LBB131_145
.LBB131_203:
	v_lshlrev_b32_e32 v3, 3, v55
	ds_read_b64 v[3:4], v3
	ds_read_b64 v[5:6], v32 offset:16384
	v_mov_b32_e32 v7, s63
	s_waitcnt lgkmcnt(1)
	v_lshlrev_b64 v[3:4], 3, v[3:4]
	v_add_co_u32_e32 v3, vcc, s62, v3
	v_addc_co_u32_e32 v4, vcc, v7, v4, vcc
	v_lshlrev_b32_e32 v7, 3, v50
	v_add_co_u32_e32 v3, vcc, v3, v7
	v_addc_co_u32_e32 v4, vcc, 0, v4, vcc
	s_waitcnt lgkmcnt(0)
	global_store_dwordx2 v[3:4], v[5:6], off
	s_or_b64 exec, exec, s[0:1]
	s_and_saveexec_b64 s[0:1], s[42:43]
	s_cbranch_execnz .LBB131_146
.LBB131_204:
	s_or_b64 exec, exec, s[0:1]
	s_and_saveexec_b64 s[0:1], s[44:45]
	s_cbranch_execz .LBB131_147
.LBB131_205:
	v_lshlrev_b32_e32 v3, 3, v28
	ds_read_b64 v[3:4], v3
	ds_read_b64 v[5:6], v32 offset:20480
	v_mov_b32_e32 v7, s63
	s_waitcnt lgkmcnt(1)
	v_lshlrev_b64 v[3:4], 3, v[3:4]
	v_add_co_u32_e32 v3, vcc, s62, v3
	v_addc_co_u32_e32 v4, vcc, v7, v4, vcc
	v_lshlrev_b32_e32 v7, 3, v52
	v_add_co_u32_e32 v3, vcc, v3, v7
	v_addc_co_u32_e32 v4, vcc, 0, v4, vcc
	s_waitcnt lgkmcnt(0)
	global_store_dwordx2 v[3:4], v[5:6], off
	s_or_b64 exec, exec, s[0:1]
	s_and_saveexec_b64 s[0:1], s[46:47]
	s_cbranch_execnz .LBB131_148
.LBB131_206:
	s_or_b64 exec, exec, s[0:1]
	s_and_saveexec_b64 s[0:1], s[48:49]
	s_cbranch_execz .LBB131_149
.LBB131_207:
	v_lshlrev_b32_e32 v3, 3, v27
	ds_read_b64 v[3:4], v3
	ds_read_b64 v[5:6], v32 offset:24576
	v_mov_b32_e32 v7, s63
	s_waitcnt lgkmcnt(1)
	v_lshlrev_b64 v[3:4], 3, v[3:4]
	v_add_co_u32_e32 v3, vcc, s62, v3
	v_addc_co_u32_e32 v4, vcc, v7, v4, vcc
	v_lshlrev_b32_e32 v7, 3, v54
	v_add_co_u32_e32 v3, vcc, v3, v7
	v_addc_co_u32_e32 v4, vcc, 0, v4, vcc
	s_waitcnt lgkmcnt(0)
	global_store_dwordx2 v[3:4], v[5:6], off
	s_or_b64 exec, exec, s[0:1]
	s_add_i32 s33, s33, -1
	s_cmp_eq_u32 s6, s33
	s_cbranch_scc1 .LBB131_150
	s_branch .LBB131_151
	.section	.rodata,"a",@progbits
	.p2align	6, 0x0
	.amdhsa_kernel _ZN7rocprim17ROCPRIM_304000_NS6detail25onesweep_iteration_kernelINS1_34wrapped_radix_sort_onesweep_configINS0_14default_configEfN2at4cuda3cub6detail10OpaqueTypeILi8EEEEELb1EPKfPfPKSA_PSA_mNS0_19identity_decomposerEEEvT1_T2_T3_T4_jPT5_SO_PNS1_23onesweep_lookback_stateET6_jjj
		.amdhsa_group_segment_fixed_size 26624
		.amdhsa_private_segment_fixed_size 0
		.amdhsa_kernarg_size 336
		.amdhsa_user_sgpr_count 6
		.amdhsa_user_sgpr_private_segment_buffer 1
		.amdhsa_user_sgpr_dispatch_ptr 0
		.amdhsa_user_sgpr_queue_ptr 0
		.amdhsa_user_sgpr_kernarg_segment_ptr 1
		.amdhsa_user_sgpr_dispatch_id 0
		.amdhsa_user_sgpr_flat_scratch_init 0
		.amdhsa_user_sgpr_private_segment_size 0
		.amdhsa_uses_dynamic_stack 0
		.amdhsa_system_sgpr_private_segment_wavefront_offset 0
		.amdhsa_system_sgpr_workgroup_id_x 1
		.amdhsa_system_sgpr_workgroup_id_y 0
		.amdhsa_system_sgpr_workgroup_id_z 0
		.amdhsa_system_sgpr_workgroup_info 0
		.amdhsa_system_vgpr_workitem_id 2
		.amdhsa_next_free_vgpr 85
		.amdhsa_next_free_sgpr 98
		.amdhsa_reserve_vcc 1
		.amdhsa_reserve_flat_scratch 0
		.amdhsa_float_round_mode_32 0
		.amdhsa_float_round_mode_16_64 0
		.amdhsa_float_denorm_mode_32 3
		.amdhsa_float_denorm_mode_16_64 3
		.amdhsa_dx10_clamp 1
		.amdhsa_ieee_mode 1
		.amdhsa_fp16_overflow 0
		.amdhsa_exception_fp_ieee_invalid_op 0
		.amdhsa_exception_fp_denorm_src 0
		.amdhsa_exception_fp_ieee_div_zero 0
		.amdhsa_exception_fp_ieee_overflow 0
		.amdhsa_exception_fp_ieee_underflow 0
		.amdhsa_exception_fp_ieee_inexact 0
		.amdhsa_exception_int_div_zero 0
	.end_amdhsa_kernel
	.section	.text._ZN7rocprim17ROCPRIM_304000_NS6detail25onesweep_iteration_kernelINS1_34wrapped_radix_sort_onesweep_configINS0_14default_configEfN2at4cuda3cub6detail10OpaqueTypeILi8EEEEELb1EPKfPfPKSA_PSA_mNS0_19identity_decomposerEEEvT1_T2_T3_T4_jPT5_SO_PNS1_23onesweep_lookback_stateET6_jjj,"axG",@progbits,_ZN7rocprim17ROCPRIM_304000_NS6detail25onesweep_iteration_kernelINS1_34wrapped_radix_sort_onesweep_configINS0_14default_configEfN2at4cuda3cub6detail10OpaqueTypeILi8EEEEELb1EPKfPfPKSA_PSA_mNS0_19identity_decomposerEEEvT1_T2_T3_T4_jPT5_SO_PNS1_23onesweep_lookback_stateET6_jjj,comdat
.Lfunc_end131:
	.size	_ZN7rocprim17ROCPRIM_304000_NS6detail25onesweep_iteration_kernelINS1_34wrapped_radix_sort_onesweep_configINS0_14default_configEfN2at4cuda3cub6detail10OpaqueTypeILi8EEEEELb1EPKfPfPKSA_PSA_mNS0_19identity_decomposerEEEvT1_T2_T3_T4_jPT5_SO_PNS1_23onesweep_lookback_stateET6_jjj, .Lfunc_end131-_ZN7rocprim17ROCPRIM_304000_NS6detail25onesweep_iteration_kernelINS1_34wrapped_radix_sort_onesweep_configINS0_14default_configEfN2at4cuda3cub6detail10OpaqueTypeILi8EEEEELb1EPKfPfPKSA_PSA_mNS0_19identity_decomposerEEEvT1_T2_T3_T4_jPT5_SO_PNS1_23onesweep_lookback_stateET6_jjj
                                        ; -- End function
	.set _ZN7rocprim17ROCPRIM_304000_NS6detail25onesweep_iteration_kernelINS1_34wrapped_radix_sort_onesweep_configINS0_14default_configEfN2at4cuda3cub6detail10OpaqueTypeILi8EEEEELb1EPKfPfPKSA_PSA_mNS0_19identity_decomposerEEEvT1_T2_T3_T4_jPT5_SO_PNS1_23onesweep_lookback_stateET6_jjj.num_vgpr, 72
	.set _ZN7rocprim17ROCPRIM_304000_NS6detail25onesweep_iteration_kernelINS1_34wrapped_radix_sort_onesweep_configINS0_14default_configEfN2at4cuda3cub6detail10OpaqueTypeILi8EEEEELb1EPKfPfPKSA_PSA_mNS0_19identity_decomposerEEEvT1_T2_T3_T4_jPT5_SO_PNS1_23onesweep_lookback_stateET6_jjj.num_agpr, 0
	.set _ZN7rocprim17ROCPRIM_304000_NS6detail25onesweep_iteration_kernelINS1_34wrapped_radix_sort_onesweep_configINS0_14default_configEfN2at4cuda3cub6detail10OpaqueTypeILi8EEEEELb1EPKfPfPKSA_PSA_mNS0_19identity_decomposerEEEvT1_T2_T3_T4_jPT5_SO_PNS1_23onesweep_lookback_stateET6_jjj.numbered_sgpr, 75
	.set _ZN7rocprim17ROCPRIM_304000_NS6detail25onesweep_iteration_kernelINS1_34wrapped_radix_sort_onesweep_configINS0_14default_configEfN2at4cuda3cub6detail10OpaqueTypeILi8EEEEELb1EPKfPfPKSA_PSA_mNS0_19identity_decomposerEEEvT1_T2_T3_T4_jPT5_SO_PNS1_23onesweep_lookback_stateET6_jjj.num_named_barrier, 0
	.set _ZN7rocprim17ROCPRIM_304000_NS6detail25onesweep_iteration_kernelINS1_34wrapped_radix_sort_onesweep_configINS0_14default_configEfN2at4cuda3cub6detail10OpaqueTypeILi8EEEEELb1EPKfPfPKSA_PSA_mNS0_19identity_decomposerEEEvT1_T2_T3_T4_jPT5_SO_PNS1_23onesweep_lookback_stateET6_jjj.private_seg_size, 0
	.set _ZN7rocprim17ROCPRIM_304000_NS6detail25onesweep_iteration_kernelINS1_34wrapped_radix_sort_onesweep_configINS0_14default_configEfN2at4cuda3cub6detail10OpaqueTypeILi8EEEEELb1EPKfPfPKSA_PSA_mNS0_19identity_decomposerEEEvT1_T2_T3_T4_jPT5_SO_PNS1_23onesweep_lookback_stateET6_jjj.uses_vcc, 1
	.set _ZN7rocprim17ROCPRIM_304000_NS6detail25onesweep_iteration_kernelINS1_34wrapped_radix_sort_onesweep_configINS0_14default_configEfN2at4cuda3cub6detail10OpaqueTypeILi8EEEEELb1EPKfPfPKSA_PSA_mNS0_19identity_decomposerEEEvT1_T2_T3_T4_jPT5_SO_PNS1_23onesweep_lookback_stateET6_jjj.uses_flat_scratch, 0
	.set _ZN7rocprim17ROCPRIM_304000_NS6detail25onesweep_iteration_kernelINS1_34wrapped_radix_sort_onesweep_configINS0_14default_configEfN2at4cuda3cub6detail10OpaqueTypeILi8EEEEELb1EPKfPfPKSA_PSA_mNS0_19identity_decomposerEEEvT1_T2_T3_T4_jPT5_SO_PNS1_23onesweep_lookback_stateET6_jjj.has_dyn_sized_stack, 0
	.set _ZN7rocprim17ROCPRIM_304000_NS6detail25onesweep_iteration_kernelINS1_34wrapped_radix_sort_onesweep_configINS0_14default_configEfN2at4cuda3cub6detail10OpaqueTypeILi8EEEEELb1EPKfPfPKSA_PSA_mNS0_19identity_decomposerEEEvT1_T2_T3_T4_jPT5_SO_PNS1_23onesweep_lookback_stateET6_jjj.has_recursion, 0
	.set _ZN7rocprim17ROCPRIM_304000_NS6detail25onesweep_iteration_kernelINS1_34wrapped_radix_sort_onesweep_configINS0_14default_configEfN2at4cuda3cub6detail10OpaqueTypeILi8EEEEELb1EPKfPfPKSA_PSA_mNS0_19identity_decomposerEEEvT1_T2_T3_T4_jPT5_SO_PNS1_23onesweep_lookback_stateET6_jjj.has_indirect_call, 0
	.section	.AMDGPU.csdata,"",@progbits
; Kernel info:
; codeLenInByte = 20392
; TotalNumSgprs: 79
; NumVgprs: 72
; ScratchSize: 0
; MemoryBound: 0
; FloatMode: 240
; IeeeMode: 1
; LDSByteSize: 26624 bytes/workgroup (compile time only)
; SGPRBlocks: 12
; VGPRBlocks: 21
; NumSGPRsForWavesPerEU: 102
; NumVGPRsForWavesPerEU: 85
; Occupancy: 2
; WaveLimiterHint : 1
; COMPUTE_PGM_RSRC2:SCRATCH_EN: 0
; COMPUTE_PGM_RSRC2:USER_SGPR: 6
; COMPUTE_PGM_RSRC2:TRAP_HANDLER: 0
; COMPUTE_PGM_RSRC2:TGID_X_EN: 1
; COMPUTE_PGM_RSRC2:TGID_Y_EN: 0
; COMPUTE_PGM_RSRC2:TGID_Z_EN: 0
; COMPUTE_PGM_RSRC2:TIDIG_COMP_CNT: 2
	.section	.text._ZN7rocprim17ROCPRIM_304000_NS6detail25onesweep_iteration_kernelINS1_34wrapped_radix_sort_onesweep_configINS0_14default_configEfN2at4cuda3cub6detail10OpaqueTypeILi8EEEEELb1EPfSC_PSA_SD_mNS0_19identity_decomposerEEEvT1_T2_T3_T4_jPT5_SK_PNS1_23onesweep_lookback_stateET6_jjj,"axG",@progbits,_ZN7rocprim17ROCPRIM_304000_NS6detail25onesweep_iteration_kernelINS1_34wrapped_radix_sort_onesweep_configINS0_14default_configEfN2at4cuda3cub6detail10OpaqueTypeILi8EEEEELb1EPfSC_PSA_SD_mNS0_19identity_decomposerEEEvT1_T2_T3_T4_jPT5_SK_PNS1_23onesweep_lookback_stateET6_jjj,comdat
	.protected	_ZN7rocprim17ROCPRIM_304000_NS6detail25onesweep_iteration_kernelINS1_34wrapped_radix_sort_onesweep_configINS0_14default_configEfN2at4cuda3cub6detail10OpaqueTypeILi8EEEEELb1EPfSC_PSA_SD_mNS0_19identity_decomposerEEEvT1_T2_T3_T4_jPT5_SK_PNS1_23onesweep_lookback_stateET6_jjj ; -- Begin function _ZN7rocprim17ROCPRIM_304000_NS6detail25onesweep_iteration_kernelINS1_34wrapped_radix_sort_onesweep_configINS0_14default_configEfN2at4cuda3cub6detail10OpaqueTypeILi8EEEEELb1EPfSC_PSA_SD_mNS0_19identity_decomposerEEEvT1_T2_T3_T4_jPT5_SK_PNS1_23onesweep_lookback_stateET6_jjj
	.globl	_ZN7rocprim17ROCPRIM_304000_NS6detail25onesweep_iteration_kernelINS1_34wrapped_radix_sort_onesweep_configINS0_14default_configEfN2at4cuda3cub6detail10OpaqueTypeILi8EEEEELb1EPfSC_PSA_SD_mNS0_19identity_decomposerEEEvT1_T2_T3_T4_jPT5_SK_PNS1_23onesweep_lookback_stateET6_jjj
	.p2align	8
	.type	_ZN7rocprim17ROCPRIM_304000_NS6detail25onesweep_iteration_kernelINS1_34wrapped_radix_sort_onesweep_configINS0_14default_configEfN2at4cuda3cub6detail10OpaqueTypeILi8EEEEELb1EPfSC_PSA_SD_mNS0_19identity_decomposerEEEvT1_T2_T3_T4_jPT5_SK_PNS1_23onesweep_lookback_stateET6_jjj,@function
_ZN7rocprim17ROCPRIM_304000_NS6detail25onesweep_iteration_kernelINS1_34wrapped_radix_sort_onesweep_configINS0_14default_configEfN2at4cuda3cub6detail10OpaqueTypeILi8EEEEELb1EPfSC_PSA_SD_mNS0_19identity_decomposerEEEvT1_T2_T3_T4_jPT5_SK_PNS1_23onesweep_lookback_stateET6_jjj: ; @_ZN7rocprim17ROCPRIM_304000_NS6detail25onesweep_iteration_kernelINS1_34wrapped_radix_sort_onesweep_configINS0_14default_configEfN2at4cuda3cub6detail10OpaqueTypeILi8EEEEELb1EPfSC_PSA_SD_mNS0_19identity_decomposerEEEvT1_T2_T3_T4_jPT5_SK_PNS1_23onesweep_lookback_stateET6_jjj
; %bb.0:
	s_load_dwordx8 s[56:63], s[4:5], 0x0
	s_load_dwordx4 s[68:71], s[4:5], 0x44
	s_load_dwordx4 s[64:67], s[4:5], 0x28
	s_load_dwordx2 s[72:73], s[4:5], 0x38
	s_mov_b32 s7, s6
	s_mov_b64 s[0:1], -1
	s_waitcnt lgkmcnt(0)
	s_cmp_ge_u32 s6, s70
	s_mul_i32 s54, s6, 0xc00
	v_mbcnt_lo_u32_b32 v29, -1, 0
	s_cbranch_scc0 .LBB132_152
; %bb.1:
	s_load_dword s2, s[4:5], 0x20
	s_mulk_i32 s70, 0xf400
	s_mov_b32 s55, 0
	s_lshl_b64 s[0:1], s[54:55], 2
	v_mbcnt_hi_u32_b32 v10, -1, v29
	s_waitcnt lgkmcnt(0)
	s_add_i32 s70, s70, s2
	s_add_u32 s0, s56, s0
	s_addc_u32 s1, s57, s1
	v_and_b32_e32 v7, 0xc0, v0
	v_lshlrev_b32_e32 v3, 2, v10
	v_mul_u32_u24_e32 v9, 12, v7
	v_mov_b32_e32 v4, s1
	v_add_co_u32_e32 v3, vcc, s0, v3
	v_addc_co_u32_e32 v4, vcc, 0, v4, vcc
	v_lshlrev_b32_e32 v5, 2, v9
	v_add_co_u32_e32 v3, vcc, v3, v5
	v_addc_co_u32_e32 v4, vcc, 0, v4, vcc
	v_or_b32_e32 v8, v10, v9
	v_mov_b32_e32 v13, -1
	v_cmp_gt_u32_e32 vcc, s70, v8
	v_mov_b32_e32 v5, -1
	s_and_saveexec_b64 s[0:1], vcc
	s_cbranch_execz .LBB132_3
; %bb.2:
	global_load_dword v5, v[3:4], off
.LBB132_3:
	s_or_b64 exec, exec, s[0:1]
	v_add_u32_e32 v6, 64, v8
	v_cmp_gt_u32_e64 s[0:1], s70, v6
	s_and_saveexec_b64 s[2:3], s[0:1]
	s_cbranch_execz .LBB132_5
; %bb.4:
	global_load_dword v13, v[3:4], off offset:256
.LBB132_5:
	s_or_b64 exec, exec, s[2:3]
	v_add_u32_e32 v6, 0x80, v8
	v_cmp_gt_u32_e64 s[2:3], s70, v6
	v_mov_b32_e32 v22, -1
	v_mov_b32_e32 v18, -1
	s_and_saveexec_b64 s[8:9], s[2:3]
	s_cbranch_execz .LBB132_7
; %bb.6:
	global_load_dword v18, v[3:4], off offset:512
.LBB132_7:
	s_or_b64 exec, exec, s[8:9]
	v_add_u32_e32 v6, 0xc0, v8
	v_cmp_gt_u32_e64 s[50:51], s70, v6
	s_and_saveexec_b64 s[8:9], s[50:51]
	s_cbranch_execz .LBB132_9
; %bb.8:
	global_load_dword v22, v[3:4], off offset:768
.LBB132_9:
	s_or_b64 exec, exec, s[8:9]
	v_add_u32_e32 v6, 0x100, v8
	v_cmp_gt_u32_e64 s[8:9], s70, v6
	v_mov_b32_e32 v36, -1
	v_mov_b32_e32 v31, -1
	s_and_saveexec_b64 s[10:11], s[8:9]
	s_cbranch_execz .LBB132_11
; %bb.10:
	global_load_dword v31, v[3:4], off offset:1024
.LBB132_11:
	;; [unrolled: 18-line block ×5, first 2 shown]
	s_or_b64 exec, exec, s[10:11]
	v_add_u32_e32 v8, 0x2c0, v8
	v_cmp_gt_u32_e64 s[10:11], s70, v8
	s_and_saveexec_b64 s[24:25], s[10:11]
	s_cbranch_execz .LBB132_25
; %bb.24:
	global_load_dword v6, v[3:4], off offset:2816
.LBB132_25:
	s_or_b64 exec, exec, s[24:25]
	s_load_dword s24, s[4:5], 0x5c
	s_load_dword s33, s[4:5], 0x50
	s_add_u32 s25, s4, 0x50
	s_addc_u32 s26, s5, 0
	v_mov_b32_e32 v3, 0
	s_waitcnt lgkmcnt(0)
	s_lshr_b32 s27, s24, 16
	s_cmp_lt_u32 s6, s33
	s_cselect_b32 s24, 12, 18
	s_add_u32 s24, s25, s24
	s_addc_u32 s25, s26, 0
	global_load_ushort v12, v3, s[24:25]
	v_bfrev_b32_e32 v15, -2
	s_waitcnt vmcnt(1)
	v_cmp_gt_i32_e64 s[24:25], 0, v5
	v_cndmask_b32_e64 v4, v15, 0, s[24:25]
	s_brev_b32 s28, 1
	v_xor_b32_e32 v8, v4, v5
	v_cmp_ne_u32_e64 s[24:25], s28, v8
	v_cndmask_b32_e64 v4, v15, v8, s[24:25]
	s_lshl_b32 s24, -1, s69
	v_lshrrev_b32_e32 v4, s68, v4
	s_not_b32 s74, s24
	v_and_b32_e32 v14, s74, v4
	v_and_b32_e32 v17, 1, v14
	v_add_co_u32_e64 v19, s[24:25], -1, v17
	v_lshlrev_b32_e32 v4, 30, v14
	v_addc_co_u32_e64 v20, s[24:25], 0, -1, s[24:25]
	v_mad_u32_u24 v5, v2, s27, v1
	v_cmp_ne_u32_e64 s[24:25], 0, v17
	v_cmp_gt_i64_e64 s[26:27], 0, v[3:4]
	v_not_b32_e32 v17, v4
	v_lshlrev_b32_e32 v4, 29, v14
	v_xor_b32_e32 v20, s25, v20
	v_xor_b32_e32 v19, s24, v19
	v_ashrrev_i32_e32 v17, 31, v17
	v_cmp_gt_i64_e64 s[24:25], 0, v[3:4]
	v_not_b32_e32 v23, v4
	v_lshlrev_b32_e32 v4, 28, v14
	v_and_b32_e32 v20, exec_hi, v20
	v_and_b32_e32 v19, exec_lo, v19
	v_xor_b32_e32 v24, s27, v17
	v_xor_b32_e32 v17, s26, v17
	v_ashrrev_i32_e32 v23, 31, v23
	v_cmp_gt_i64_e64 s[26:27], 0, v[3:4]
	v_not_b32_e32 v25, v4
	v_lshlrev_b32_e32 v4, 27, v14
	v_and_b32_e32 v20, v20, v24
	v_and_b32_e32 v17, v19, v17
	v_xor_b32_e32 v19, s25, v23
	v_xor_b32_e32 v23, s24, v23
	v_ashrrev_i32_e32 v24, 31, v25
	v_cmp_gt_i64_e64 s[24:25], 0, v[3:4]
	v_not_b32_e32 v25, v4
	v_lshlrev_b32_e32 v4, 26, v14
	v_and_b32_e32 v19, v20, v19
	v_and_b32_e32 v17, v17, v23
	;; [unrolled: 8-line block ×3, first 2 shown]
	v_xor_b32_e32 v20, s25, v24
	v_xor_b32_e32 v23, s24, v24
	v_ashrrev_i32_e32 v24, 31, v25
	v_cmp_gt_i64_e64 s[24:25], 0, v[3:4]
	v_not_b32_e32 v25, v4
	v_lshlrev_b32_e32 v4, 24, v14
	v_mul_lo_u32 v16, v14, 20
	v_and_b32_e32 v14, v19, v20
	v_and_b32_e32 v17, v17, v23
	v_xor_b32_e32 v19, s27, v24
	v_xor_b32_e32 v20, s26, v24
	v_ashrrev_i32_e32 v23, 31, v25
	v_cmp_gt_i64_e64 s[26:27], 0, v[3:4]
	v_not_b32_e32 v25, v4
	v_and_b32_e32 v17, v17, v20
	v_and_b32_e32 v14, v14, v19
	v_xor_b32_e32 v19, s25, v23
	v_mul_u32_u24_e32 v11, 20, v0
	ds_write2_b32 v11, v3, v3 offset0:4 offset1:5
	ds_write2_b32 v11, v3, v3 offset0:6 offset1:7
	ds_write_b32 v11, v3 offset:32
	s_waitcnt vmcnt(0) lgkmcnt(0)
	s_barrier
	; wave barrier
	v_mad_u64_u32 v[4:5], s[30:31], v5, v12, v[0:1]
	v_xor_b32_e32 v5, s24, v23
	v_and_b32_e32 v17, v17, v5
	v_lshrrev_b32_e32 v24, 6, v4
	v_ashrrev_i32_e32 v4, 31, v25
	v_xor_b32_e32 v5, s27, v4
	v_xor_b32_e32 v4, s26, v4
	v_and_b32_e32 v12, v14, v19
	v_and_b32_e32 v4, v17, v4
	;; [unrolled: 1-line block ×3, first 2 shown]
	v_mbcnt_lo_u32_b32 v12, v4, 0
	v_mbcnt_hi_u32_b32 v12, v5, v12
	v_cmp_ne_u64_e64 s[24:25], 0, v[4:5]
	v_cmp_eq_u32_e64 s[26:27], 0, v12
	v_lshl_add_u32 v14, v24, 2, v16
	s_and_b64 s[26:27], s[24:25], s[26:27]
	s_and_saveexec_b64 s[24:25], s[26:27]
; %bb.26:
	v_bcnt_u32_b32 v4, v4, 0
	v_bcnt_u32_b32 v4, v5, v4
	ds_write_b32 v14, v4 offset:16
; %bb.27:
	s_or_b64 exec, exec, s[24:25]
	v_cmp_gt_i32_e64 s[24:25], 0, v13
	v_cndmask_b32_e64 v4, v15, 0, s[24:25]
	v_xor_b32_e32 v13, v4, v13
	v_cmp_ne_u32_e64 s[24:25], s28, v13
	v_cndmask_b32_e64 v4, v15, v13, s[24:25]
	v_lshrrev_b32_e32 v4, s68, v4
	v_and_b32_e32 v5, s74, v4
	v_mul_lo_u32 v4, v5, 20
	; wave barrier
	v_lshl_add_u32 v16, v24, 2, v4
	v_and_b32_e32 v4, 1, v5
	v_add_co_u32_e64 v17, s[24:25], -1, v4
	v_addc_co_u32_e64 v19, s[24:25], 0, -1, s[24:25]
	v_cmp_ne_u32_e64 s[24:25], 0, v4
	v_xor_b32_e32 v4, s25, v19
	v_and_b32_e32 v19, exec_hi, v4
	v_lshlrev_b32_e32 v4, 30, v5
	v_xor_b32_e32 v17, s24, v17
	v_cmp_gt_i64_e64 s[24:25], 0, v[3:4]
	v_not_b32_e32 v4, v4
	v_ashrrev_i32_e32 v4, 31, v4
	v_and_b32_e32 v17, exec_lo, v17
	v_xor_b32_e32 v20, s25, v4
	v_xor_b32_e32 v4, s24, v4
	v_and_b32_e32 v17, v17, v4
	v_lshlrev_b32_e32 v4, 29, v5
	v_cmp_gt_i64_e64 s[24:25], 0, v[3:4]
	v_not_b32_e32 v4, v4
	v_ashrrev_i32_e32 v4, 31, v4
	v_and_b32_e32 v19, v19, v20
	v_xor_b32_e32 v20, s25, v4
	v_xor_b32_e32 v4, s24, v4
	v_and_b32_e32 v17, v17, v4
	v_lshlrev_b32_e32 v4, 28, v5
	v_cmp_gt_i64_e64 s[24:25], 0, v[3:4]
	v_not_b32_e32 v4, v4
	v_ashrrev_i32_e32 v4, 31, v4
	v_and_b32_e32 v19, v19, v20
	v_xor_b32_e32 v20, s25, v4
	v_xor_b32_e32 v4, s24, v4
	v_and_b32_e32 v17, v17, v4
	v_lshlrev_b32_e32 v4, 27, v5
	v_cmp_gt_i64_e64 s[24:25], 0, v[3:4]
	v_not_b32_e32 v4, v4
	v_ashrrev_i32_e32 v4, 31, v4
	v_and_b32_e32 v19, v19, v20
	v_xor_b32_e32 v20, s25, v4
	v_xor_b32_e32 v4, s24, v4
	v_and_b32_e32 v17, v17, v4
	v_lshlrev_b32_e32 v4, 26, v5
	v_cmp_gt_i64_e64 s[24:25], 0, v[3:4]
	v_not_b32_e32 v4, v4
	v_ashrrev_i32_e32 v4, 31, v4
	v_and_b32_e32 v19, v19, v20
	v_xor_b32_e32 v20, s25, v4
	v_xor_b32_e32 v4, s24, v4
	v_and_b32_e32 v17, v17, v4
	v_lshlrev_b32_e32 v4, 25, v5
	v_cmp_gt_i64_e64 s[24:25], 0, v[3:4]
	v_not_b32_e32 v4, v4
	v_ashrrev_i32_e32 v4, 31, v4
	v_and_b32_e32 v19, v19, v20
	v_xor_b32_e32 v20, s25, v4
	v_xor_b32_e32 v4, s24, v4
	v_and_b32_e32 v17, v17, v4
	v_lshlrev_b32_e32 v4, 24, v5
	v_cmp_gt_i64_e64 s[24:25], 0, v[3:4]
	v_not_b32_e32 v3, v4
	v_ashrrev_i32_e32 v3, 31, v3
	v_xor_b32_e32 v4, s25, v3
	v_xor_b32_e32 v3, s24, v3
	ds_read_b32 v15, v16 offset:16
	v_and_b32_e32 v19, v19, v20
	v_and_b32_e32 v3, v17, v3
	;; [unrolled: 1-line block ×3, first 2 shown]
	v_mbcnt_lo_u32_b32 v5, v3, 0
	v_mbcnt_hi_u32_b32 v17, v4, v5
	v_cmp_ne_u64_e64 s[24:25], 0, v[3:4]
	v_cmp_eq_u32_e64 s[26:27], 0, v17
	s_and_b64 s[26:27], s[24:25], s[26:27]
	; wave barrier
	s_and_saveexec_b64 s[24:25], s[26:27]
	s_cbranch_execz .LBB132_29
; %bb.28:
	v_bcnt_u32_b32 v3, v3, 0
	v_bcnt_u32_b32 v3, v4, v3
	s_waitcnt lgkmcnt(0)
	v_add_u32_e32 v3, v15, v3
	ds_write_b32 v16, v3 offset:16
.LBB132_29:
	s_or_b64 exec, exec, s[24:25]
	v_bfrev_b32_e32 v25, -2
	v_cmp_gt_i32_e64 s[24:25], 0, v18
	v_cndmask_b32_e64 v3, v25, 0, s[24:25]
	v_xor_b32_e32 v18, v3, v18
	v_cmp_ne_u32_e64 s[24:25], s28, v18
	v_cndmask_b32_e64 v3, v25, v18, s[24:25]
	v_lshrrev_b32_e32 v3, s68, v3
	v_and_b32_e32 v5, s74, v3
	v_and_b32_e32 v4, 1, v5
	v_mul_lo_u32 v3, v5, 20
	v_add_co_u32_e64 v23, s[24:25], -1, v4
	v_addc_co_u32_e64 v27, s[24:25], 0, -1, s[24:25]
	v_cmp_ne_u32_e64 s[24:25], 0, v4
	v_xor_b32_e32 v4, s25, v27
	v_lshl_add_u32 v20, v24, 2, v3
	v_mov_b32_e32 v3, 0
	v_and_b32_e32 v27, exec_hi, v4
	v_lshlrev_b32_e32 v4, 30, v5
	v_xor_b32_e32 v23, s24, v23
	v_cmp_gt_i64_e64 s[24:25], 0, v[3:4]
	v_not_b32_e32 v4, v4
	v_ashrrev_i32_e32 v4, 31, v4
	v_and_b32_e32 v23, exec_lo, v23
	v_xor_b32_e32 v28, s25, v4
	v_xor_b32_e32 v4, s24, v4
	v_and_b32_e32 v23, v23, v4
	v_lshlrev_b32_e32 v4, 29, v5
	v_cmp_gt_i64_e64 s[24:25], 0, v[3:4]
	v_not_b32_e32 v4, v4
	v_ashrrev_i32_e32 v4, 31, v4
	v_and_b32_e32 v27, v27, v28
	v_xor_b32_e32 v28, s25, v4
	v_xor_b32_e32 v4, s24, v4
	v_and_b32_e32 v23, v23, v4
	v_lshlrev_b32_e32 v4, 28, v5
	v_cmp_gt_i64_e64 s[24:25], 0, v[3:4]
	v_not_b32_e32 v4, v4
	v_ashrrev_i32_e32 v4, 31, v4
	v_and_b32_e32 v27, v27, v28
	;; [unrolled: 8-line block ×5, first 2 shown]
	v_xor_b32_e32 v28, s25, v4
	v_xor_b32_e32 v4, s24, v4
	v_and_b32_e32 v23, v23, v4
	v_lshlrev_b32_e32 v4, 24, v5
	v_cmp_gt_i64_e64 s[24:25], 0, v[3:4]
	v_not_b32_e32 v4, v4
	v_ashrrev_i32_e32 v4, 31, v4
	v_xor_b32_e32 v5, s25, v4
	v_xor_b32_e32 v4, s24, v4
	; wave barrier
	ds_read_b32 v19, v20 offset:16
	v_and_b32_e32 v27, v27, v28
	v_and_b32_e32 v4, v23, v4
	;; [unrolled: 1-line block ×3, first 2 shown]
	v_mbcnt_lo_u32_b32 v23, v4, 0
	v_mbcnt_hi_u32_b32 v23, v5, v23
	v_cmp_ne_u64_e64 s[24:25], 0, v[4:5]
	v_cmp_eq_u32_e64 s[26:27], 0, v23
	s_and_b64 s[26:27], s[24:25], s[26:27]
	; wave barrier
	s_and_saveexec_b64 s[24:25], s[26:27]
	s_cbranch_execz .LBB132_31
; %bb.30:
	v_bcnt_u32_b32 v4, v4, 0
	v_bcnt_u32_b32 v4, v5, v4
	s_waitcnt lgkmcnt(0)
	v_add_u32_e32 v4, v19, v4
	ds_write_b32 v20, v4 offset:16
.LBB132_31:
	s_or_b64 exec, exec, s[24:25]
	v_cmp_gt_i32_e64 s[24:25], 0, v22
	v_cndmask_b32_e64 v4, v25, 0, s[24:25]
	v_xor_b32_e32 v22, v4, v22
	v_cmp_ne_u32_e64 s[24:25], s28, v22
	v_cndmask_b32_e64 v4, v25, v22, s[24:25]
	v_lshrrev_b32_e32 v4, s68, v4
	v_and_b32_e32 v5, s74, v4
	v_mul_lo_u32 v4, v5, 20
	; wave barrier
	v_lshl_add_u32 v27, v24, 2, v4
	v_and_b32_e32 v4, 1, v5
	v_add_co_u32_e64 v28, s[24:25], -1, v4
	v_addc_co_u32_e64 v32, s[24:25], 0, -1, s[24:25]
	v_cmp_ne_u32_e64 s[24:25], 0, v4
	v_xor_b32_e32 v4, s25, v32
	v_and_b32_e32 v32, exec_hi, v4
	v_lshlrev_b32_e32 v4, 30, v5
	v_xor_b32_e32 v28, s24, v28
	v_cmp_gt_i64_e64 s[24:25], 0, v[3:4]
	v_not_b32_e32 v4, v4
	v_ashrrev_i32_e32 v4, 31, v4
	v_and_b32_e32 v28, exec_lo, v28
	v_xor_b32_e32 v33, s25, v4
	v_xor_b32_e32 v4, s24, v4
	v_and_b32_e32 v28, v28, v4
	v_lshlrev_b32_e32 v4, 29, v5
	v_cmp_gt_i64_e64 s[24:25], 0, v[3:4]
	v_not_b32_e32 v4, v4
	v_ashrrev_i32_e32 v4, 31, v4
	v_and_b32_e32 v32, v32, v33
	v_xor_b32_e32 v33, s25, v4
	v_xor_b32_e32 v4, s24, v4
	v_and_b32_e32 v28, v28, v4
	v_lshlrev_b32_e32 v4, 28, v5
	v_cmp_gt_i64_e64 s[24:25], 0, v[3:4]
	v_not_b32_e32 v4, v4
	v_ashrrev_i32_e32 v4, 31, v4
	v_and_b32_e32 v32, v32, v33
	;; [unrolled: 8-line block ×5, first 2 shown]
	v_xor_b32_e32 v33, s25, v4
	v_xor_b32_e32 v4, s24, v4
	v_and_b32_e32 v28, v28, v4
	v_lshlrev_b32_e32 v4, 24, v5
	v_cmp_gt_i64_e64 s[24:25], 0, v[3:4]
	v_not_b32_e32 v3, v4
	v_ashrrev_i32_e32 v3, 31, v3
	v_xor_b32_e32 v4, s25, v3
	v_xor_b32_e32 v3, s24, v3
	ds_read_b32 v25, v27 offset:16
	v_and_b32_e32 v32, v32, v33
	v_and_b32_e32 v3, v28, v3
	;; [unrolled: 1-line block ×3, first 2 shown]
	v_mbcnt_lo_u32_b32 v5, v3, 0
	v_mbcnt_hi_u32_b32 v28, v4, v5
	v_cmp_ne_u64_e64 s[24:25], 0, v[3:4]
	v_cmp_eq_u32_e64 s[26:27], 0, v28
	s_and_b64 s[26:27], s[24:25], s[26:27]
	; wave barrier
	s_and_saveexec_b64 s[24:25], s[26:27]
	s_cbranch_execz .LBB132_33
; %bb.32:
	v_bcnt_u32_b32 v3, v3, 0
	v_bcnt_u32_b32 v3, v4, v3
	s_waitcnt lgkmcnt(0)
	v_add_u32_e32 v3, v25, v3
	ds_write_b32 v27, v3 offset:16
.LBB132_33:
	s_or_b64 exec, exec, s[24:25]
	v_bfrev_b32_e32 v37, -2
	v_cmp_gt_i32_e64 s[24:25], 0, v31
	v_cndmask_b32_e64 v3, v37, 0, s[24:25]
	v_xor_b32_e32 v31, v3, v31
	v_cmp_ne_u32_e64 s[24:25], s28, v31
	v_cndmask_b32_e64 v3, v37, v31, s[24:25]
	v_lshrrev_b32_e32 v3, s68, v3
	v_and_b32_e32 v5, s74, v3
	v_and_b32_e32 v4, 1, v5
	v_mul_lo_u32 v3, v5, 20
	v_add_co_u32_e64 v34, s[24:25], -1, v4
	v_addc_co_u32_e64 v38, s[24:25], 0, -1, s[24:25]
	v_cmp_ne_u32_e64 s[24:25], 0, v4
	v_xor_b32_e32 v4, s25, v38
	v_lshl_add_u32 v33, v24, 2, v3
	v_mov_b32_e32 v3, 0
	v_and_b32_e32 v38, exec_hi, v4
	v_lshlrev_b32_e32 v4, 30, v5
	v_xor_b32_e32 v34, s24, v34
	v_cmp_gt_i64_e64 s[24:25], 0, v[3:4]
	v_not_b32_e32 v4, v4
	v_ashrrev_i32_e32 v4, 31, v4
	v_and_b32_e32 v34, exec_lo, v34
	v_xor_b32_e32 v40, s25, v4
	v_xor_b32_e32 v4, s24, v4
	v_and_b32_e32 v34, v34, v4
	v_lshlrev_b32_e32 v4, 29, v5
	v_cmp_gt_i64_e64 s[24:25], 0, v[3:4]
	v_not_b32_e32 v4, v4
	v_ashrrev_i32_e32 v4, 31, v4
	v_and_b32_e32 v38, v38, v40
	v_xor_b32_e32 v40, s25, v4
	v_xor_b32_e32 v4, s24, v4
	v_and_b32_e32 v34, v34, v4
	v_lshlrev_b32_e32 v4, 28, v5
	v_cmp_gt_i64_e64 s[24:25], 0, v[3:4]
	v_not_b32_e32 v4, v4
	v_ashrrev_i32_e32 v4, 31, v4
	v_and_b32_e32 v38, v38, v40
	;; [unrolled: 8-line block ×5, first 2 shown]
	v_xor_b32_e32 v40, s25, v4
	v_xor_b32_e32 v4, s24, v4
	v_and_b32_e32 v34, v34, v4
	v_lshlrev_b32_e32 v4, 24, v5
	v_cmp_gt_i64_e64 s[24:25], 0, v[3:4]
	v_not_b32_e32 v4, v4
	v_ashrrev_i32_e32 v4, 31, v4
	v_xor_b32_e32 v5, s25, v4
	v_xor_b32_e32 v4, s24, v4
	; wave barrier
	ds_read_b32 v32, v33 offset:16
	v_and_b32_e32 v38, v38, v40
	v_and_b32_e32 v4, v34, v4
	;; [unrolled: 1-line block ×3, first 2 shown]
	v_mbcnt_lo_u32_b32 v34, v4, 0
	v_mbcnt_hi_u32_b32 v34, v5, v34
	v_cmp_ne_u64_e64 s[24:25], 0, v[4:5]
	v_cmp_eq_u32_e64 s[26:27], 0, v34
	s_and_b64 s[26:27], s[24:25], s[26:27]
	; wave barrier
	s_and_saveexec_b64 s[24:25], s[26:27]
	s_cbranch_execz .LBB132_35
; %bb.34:
	v_bcnt_u32_b32 v4, v4, 0
	v_bcnt_u32_b32 v4, v5, v4
	s_waitcnt lgkmcnt(0)
	v_add_u32_e32 v4, v32, v4
	ds_write_b32 v33, v4 offset:16
.LBB132_35:
	s_or_b64 exec, exec, s[24:25]
	v_cmp_gt_i32_e64 s[24:25], 0, v36
	v_cndmask_b32_e64 v4, v37, 0, s[24:25]
	v_xor_b32_e32 v45, v4, v36
	v_cmp_ne_u32_e64 s[24:25], s28, v45
	v_cndmask_b32_e64 v4, v37, v45, s[24:25]
	v_lshrrev_b32_e32 v4, s68, v4
	v_and_b32_e32 v5, s74, v4
	v_mul_lo_u32 v4, v5, 20
	; wave barrier
	v_lshl_add_u32 v37, v24, 2, v4
	v_and_b32_e32 v4, 1, v5
	v_add_co_u32_e64 v38, s[24:25], -1, v4
	v_addc_co_u32_e64 v40, s[24:25], 0, -1, s[24:25]
	v_cmp_ne_u32_e64 s[24:25], 0, v4
	v_xor_b32_e32 v4, s25, v40
	v_and_b32_e32 v40, exec_hi, v4
	v_lshlrev_b32_e32 v4, 30, v5
	v_xor_b32_e32 v38, s24, v38
	v_cmp_gt_i64_e64 s[24:25], 0, v[3:4]
	v_not_b32_e32 v4, v4
	v_ashrrev_i32_e32 v4, 31, v4
	v_and_b32_e32 v38, exec_lo, v38
	v_xor_b32_e32 v41, s25, v4
	v_xor_b32_e32 v4, s24, v4
	v_and_b32_e32 v38, v38, v4
	v_lshlrev_b32_e32 v4, 29, v5
	v_cmp_gt_i64_e64 s[24:25], 0, v[3:4]
	v_not_b32_e32 v4, v4
	v_ashrrev_i32_e32 v4, 31, v4
	v_and_b32_e32 v40, v40, v41
	v_xor_b32_e32 v41, s25, v4
	v_xor_b32_e32 v4, s24, v4
	v_and_b32_e32 v38, v38, v4
	v_lshlrev_b32_e32 v4, 28, v5
	v_cmp_gt_i64_e64 s[24:25], 0, v[3:4]
	v_not_b32_e32 v4, v4
	v_ashrrev_i32_e32 v4, 31, v4
	v_and_b32_e32 v40, v40, v41
	;; [unrolled: 8-line block ×5, first 2 shown]
	v_xor_b32_e32 v41, s25, v4
	v_xor_b32_e32 v4, s24, v4
	v_and_b32_e32 v38, v38, v4
	v_lshlrev_b32_e32 v4, 24, v5
	v_cmp_gt_i64_e64 s[24:25], 0, v[3:4]
	v_not_b32_e32 v3, v4
	v_ashrrev_i32_e32 v3, 31, v3
	v_xor_b32_e32 v4, s25, v3
	v_xor_b32_e32 v3, s24, v3
	ds_read_b32 v36, v37 offset:16
	v_and_b32_e32 v40, v40, v41
	v_and_b32_e32 v3, v38, v3
	;; [unrolled: 1-line block ×3, first 2 shown]
	v_mbcnt_lo_u32_b32 v5, v3, 0
	v_mbcnt_hi_u32_b32 v38, v4, v5
	v_cmp_ne_u64_e64 s[24:25], 0, v[3:4]
	v_cmp_eq_u32_e64 s[26:27], 0, v38
	s_and_b64 s[26:27], s[24:25], s[26:27]
	; wave barrier
	s_and_saveexec_b64 s[24:25], s[26:27]
	s_cbranch_execz .LBB132_37
; %bb.36:
	v_bcnt_u32_b32 v3, v3, 0
	v_bcnt_u32_b32 v3, v4, v3
	s_waitcnt lgkmcnt(0)
	v_add_u32_e32 v3, v36, v3
	ds_write_b32 v37, v3 offset:16
.LBB132_37:
	s_or_b64 exec, exec, s[24:25]
	v_bfrev_b32_e32 v40, -2
	v_cmp_gt_i32_e64 s[24:25], 0, v39
	v_cndmask_b32_e64 v3, v40, 0, s[24:25]
	v_xor_b32_e32 v46, v3, v39
	v_cmp_ne_u32_e64 s[24:25], s28, v46
	v_cndmask_b32_e64 v3, v40, v46, s[24:25]
	v_lshrrev_b32_e32 v3, s68, v3
	v_and_b32_e32 v5, s74, v3
	v_and_b32_e32 v4, 1, v5
	v_mul_lo_u32 v3, v5, 20
	v_add_co_u32_e64 v41, s[24:25], -1, v4
	v_addc_co_u32_e64 v42, s[24:25], 0, -1, s[24:25]
	v_cmp_ne_u32_e64 s[24:25], 0, v4
	v_xor_b32_e32 v4, s25, v42
	v_lshl_add_u32 v39, v24, 2, v3
	v_mov_b32_e32 v3, 0
	v_and_b32_e32 v42, exec_hi, v4
	v_lshlrev_b32_e32 v4, 30, v5
	v_xor_b32_e32 v41, s24, v41
	v_cmp_gt_i64_e64 s[24:25], 0, v[3:4]
	v_not_b32_e32 v4, v4
	v_ashrrev_i32_e32 v4, 31, v4
	v_and_b32_e32 v41, exec_lo, v41
	v_xor_b32_e32 v43, s25, v4
	v_xor_b32_e32 v4, s24, v4
	v_and_b32_e32 v41, v41, v4
	v_lshlrev_b32_e32 v4, 29, v5
	v_cmp_gt_i64_e64 s[24:25], 0, v[3:4]
	v_not_b32_e32 v4, v4
	v_ashrrev_i32_e32 v4, 31, v4
	v_and_b32_e32 v42, v42, v43
	v_xor_b32_e32 v43, s25, v4
	v_xor_b32_e32 v4, s24, v4
	v_and_b32_e32 v41, v41, v4
	v_lshlrev_b32_e32 v4, 28, v5
	v_cmp_gt_i64_e64 s[24:25], 0, v[3:4]
	v_not_b32_e32 v4, v4
	v_ashrrev_i32_e32 v4, 31, v4
	v_and_b32_e32 v42, v42, v43
	;; [unrolled: 8-line block ×5, first 2 shown]
	v_xor_b32_e32 v43, s25, v4
	v_xor_b32_e32 v4, s24, v4
	v_and_b32_e32 v41, v41, v4
	v_lshlrev_b32_e32 v4, 24, v5
	v_cmp_gt_i64_e64 s[24:25], 0, v[3:4]
	v_not_b32_e32 v4, v4
	v_ashrrev_i32_e32 v4, 31, v4
	v_xor_b32_e32 v5, s25, v4
	v_xor_b32_e32 v4, s24, v4
	; wave barrier
	ds_read_b32 v47, v39 offset:16
	v_and_b32_e32 v42, v42, v43
	v_and_b32_e32 v4, v41, v4
	;; [unrolled: 1-line block ×3, first 2 shown]
	v_mbcnt_lo_u32_b32 v41, v4, 0
	v_mbcnt_hi_u32_b32 v49, v5, v41
	v_cmp_ne_u64_e64 s[24:25], 0, v[4:5]
	v_cmp_eq_u32_e64 s[26:27], 0, v49
	s_and_b64 s[26:27], s[24:25], s[26:27]
	; wave barrier
	s_and_saveexec_b64 s[24:25], s[26:27]
	s_cbranch_execz .LBB132_39
; %bb.38:
	v_bcnt_u32_b32 v4, v4, 0
	v_bcnt_u32_b32 v4, v5, v4
	s_waitcnt lgkmcnt(0)
	v_add_u32_e32 v4, v47, v4
	ds_write_b32 v39, v4 offset:16
.LBB132_39:
	s_or_b64 exec, exec, s[24:25]
	v_cmp_gt_i32_e64 s[24:25], 0, v35
	v_cndmask_b32_e64 v4, v40, 0, s[24:25]
	v_xor_b32_e32 v48, v4, v35
	v_cmp_ne_u32_e64 s[24:25], s28, v48
	v_cndmask_b32_e64 v4, v40, v48, s[24:25]
	v_lshrrev_b32_e32 v4, s68, v4
	v_and_b32_e32 v5, s74, v4
	v_mul_lo_u32 v4, v5, 20
	; wave barrier
	v_lshl_add_u32 v40, v24, 2, v4
	v_and_b32_e32 v4, 1, v5
	v_add_co_u32_e64 v41, s[24:25], -1, v4
	v_addc_co_u32_e64 v42, s[24:25], 0, -1, s[24:25]
	v_cmp_ne_u32_e64 s[24:25], 0, v4
	v_xor_b32_e32 v4, s25, v42
	v_and_b32_e32 v42, exec_hi, v4
	v_lshlrev_b32_e32 v4, 30, v5
	v_xor_b32_e32 v41, s24, v41
	v_cmp_gt_i64_e64 s[24:25], 0, v[3:4]
	v_not_b32_e32 v4, v4
	v_ashrrev_i32_e32 v4, 31, v4
	v_and_b32_e32 v41, exec_lo, v41
	v_xor_b32_e32 v43, s25, v4
	v_xor_b32_e32 v4, s24, v4
	v_and_b32_e32 v41, v41, v4
	v_lshlrev_b32_e32 v4, 29, v5
	v_cmp_gt_i64_e64 s[24:25], 0, v[3:4]
	v_not_b32_e32 v4, v4
	v_ashrrev_i32_e32 v4, 31, v4
	v_and_b32_e32 v42, v42, v43
	v_xor_b32_e32 v43, s25, v4
	v_xor_b32_e32 v4, s24, v4
	v_and_b32_e32 v41, v41, v4
	v_lshlrev_b32_e32 v4, 28, v5
	v_cmp_gt_i64_e64 s[24:25], 0, v[3:4]
	v_not_b32_e32 v4, v4
	v_ashrrev_i32_e32 v4, 31, v4
	v_and_b32_e32 v42, v42, v43
	;; [unrolled: 8-line block ×5, first 2 shown]
	v_xor_b32_e32 v43, s25, v4
	v_xor_b32_e32 v4, s24, v4
	v_and_b32_e32 v41, v41, v4
	v_lshlrev_b32_e32 v4, 24, v5
	v_cmp_gt_i64_e64 s[24:25], 0, v[3:4]
	v_not_b32_e32 v3, v4
	v_ashrrev_i32_e32 v3, 31, v3
	v_xor_b32_e32 v4, s25, v3
	v_xor_b32_e32 v3, s24, v3
	ds_read_b32 v35, v40 offset:16
	v_and_b32_e32 v42, v42, v43
	v_and_b32_e32 v3, v41, v3
	;; [unrolled: 1-line block ×3, first 2 shown]
	v_mbcnt_lo_u32_b32 v5, v3, 0
	v_mbcnt_hi_u32_b32 v51, v4, v5
	v_cmp_ne_u64_e64 s[24:25], 0, v[3:4]
	v_cmp_eq_u32_e64 s[26:27], 0, v51
	s_and_b64 s[26:27], s[24:25], s[26:27]
	; wave barrier
	s_and_saveexec_b64 s[24:25], s[26:27]
	s_cbranch_execz .LBB132_41
; %bb.40:
	v_bcnt_u32_b32 v3, v3, 0
	v_bcnt_u32_b32 v3, v4, v3
	s_waitcnt lgkmcnt(0)
	v_add_u32_e32 v3, v35, v3
	ds_write_b32 v40, v3 offset:16
.LBB132_41:
	s_or_b64 exec, exec, s[24:25]
	v_bfrev_b32_e32 v41, -2
	v_cmp_gt_i32_e64 s[24:25], 0, v30
	v_cndmask_b32_e64 v3, v41, 0, s[24:25]
	v_xor_b32_e32 v50, v3, v30
	v_cmp_ne_u32_e64 s[24:25], s28, v50
	v_cndmask_b32_e64 v3, v41, v50, s[24:25]
	v_lshrrev_b32_e32 v3, s68, v3
	v_and_b32_e32 v5, s74, v3
	v_and_b32_e32 v4, 1, v5
	v_mul_lo_u32 v3, v5, 20
	v_add_co_u32_e64 v42, s[24:25], -1, v4
	v_addc_co_u32_e64 v43, s[24:25], 0, -1, s[24:25]
	v_cmp_ne_u32_e64 s[24:25], 0, v4
	v_xor_b32_e32 v4, s25, v43
	v_lshl_add_u32 v30, v24, 2, v3
	v_mov_b32_e32 v3, 0
	v_and_b32_e32 v43, exec_hi, v4
	v_lshlrev_b32_e32 v4, 30, v5
	v_xor_b32_e32 v42, s24, v42
	v_cmp_gt_i64_e64 s[24:25], 0, v[3:4]
	v_not_b32_e32 v4, v4
	v_ashrrev_i32_e32 v4, 31, v4
	v_and_b32_e32 v42, exec_lo, v42
	v_xor_b32_e32 v44, s25, v4
	v_xor_b32_e32 v4, s24, v4
	v_and_b32_e32 v42, v42, v4
	v_lshlrev_b32_e32 v4, 29, v5
	v_cmp_gt_i64_e64 s[24:25], 0, v[3:4]
	v_not_b32_e32 v4, v4
	v_ashrrev_i32_e32 v4, 31, v4
	v_and_b32_e32 v43, v43, v44
	v_xor_b32_e32 v44, s25, v4
	v_xor_b32_e32 v4, s24, v4
	v_and_b32_e32 v42, v42, v4
	v_lshlrev_b32_e32 v4, 28, v5
	v_cmp_gt_i64_e64 s[24:25], 0, v[3:4]
	v_not_b32_e32 v4, v4
	v_ashrrev_i32_e32 v4, 31, v4
	v_and_b32_e32 v43, v43, v44
	;; [unrolled: 8-line block ×5, first 2 shown]
	v_xor_b32_e32 v44, s25, v4
	v_xor_b32_e32 v4, s24, v4
	v_and_b32_e32 v42, v42, v4
	v_lshlrev_b32_e32 v4, 24, v5
	v_cmp_gt_i64_e64 s[24:25], 0, v[3:4]
	v_not_b32_e32 v4, v4
	v_ashrrev_i32_e32 v4, 31, v4
	v_xor_b32_e32 v5, s25, v4
	v_xor_b32_e32 v4, s24, v4
	; wave barrier
	ds_read_b32 v52, v30 offset:16
	v_and_b32_e32 v43, v43, v44
	v_and_b32_e32 v4, v42, v4
	;; [unrolled: 1-line block ×3, first 2 shown]
	v_mbcnt_lo_u32_b32 v42, v4, 0
	v_mbcnt_hi_u32_b32 v53, v5, v42
	v_cmp_ne_u64_e64 s[24:25], 0, v[4:5]
	v_cmp_eq_u32_e64 s[26:27], 0, v53
	s_and_b64 s[26:27], s[24:25], s[26:27]
	; wave barrier
	s_and_saveexec_b64 s[24:25], s[26:27]
	s_cbranch_execz .LBB132_43
; %bb.42:
	v_bcnt_u32_b32 v4, v4, 0
	v_bcnt_u32_b32 v4, v5, v4
	s_waitcnt lgkmcnt(0)
	v_add_u32_e32 v4, v52, v4
	ds_write_b32 v30, v4 offset:16
.LBB132_43:
	s_or_b64 exec, exec, s[24:25]
	v_cmp_gt_i32_e64 s[24:25], 0, v26
	v_cndmask_b32_e64 v4, v41, 0, s[24:25]
	v_xor_b32_e32 v26, v4, v26
	v_cmp_ne_u32_e64 s[24:25], s28, v26
	v_cndmask_b32_e64 v4, v41, v26, s[24:25]
	v_lshrrev_b32_e32 v4, s68, v4
	v_and_b32_e32 v5, s74, v4
	v_mul_lo_u32 v4, v5, 20
	; wave barrier
	v_lshl_add_u32 v41, v24, 2, v4
	v_and_b32_e32 v4, 1, v5
	v_add_co_u32_e64 v42, s[24:25], -1, v4
	v_addc_co_u32_e64 v43, s[24:25], 0, -1, s[24:25]
	v_cmp_ne_u32_e64 s[24:25], 0, v4
	v_xor_b32_e32 v4, s25, v43
	v_and_b32_e32 v43, exec_hi, v4
	v_lshlrev_b32_e32 v4, 30, v5
	v_xor_b32_e32 v42, s24, v42
	v_cmp_gt_i64_e64 s[24:25], 0, v[3:4]
	v_not_b32_e32 v4, v4
	v_ashrrev_i32_e32 v4, 31, v4
	v_and_b32_e32 v42, exec_lo, v42
	v_xor_b32_e32 v44, s25, v4
	v_xor_b32_e32 v4, s24, v4
	v_and_b32_e32 v42, v42, v4
	v_lshlrev_b32_e32 v4, 29, v5
	v_cmp_gt_i64_e64 s[24:25], 0, v[3:4]
	v_not_b32_e32 v4, v4
	v_ashrrev_i32_e32 v4, 31, v4
	v_and_b32_e32 v43, v43, v44
	v_xor_b32_e32 v44, s25, v4
	v_xor_b32_e32 v4, s24, v4
	v_and_b32_e32 v42, v42, v4
	v_lshlrev_b32_e32 v4, 28, v5
	v_cmp_gt_i64_e64 s[24:25], 0, v[3:4]
	v_not_b32_e32 v4, v4
	v_ashrrev_i32_e32 v4, 31, v4
	v_and_b32_e32 v43, v43, v44
	;; [unrolled: 8-line block ×5, first 2 shown]
	v_xor_b32_e32 v44, s25, v4
	v_xor_b32_e32 v4, s24, v4
	v_and_b32_e32 v42, v42, v4
	v_lshlrev_b32_e32 v4, 24, v5
	v_cmp_gt_i64_e64 s[24:25], 0, v[3:4]
	v_not_b32_e32 v3, v4
	v_ashrrev_i32_e32 v3, 31, v3
	v_xor_b32_e32 v4, s25, v3
	v_xor_b32_e32 v3, s24, v3
	ds_read_b32 v54, v41 offset:16
	v_and_b32_e32 v43, v43, v44
	v_and_b32_e32 v3, v42, v3
	;; [unrolled: 1-line block ×3, first 2 shown]
	v_mbcnt_lo_u32_b32 v5, v3, 0
	v_mbcnt_hi_u32_b32 v55, v4, v5
	v_cmp_ne_u64_e64 s[24:25], 0, v[3:4]
	v_cmp_eq_u32_e64 s[26:27], 0, v55
	s_and_b64 s[26:27], s[24:25], s[26:27]
	; wave barrier
	s_and_saveexec_b64 s[24:25], s[26:27]
	s_cbranch_execz .LBB132_45
; %bb.44:
	v_bcnt_u32_b32 v3, v3, 0
	v_bcnt_u32_b32 v3, v4, v3
	s_waitcnt lgkmcnt(0)
	v_add_u32_e32 v3, v54, v3
	ds_write_b32 v41, v3 offset:16
.LBB132_45:
	s_or_b64 exec, exec, s[24:25]
	v_bfrev_b32_e32 v43, -2
	v_cmp_gt_i32_e64 s[24:25], 0, v21
	v_cndmask_b32_e64 v3, v43, 0, s[24:25]
	v_xor_b32_e32 v21, v3, v21
	v_cmp_ne_u32_e64 s[24:25], s28, v21
	v_cndmask_b32_e64 v3, v43, v21, s[24:25]
	v_lshrrev_b32_e32 v3, s68, v3
	v_and_b32_e32 v5, s74, v3
	v_and_b32_e32 v4, 1, v5
	v_mul_lo_u32 v3, v5, 20
	v_add_co_u32_e64 v44, s[24:25], -1, v4
	v_addc_co_u32_e64 v57, s[24:25], 0, -1, s[24:25]
	v_cmp_ne_u32_e64 s[24:25], 0, v4
	v_xor_b32_e32 v4, s25, v57
	v_lshl_add_u32 v42, v24, 2, v3
	v_mov_b32_e32 v3, 0
	v_and_b32_e32 v57, exec_hi, v4
	v_lshlrev_b32_e32 v4, 30, v5
	v_xor_b32_e32 v44, s24, v44
	v_cmp_gt_i64_e64 s[24:25], 0, v[3:4]
	v_not_b32_e32 v4, v4
	v_ashrrev_i32_e32 v4, 31, v4
	v_and_b32_e32 v44, exec_lo, v44
	v_xor_b32_e32 v58, s25, v4
	v_xor_b32_e32 v4, s24, v4
	v_and_b32_e32 v44, v44, v4
	v_lshlrev_b32_e32 v4, 29, v5
	v_cmp_gt_i64_e64 s[24:25], 0, v[3:4]
	v_not_b32_e32 v4, v4
	v_ashrrev_i32_e32 v4, 31, v4
	v_and_b32_e32 v57, v57, v58
	v_xor_b32_e32 v58, s25, v4
	v_xor_b32_e32 v4, s24, v4
	v_and_b32_e32 v44, v44, v4
	v_lshlrev_b32_e32 v4, 28, v5
	v_cmp_gt_i64_e64 s[24:25], 0, v[3:4]
	v_not_b32_e32 v4, v4
	v_ashrrev_i32_e32 v4, 31, v4
	v_and_b32_e32 v57, v57, v58
	;; [unrolled: 8-line block ×5, first 2 shown]
	v_xor_b32_e32 v58, s25, v4
	v_xor_b32_e32 v4, s24, v4
	v_and_b32_e32 v44, v44, v4
	v_lshlrev_b32_e32 v4, 24, v5
	v_cmp_gt_i64_e64 s[24:25], 0, v[3:4]
	v_not_b32_e32 v4, v4
	v_ashrrev_i32_e32 v4, 31, v4
	v_xor_b32_e32 v5, s25, v4
	v_xor_b32_e32 v4, s24, v4
	; wave barrier
	ds_read_b32 v56, v42 offset:16
	v_and_b32_e32 v57, v57, v58
	v_and_b32_e32 v4, v44, v4
	;; [unrolled: 1-line block ×3, first 2 shown]
	v_mbcnt_lo_u32_b32 v44, v4, 0
	v_mbcnt_hi_u32_b32 v58, v5, v44
	v_cmp_ne_u64_e64 s[24:25], 0, v[4:5]
	v_cmp_eq_u32_e64 s[26:27], 0, v58
	s_and_b64 s[26:27], s[24:25], s[26:27]
	; wave barrier
	s_and_saveexec_b64 s[24:25], s[26:27]
	s_cbranch_execz .LBB132_47
; %bb.46:
	v_bcnt_u32_b32 v4, v4, 0
	v_bcnt_u32_b32 v4, v5, v4
	s_waitcnt lgkmcnt(0)
	v_add_u32_e32 v4, v56, v4
	ds_write_b32 v42, v4 offset:16
.LBB132_47:
	s_or_b64 exec, exec, s[24:25]
	v_cmp_gt_i32_e64 s[24:25], 0, v6
	v_cndmask_b32_e64 v4, v43, 0, s[24:25]
	v_xor_b32_e32 v57, v4, v6
	v_cmp_ne_u32_e64 s[24:25], s28, v57
	v_cndmask_b32_e64 v4, v43, v57, s[24:25]
	v_lshrrev_b32_e32 v4, s68, v4
	v_and_b32_e32 v5, s74, v4
	v_mul_lo_u32 v4, v5, 20
	; wave barrier
	v_lshl_add_u32 v43, v24, 2, v4
	v_and_b32_e32 v4, 1, v5
	v_add_co_u32_e64 v6, s[24:25], -1, v4
	v_addc_co_u32_e64 v44, s[24:25], 0, -1, s[24:25]
	v_cmp_ne_u32_e64 s[24:25], 0, v4
	v_xor_b32_e32 v4, s25, v44
	v_and_b32_e32 v44, exec_hi, v4
	v_lshlrev_b32_e32 v4, 30, v5
	v_xor_b32_e32 v6, s24, v6
	v_cmp_gt_i64_e64 s[24:25], 0, v[3:4]
	v_not_b32_e32 v4, v4
	v_ashrrev_i32_e32 v4, 31, v4
	v_and_b32_e32 v6, exec_lo, v6
	v_xor_b32_e32 v59, s25, v4
	v_xor_b32_e32 v4, s24, v4
	v_and_b32_e32 v6, v6, v4
	v_lshlrev_b32_e32 v4, 29, v5
	v_cmp_gt_i64_e64 s[24:25], 0, v[3:4]
	v_not_b32_e32 v4, v4
	v_ashrrev_i32_e32 v4, 31, v4
	v_and_b32_e32 v44, v44, v59
	v_xor_b32_e32 v59, s25, v4
	v_xor_b32_e32 v4, s24, v4
	v_and_b32_e32 v6, v6, v4
	v_lshlrev_b32_e32 v4, 28, v5
	v_cmp_gt_i64_e64 s[24:25], 0, v[3:4]
	v_not_b32_e32 v4, v4
	v_ashrrev_i32_e32 v4, 31, v4
	v_and_b32_e32 v44, v44, v59
	;; [unrolled: 8-line block ×5, first 2 shown]
	v_xor_b32_e32 v59, s25, v4
	v_xor_b32_e32 v4, s24, v4
	v_and_b32_e32 v6, v6, v4
	v_lshlrev_b32_e32 v4, 24, v5
	v_cmp_gt_i64_e64 s[24:25], 0, v[3:4]
	v_not_b32_e32 v3, v4
	v_ashrrev_i32_e32 v3, 31, v3
	v_xor_b32_e32 v4, s25, v3
	v_xor_b32_e32 v3, s24, v3
	ds_read_b32 v24, v43 offset:16
	v_and_b32_e32 v44, v44, v59
	v_and_b32_e32 v3, v6, v3
	;; [unrolled: 1-line block ×3, first 2 shown]
	v_mbcnt_lo_u32_b32 v5, v3, 0
	v_mbcnt_hi_u32_b32 v59, v4, v5
	v_cmp_ne_u64_e64 s[24:25], 0, v[3:4]
	v_cmp_eq_u32_e64 s[26:27], 0, v59
	s_and_b64 s[26:27], s[24:25], s[26:27]
	; wave barrier
	s_and_saveexec_b64 s[24:25], s[26:27]
	s_cbranch_execz .LBB132_49
; %bb.48:
	v_bcnt_u32_b32 v3, v3, 0
	v_bcnt_u32_b32 v3, v4, v3
	s_waitcnt lgkmcnt(0)
	v_add_u32_e32 v3, v24, v3
	ds_write_b32 v43, v3 offset:16
.LBB132_49:
	s_or_b64 exec, exec, s[24:25]
	; wave barrier
	s_waitcnt lgkmcnt(0)
	s_barrier
	ds_read2_b32 v[5:6], v11 offset0:4 offset1:5
	ds_read2_b32 v[3:4], v11 offset0:6 offset1:7
	ds_read_b32 v44, v11 offset:32
	v_min_u32_e32 v7, 0xc0, v7
	v_or_b32_e32 v7, 63, v7
	s_waitcnt lgkmcnt(1)
	v_add3_u32 v60, v6, v5, v3
	s_waitcnt lgkmcnt(0)
	v_add3_u32 v44, v60, v4, v44
	v_and_b32_e32 v60, 15, v10
	v_cmp_ne_u32_e64 s[24:25], 0, v60
	v_mov_b32_dpp v61, v44 row_shr:1 row_mask:0xf bank_mask:0xf
	v_cndmask_b32_e64 v61, 0, v61, s[24:25]
	v_add_u32_e32 v44, v61, v44
	v_cmp_lt_u32_e64 s[24:25], 1, v60
	s_nop 0
	v_mov_b32_dpp v61, v44 row_shr:2 row_mask:0xf bank_mask:0xf
	v_cndmask_b32_e64 v61, 0, v61, s[24:25]
	v_add_u32_e32 v44, v44, v61
	v_cmp_lt_u32_e64 s[24:25], 3, v60
	s_nop 0
	;; [unrolled: 5-line block ×3, first 2 shown]
	v_mov_b32_dpp v61, v44 row_shr:8 row_mask:0xf bank_mask:0xf
	v_cndmask_b32_e64 v60, 0, v61, s[24:25]
	v_add_u32_e32 v44, v44, v60
	v_bfe_i32 v61, v10, 4, 1
	v_cmp_lt_u32_e64 s[24:25], 31, v10
	v_mov_b32_dpp v60, v44 row_bcast:15 row_mask:0xf bank_mask:0xf
	v_and_b32_e32 v60, v61, v60
	v_add_u32_e32 v44, v44, v60
	s_nop 1
	v_mov_b32_dpp v60, v44 row_bcast:31 row_mask:0xf bank_mask:0xf
	v_cndmask_b32_e64 v60, 0, v60, s[24:25]
	v_add_u32_e32 v44, v44, v60
	v_lshrrev_b32_e32 v60, 6, v0
	v_cmp_eq_u32_e64 s[24:25], v0, v7
	s_and_saveexec_b64 s[26:27], s[24:25]
; %bb.50:
	v_lshlrev_b32_e32 v7, 2, v60
	ds_write_b32 v7, v44
; %bb.51:
	s_or_b64 exec, exec, s[26:27]
	v_cmp_gt_u32_e64 s[24:25], 4, v0
	s_waitcnt lgkmcnt(0)
	s_barrier
	s_and_saveexec_b64 s[26:27], s[24:25]
	s_cbranch_execz .LBB132_53
; %bb.52:
	v_lshlrev_b32_e32 v7, 2, v0
	ds_read_b32 v61, v7
	v_and_b32_e32 v62, 3, v10
	v_cmp_ne_u32_e64 s[24:25], 0, v62
	s_waitcnt lgkmcnt(0)
	v_mov_b32_dpp v63, v61 row_shr:1 row_mask:0xf bank_mask:0xf
	v_cndmask_b32_e64 v63, 0, v63, s[24:25]
	v_add_u32_e32 v61, v63, v61
	v_cmp_lt_u32_e64 s[24:25], 1, v62
	s_nop 0
	v_mov_b32_dpp v63, v61 row_shr:2 row_mask:0xf bank_mask:0xf
	v_cndmask_b32_e64 v62, 0, v63, s[24:25]
	v_add_u32_e32 v61, v61, v62
	ds_write_b32 v7, v61
.LBB132_53:
	s_or_b64 exec, exec, s[26:27]
	v_cmp_lt_u32_e64 s[24:25], 63, v0
	v_mov_b32_e32 v7, 0
	s_waitcnt lgkmcnt(0)
	s_barrier
	s_and_saveexec_b64 s[26:27], s[24:25]
; %bb.54:
	v_lshl_add_u32 v7, v60, 2, -4
	ds_read_b32 v7, v7
; %bb.55:
	s_or_b64 exec, exec, s[26:27]
	v_add_u32_e32 v60, -1, v10
	v_and_b32_e32 v61, 64, v10
	v_cmp_lt_i32_e64 s[24:25], v60, v61
	v_cndmask_b32_e64 v60, v60, v10, s[24:25]
	s_waitcnt lgkmcnt(0)
	v_add_u32_e32 v44, v7, v44
	v_lshlrev_b32_e32 v60, 2, v60
	ds_bpermute_b32 v44, v60, v44
	v_cmp_eq_u32_e64 s[24:25], 0, v10
	s_waitcnt lgkmcnt(0)
	v_cndmask_b32_e64 v7, v44, v7, s[24:25]
	v_cmp_ne_u32_e64 s[24:25], 0, v0
	v_cndmask_b32_e64 v7, 0, v7, s[24:25]
	v_add_u32_e32 v5, v7, v5
	v_add_u32_e32 v6, v5, v6
	v_add_u32_e32 v3, v6, v3
	v_add_u32_e32 v4, v3, v4
	ds_write2_b32 v11, v7, v5 offset0:4 offset1:5
	ds_write2_b32 v11, v6, v3 offset0:6 offset1:7
	ds_write_b32 v11, v4 offset:32
	s_waitcnt lgkmcnt(0)
	s_barrier
	ds_read_b32 v4, v40 offset:16
	ds_read_b32 v5, v30 offset:16
	;; [unrolled: 1-line block ×13, first 2 shown]
	v_add_u32_e32 v11, 1, v0
	s_movk_i32 s24, 0x100
	v_cmp_ne_u32_e64 s[24:25], s24, v11
	v_mov_b32_e32 v3, 0xc00
	s_and_saveexec_b64 s[26:27], s[24:25]
; %bb.56:
	v_mul_u32_u24_e32 v3, 20, v11
	ds_read_b32 v3, v3 offset:16
; %bb.57:
	s_or_b64 exec, exec, s[26:27]
	s_waitcnt lgkmcnt(7)
	v_add_u32_e32 v44, v14, v12
	s_waitcnt lgkmcnt(6)
	v_add3_u32 v43, v17, v15, v16
	s_waitcnt lgkmcnt(2)
	v_add3_u32 v39, v38, v36, v37
	v_add3_u32 v37, v51, v35, v4
	v_lshlrev_b32_e32 v4, 2, v44
	v_add3_u32 v42, v23, v19, v20
	s_waitcnt lgkmcnt(0)
	s_barrier
	ds_write_b32 v4, v8 offset:2048
	v_lshlrev_b32_e32 v4, 2, v43
	v_add3_u32 v41, v28, v25, v27
	ds_write_b32 v4, v13 offset:2048
	v_lshlrev_b32_e32 v4, 2, v42
	v_add3_u32 v40, v34, v32, v33
	ds_write_b32 v4, v18 offset:2048
	v_lshlrev_b32_e32 v4, 2, v41
	ds_write_b32 v4, v22 offset:2048
	v_lshlrev_b32_e32 v4, 2, v40
	v_add3_u32 v38, v49, v47, v61
	ds_write_b32 v4, v31 offset:2048
	v_lshlrev_b32_e32 v4, 2, v39
	;; [unrolled: 5-line block ×3, first 2 shown]
	v_add3_u32 v35, v55, v54, v6
	ds_write_b32 v4, v48 offset:2048
	v_lshlrev_b32_e32 v4, 2, v36
	v_add3_u32 v34, v58, v56, v7
	ds_write_b32 v4, v50 offset:2048
	v_lshlrev_b32_e32 v4, 2, v35
	;; [unrolled: 3-line block ×3, first 2 shown]
	ds_write_b32 v4, v21 offset:2048
	v_lshlrev_b32_e32 v4, 2, v33
	v_lshl_or_b32 v5, s6, 8, v0
	v_mov_b32_e32 v6, 0
	ds_write_b32 v4, v57 offset:2048
	v_sub_u32_e32 v31, v3, v30
	v_lshlrev_b64 v[3:4], 2, v[5:6]
	v_mov_b32_e32 v11, s73
	v_add_co_u32_e64 v3, s[24:25], s72, v3
	v_addc_co_u32_e64 v4, s[24:25], v11, v4, s[24:25]
	v_or_b32_e32 v5, 2.0, v31
	s_mov_b64 s[26:27], 0
	s_brev_b32 s34, -4
	s_mov_b32 s35, s7
	v_mov_b32_e32 v12, 0
	s_waitcnt lgkmcnt(0)
	s_barrier
	global_store_dword v[3:4], v5, off
                                        ; implicit-def: $sgpr24_sgpr25
	s_branch .LBB132_60
.LBB132_58:                             ;   in Loop: Header=BB132_60 Depth=1
	s_or_b64 exec, exec, s[30:31]
.LBB132_59:                             ;   in Loop: Header=BB132_60 Depth=1
	s_or_b64 exec, exec, s[28:29]
	v_and_b32_e32 v7, 0x3fffffff, v5
	v_add_u32_e32 v12, v7, v12
	v_cmp_gt_i32_e64 s[24:25], -2.0, v5
	s_and_b64 s[28:29], exec, s[24:25]
	s_or_b64 s[26:27], s[28:29], s[26:27]
	s_andn2_b64 exec, exec, s[26:27]
	s_cbranch_execz .LBB132_65
.LBB132_60:                             ; =>This Loop Header: Depth=1
                                        ;     Child Loop BB132_63 Depth 2
	s_or_b64 s[24:25], s[24:25], exec
	s_cmp_eq_u32 s35, 0
	s_cbranch_scc1 .LBB132_64
; %bb.61:                               ;   in Loop: Header=BB132_60 Depth=1
	s_add_i32 s35, s35, -1
	v_lshl_or_b32 v5, s35, 8, v0
	v_lshlrev_b64 v[7:8], 2, v[5:6]
	v_add_co_u32_e64 v7, s[24:25], s72, v7
	v_addc_co_u32_e64 v8, s[24:25], v11, v8, s[24:25]
	global_load_dword v5, v[7:8], off glc
	s_waitcnt vmcnt(0)
	v_cmp_gt_u32_e64 s[24:25], 2.0, v5
	s_and_saveexec_b64 s[28:29], s[24:25]
	s_cbranch_execz .LBB132_59
; %bb.62:                               ;   in Loop: Header=BB132_60 Depth=1
	s_mov_b64 s[30:31], 0
.LBB132_63:                             ;   Parent Loop BB132_60 Depth=1
                                        ; =>  This Inner Loop Header: Depth=2
	global_load_dword v5, v[7:8], off glc
	s_waitcnt vmcnt(0)
	v_cmp_lt_u32_e64 s[24:25], s34, v5
	s_or_b64 s[30:31], s[24:25], s[30:31]
	s_andn2_b64 exec, exec, s[30:31]
	s_cbranch_execnz .LBB132_63
	s_branch .LBB132_58
.LBB132_64:                             ;   in Loop: Header=BB132_60 Depth=1
                                        ; implicit-def: $sgpr35
	s_and_b64 s[28:29], exec, s[24:25]
	s_or_b64 s[26:27], s[28:29], s[26:27]
	s_andn2_b64 exec, exec, s[26:27]
	s_cbranch_execnz .LBB132_60
.LBB132_65:
	s_or_b64 exec, exec, s[26:27]
	v_add_u32_e32 v5, v12, v31
	v_or_b32_e32 v5, 0x80000000, v5
	v_lshlrev_b32_e32 v32, 3, v0
	global_store_dword v[3:4], v5, off
	global_load_dwordx2 v[3:4], v32, s[64:65]
	v_sub_co_u32_e64 v5, s[24:25], v12, v30
	v_subb_co_u32_e64 v6, s[24:25], 0, 0, s[24:25]
	s_brev_b32 s26, 1
	s_waitcnt vmcnt(0)
	v_add_co_u32_e64 v3, s[24:25], v5, v3
	v_addc_co_u32_e64 v4, s[24:25], v6, v4, s[24:25]
	v_cmp_gt_u32_e64 s[24:25], s70, v0
	ds_write_b64 v32, v[3:4]
	s_waitcnt lgkmcnt(0)
	s_barrier
	s_and_saveexec_b64 s[28:29], s[24:25]
	s_cbranch_execz .LBB132_67
; %bb.66:
	v_lshlrev_b32_e32 v5, 2, v0
	v_sub_u32_e32 v3, v32, v5
	ds_read_b32 v6, v3 offset:2048
	v_bfrev_b32_e32 v7, -2
	v_mov_b32_e32 v8, s59
	s_waitcnt lgkmcnt(0)
	v_cmp_ne_u32_e64 s[26:27], s26, v6
	v_cndmask_b32_e64 v3, v7, v6, s[26:27]
	v_lshrrev_b32_e32 v3, s68, v3
	v_and_b32_e32 v3, s74, v3
	v_lshlrev_b32_e32 v3, 3, v3
	ds_read_b64 v[3:4], v3
	v_cmp_gt_i32_e64 s[26:27], 0, v6
	v_cndmask_b32_e64 v7, v7, 0, s[26:27]
	v_xor_b32_e32 v6, v7, v6
	s_waitcnt lgkmcnt(0)
	v_lshlrev_b64 v[3:4], 2, v[3:4]
	v_add_co_u32_e64 v3, s[26:27], s58, v3
	v_addc_co_u32_e64 v4, s[26:27], v8, v4, s[26:27]
	v_add_co_u32_e64 v3, s[26:27], v3, v5
	v_addc_co_u32_e64 v4, s[26:27], 0, v4, s[26:27]
	global_store_dword v[3:4], v6, off
.LBB132_67:
	s_or_b64 exec, exec, s[28:29]
	v_or_b32_e32 v3, 0x100, v0
	v_cmp_gt_u32_e64 s[26:27], s70, v3
	s_and_saveexec_b64 s[30:31], s[26:27]
	s_cbranch_execz .LBB132_69
; %bb.68:
	v_lshlrev_b32_e32 v5, 2, v0
	v_sub_u32_e32 v3, v32, v5
	ds_read_b32 v6, v3 offset:3072
	s_brev_b32 s28, 1
	v_bfrev_b32_e32 v7, -2
	v_mov_b32_e32 v8, s59
	s_waitcnt lgkmcnt(0)
	v_cmp_ne_u32_e64 s[28:29], s28, v6
	v_cndmask_b32_e64 v3, v7, v6, s[28:29]
	v_lshrrev_b32_e32 v3, s68, v3
	v_and_b32_e32 v3, s74, v3
	v_lshlrev_b32_e32 v3, 3, v3
	ds_read_b64 v[3:4], v3
	v_cmp_gt_i32_e64 s[28:29], 0, v6
	v_cndmask_b32_e64 v7, v7, 0, s[28:29]
	v_xor_b32_e32 v6, v7, v6
	s_waitcnt lgkmcnt(0)
	v_lshlrev_b64 v[3:4], 2, v[3:4]
	v_add_co_u32_e64 v3, s[28:29], s58, v3
	v_addc_co_u32_e64 v4, s[28:29], v8, v4, s[28:29]
	v_add_co_u32_e64 v3, s[28:29], v3, v5
	v_addc_co_u32_e64 v4, s[28:29], 0, v4, s[28:29]
	global_store_dword v[3:4], v6, off offset:1024
.LBB132_69:
	s_or_b64 exec, exec, s[30:31]
	v_or_b32_e32 v45, 0x200, v0
	v_cmp_gt_u32_e64 s[28:29], s70, v45
	s_and_saveexec_b64 s[34:35], s[28:29]
	s_cbranch_execz .LBB132_71
; %bb.70:
	v_lshlrev_b32_e32 v5, 2, v0
	v_sub_u32_e32 v3, v32, v5
	ds_read_b32 v6, v3 offset:4096
	s_brev_b32 s30, 1
	v_bfrev_b32_e32 v7, -2
	v_mov_b32_e32 v8, s59
	s_waitcnt lgkmcnt(0)
	v_cmp_ne_u32_e64 s[30:31], s30, v6
	v_cndmask_b32_e64 v3, v7, v6, s[30:31]
	v_lshrrev_b32_e32 v3, s68, v3
	v_and_b32_e32 v3, s74, v3
	v_lshlrev_b32_e32 v3, 3, v3
	ds_read_b64 v[3:4], v3
	v_cmp_gt_i32_e64 s[30:31], 0, v6
	v_cndmask_b32_e64 v7, v7, 0, s[30:31]
	v_xor_b32_e32 v6, v7, v6
	s_waitcnt lgkmcnt(0)
	v_lshlrev_b64 v[3:4], 2, v[3:4]
	v_add_co_u32_e64 v3, s[30:31], s58, v3
	v_addc_co_u32_e64 v4, s[30:31], v8, v4, s[30:31]
	v_add_co_u32_e64 v3, s[30:31], v3, v5
	v_addc_co_u32_e64 v4, s[30:31], 0, v4, s[30:31]
	global_store_dword v[3:4], v6, off offset:2048
.LBB132_71:
	s_or_b64 exec, exec, s[34:35]
	v_or_b32_e32 v46, 0x300, v0
	v_cmp_gt_u32_e64 s[30:31], s70, v46
	s_and_saveexec_b64 s[36:37], s[30:31]
	s_cbranch_execz .LBB132_73
; %bb.72:
	v_lshlrev_b32_e32 v5, 2, v0
	v_sub_u32_e32 v3, v32, v5
	ds_read_b32 v6, v3 offset:5120
	s_brev_b32 s34, 1
	v_bfrev_b32_e32 v7, -2
	v_mov_b32_e32 v8, s59
	s_waitcnt lgkmcnt(0)
	v_cmp_ne_u32_e64 s[34:35], s34, v6
	v_cndmask_b32_e64 v3, v7, v6, s[34:35]
	v_lshrrev_b32_e32 v3, s68, v3
	v_and_b32_e32 v3, s74, v3
	v_lshlrev_b32_e32 v3, 3, v3
	ds_read_b64 v[3:4], v3
	v_cmp_gt_i32_e64 s[34:35], 0, v6
	v_cndmask_b32_e64 v7, v7, 0, s[34:35]
	v_xor_b32_e32 v6, v7, v6
	s_waitcnt lgkmcnt(0)
	v_lshlrev_b64 v[3:4], 2, v[3:4]
	v_add_co_u32_e64 v3, s[34:35], s58, v3
	v_addc_co_u32_e64 v4, s[34:35], v8, v4, s[34:35]
	v_add_co_u32_e64 v3, s[34:35], v3, v5
	v_addc_co_u32_e64 v4, s[34:35], 0, v4, s[34:35]
	global_store_dword v[3:4], v6, off offset:3072
.LBB132_73:
	s_or_b64 exec, exec, s[36:37]
	v_or_b32_e32 v47, 0x400, v0
	v_cmp_gt_u32_e64 s[34:35], s70, v47
	s_and_saveexec_b64 s[38:39], s[34:35]
	s_cbranch_execz .LBB132_75
; %bb.74:
	v_lshlrev_b32_e32 v3, 2, v0
	v_sub_u32_e32 v3, v32, v3
	ds_read_b32 v5, v3 offset:6144
	s_brev_b32 s36, 1
	v_bfrev_b32_e32 v6, -2
	v_mov_b32_e32 v7, s59
	s_waitcnt lgkmcnt(0)
	v_cmp_ne_u32_e64 s[36:37], s36, v5
	v_cndmask_b32_e64 v3, v6, v5, s[36:37]
	v_lshrrev_b32_e32 v3, s68, v3
	v_and_b32_e32 v3, s74, v3
	v_lshlrev_b32_e32 v3, 3, v3
	ds_read_b64 v[3:4], v3
	v_cmp_gt_i32_e64 s[36:37], 0, v5
	v_cndmask_b32_e64 v6, v6, 0, s[36:37]
	v_xor_b32_e32 v5, v6, v5
	v_lshlrev_b32_e32 v6, 2, v47
	s_waitcnt lgkmcnt(0)
	v_lshlrev_b64 v[3:4], 2, v[3:4]
	v_add_co_u32_e64 v3, s[36:37], s58, v3
	v_addc_co_u32_e64 v4, s[36:37], v7, v4, s[36:37]
	v_add_co_u32_e64 v3, s[36:37], v3, v6
	v_addc_co_u32_e64 v4, s[36:37], 0, v4, s[36:37]
	global_store_dword v[3:4], v5, off
.LBB132_75:
	s_or_b64 exec, exec, s[38:39]
	v_or_b32_e32 v48, 0x500, v0
	v_cmp_gt_u32_e64 s[36:37], s70, v48
	s_and_saveexec_b64 s[40:41], s[36:37]
	s_cbranch_execz .LBB132_77
; %bb.76:
	v_lshlrev_b32_e32 v3, 2, v0
	v_sub_u32_e32 v3, v32, v3
	ds_read_b32 v5, v3 offset:7168
	s_brev_b32 s38, 1
	v_bfrev_b32_e32 v6, -2
	v_mov_b32_e32 v7, s59
	s_waitcnt lgkmcnt(0)
	v_cmp_ne_u32_e64 s[38:39], s38, v5
	v_cndmask_b32_e64 v3, v6, v5, s[38:39]
	v_lshrrev_b32_e32 v3, s68, v3
	v_and_b32_e32 v3, s74, v3
	v_lshlrev_b32_e32 v3, 3, v3
	ds_read_b64 v[3:4], v3
	v_cmp_gt_i32_e64 s[38:39], 0, v5
	v_cndmask_b32_e64 v6, v6, 0, s[38:39]
	v_xor_b32_e32 v5, v6, v5
	v_lshlrev_b32_e32 v6, 2, v48
	s_waitcnt lgkmcnt(0)
	v_lshlrev_b64 v[3:4], 2, v[3:4]
	v_add_co_u32_e64 v3, s[38:39], s58, v3
	v_addc_co_u32_e64 v4, s[38:39], v7, v4, s[38:39]
	v_add_co_u32_e64 v3, s[38:39], v3, v6
	v_addc_co_u32_e64 v4, s[38:39], 0, v4, s[38:39]
	global_store_dword v[3:4], v5, off
.LBB132_77:
	;; [unrolled: 31-line block ×3, first 2 shown]
	s_or_b64 exec, exec, s[42:43]
	v_or_b32_e32 v50, 0x700, v0
	v_cmp_gt_u32_e64 s[40:41], s70, v50
	s_and_saveexec_b64 s[44:45], s[40:41]
	s_cbranch_execz .LBB132_81
; %bb.80:
	v_lshlrev_b32_e32 v3, 2, v0
	ds_read_b32 v5, v3 offset:9216
	s_brev_b32 s42, 1
	v_bfrev_b32_e32 v6, -2
	v_mov_b32_e32 v7, s59
	s_waitcnt lgkmcnt(0)
	v_cmp_ne_u32_e64 s[42:43], s42, v5
	v_cndmask_b32_e64 v3, v6, v5, s[42:43]
	v_lshrrev_b32_e32 v3, s68, v3
	v_and_b32_e32 v3, s74, v3
	v_lshlrev_b32_e32 v3, 3, v3
	ds_read_b64 v[3:4], v3
	v_cmp_gt_i32_e64 s[42:43], 0, v5
	v_cndmask_b32_e64 v6, v6, 0, s[42:43]
	v_xor_b32_e32 v5, v6, v5
	v_lshlrev_b32_e32 v6, 2, v50
	s_waitcnt lgkmcnt(0)
	v_lshlrev_b64 v[3:4], 2, v[3:4]
	v_add_co_u32_e64 v3, s[42:43], s58, v3
	v_addc_co_u32_e64 v4, s[42:43], v7, v4, s[42:43]
	v_add_co_u32_e64 v3, s[42:43], v3, v6
	v_addc_co_u32_e64 v4, s[42:43], 0, v4, s[42:43]
	global_store_dword v[3:4], v5, off
.LBB132_81:
	s_or_b64 exec, exec, s[44:45]
	v_or_b32_e32 v51, 0x800, v0
	v_cmp_gt_u32_e64 s[42:43], s70, v51
	s_and_saveexec_b64 s[46:47], s[42:43]
	s_cbranch_execz .LBB132_83
; %bb.82:
	v_lshlrev_b32_e32 v3, 2, v0
	ds_read_b32 v5, v3 offset:10240
	s_brev_b32 s44, 1
	v_bfrev_b32_e32 v6, -2
	v_mov_b32_e32 v7, s59
	s_waitcnt lgkmcnt(0)
	v_cmp_ne_u32_e64 s[44:45], s44, v5
	v_cndmask_b32_e64 v3, v6, v5, s[44:45]
	v_lshrrev_b32_e32 v3, s68, v3
	v_and_b32_e32 v3, s74, v3
	v_lshlrev_b32_e32 v3, 3, v3
	ds_read_b64 v[3:4], v3
	v_cmp_gt_i32_e64 s[44:45], 0, v5
	v_cndmask_b32_e64 v6, v6, 0, s[44:45]
	v_xor_b32_e32 v5, v6, v5
	v_lshlrev_b32_e32 v6, 2, v51
	s_waitcnt lgkmcnt(0)
	v_lshlrev_b64 v[3:4], 2, v[3:4]
	v_add_co_u32_e64 v3, s[44:45], s58, v3
	v_addc_co_u32_e64 v4, s[44:45], v7, v4, s[44:45]
	v_add_co_u32_e64 v3, s[44:45], v3, v6
	v_addc_co_u32_e64 v4, s[44:45], 0, v4, s[44:45]
	global_store_dword v[3:4], v5, off
.LBB132_83:
	;; [unrolled: 30-line block ×5, first 2 shown]
	s_or_b64 exec, exec, s[70:71]
	s_lshl_b64 s[52:53], s[54:55], 3
	s_add_u32 s52, s60, s52
	s_addc_u32 s53, s61, s53
	v_lshlrev_b32_e32 v3, 3, v10
	v_mov_b32_e32 v4, s53
	v_add_co_u32_e64 v3, s[52:53], s52, v3
	v_addc_co_u32_e64 v4, s[52:53], 0, v4, s[52:53]
	v_lshlrev_b32_e32 v5, 3, v9
	v_add_co_u32_e64 v27, s[52:53], v3, v5
	v_addc_co_u32_e64 v28, s[52:53], 0, v4, s[52:53]
                                        ; implicit-def: $vgpr3_vgpr4
	s_and_saveexec_b64 s[52:53], vcc
	s_xor_b64 s[52:53], exec, s[52:53]
	s_cbranch_execz .LBB132_101
; %bb.90:
	global_load_dwordx2 v[3:4], v[27:28], off
	s_or_b64 exec, exec, s[52:53]
                                        ; implicit-def: $vgpr5_vgpr6
	s_and_saveexec_b64 s[52:53], s[0:1]
	s_cbranch_execnz .LBB132_102
.LBB132_91:
	s_or_b64 exec, exec, s[52:53]
                                        ; implicit-def: $vgpr7_vgpr8
	s_and_saveexec_b64 s[0:1], s[2:3]
	s_cbranch_execz .LBB132_103
.LBB132_92:
	global_load_dwordx2 v[7:8], v[27:28], off offset:1024
	s_or_b64 exec, exec, s[0:1]
                                        ; implicit-def: $vgpr9_vgpr10
	s_and_saveexec_b64 s[0:1], s[50:51]
	s_cbranch_execnz .LBB132_104
.LBB132_93:
	s_or_b64 exec, exec, s[0:1]
                                        ; implicit-def: $vgpr11_vgpr12
	s_and_saveexec_b64 s[0:1], s[8:9]
	s_cbranch_execz .LBB132_105
.LBB132_94:
	global_load_dwordx2 v[11:12], v[27:28], off offset:2048
	s_or_b64 exec, exec, s[0:1]
                                        ; implicit-def: $vgpr13_vgpr14
	s_and_saveexec_b64 s[0:1], s[12:13]
	s_cbranch_execnz .LBB132_106
.LBB132_95:
	s_or_b64 exec, exec, s[0:1]
                                        ; implicit-def: $vgpr15_vgpr16
	s_and_saveexec_b64 s[0:1], s[16:17]
	s_cbranch_execz .LBB132_107
.LBB132_96:
	global_load_dwordx2 v[15:16], v[27:28], off offset:3072
	s_or_b64 exec, exec, s[0:1]
                                        ; implicit-def: $vgpr17_vgpr18
	s_and_saveexec_b64 s[0:1], s[20:21]
	s_cbranch_execnz .LBB132_108
.LBB132_97:
	s_or_b64 exec, exec, s[0:1]
                                        ; implicit-def: $vgpr19_vgpr20
	s_and_saveexec_b64 s[0:1], s[22:23]
	s_cbranch_execz .LBB132_109
.LBB132_98:
	v_add_co_u32_e32 v19, vcc, 0x1000, v27
	v_addc_co_u32_e32 v20, vcc, 0, v28, vcc
	global_load_dwordx2 v[19:20], v[19:20], off
	s_or_b64 exec, exec, s[0:1]
                                        ; implicit-def: $vgpr21_vgpr22
	s_and_saveexec_b64 s[0:1], s[18:19]
	s_cbranch_execnz .LBB132_110
.LBB132_99:
	s_or_b64 exec, exec, s[0:1]
                                        ; implicit-def: $vgpr23_vgpr24
	s_and_saveexec_b64 s[0:1], s[14:15]
	s_cbranch_execz .LBB132_111
.LBB132_100:
	v_add_co_u32_e32 v23, vcc, 0x1000, v27
	v_addc_co_u32_e32 v24, vcc, 0, v28, vcc
	global_load_dwordx2 v[23:24], v[23:24], off offset:1024
	s_or_b64 exec, exec, s[0:1]
                                        ; implicit-def: $vgpr25_vgpr26
	s_and_saveexec_b64 s[0:1], s[10:11]
	s_cbranch_execnz .LBB132_112
	s_branch .LBB132_113
.LBB132_101:
	s_or_b64 exec, exec, s[52:53]
                                        ; implicit-def: $vgpr5_vgpr6
	s_and_saveexec_b64 s[52:53], s[0:1]
	s_cbranch_execz .LBB132_91
.LBB132_102:
	global_load_dwordx2 v[5:6], v[27:28], off offset:512
	s_or_b64 exec, exec, s[52:53]
                                        ; implicit-def: $vgpr7_vgpr8
	s_and_saveexec_b64 s[0:1], s[2:3]
	s_cbranch_execnz .LBB132_92
.LBB132_103:
	s_or_b64 exec, exec, s[0:1]
                                        ; implicit-def: $vgpr9_vgpr10
	s_and_saveexec_b64 s[0:1], s[50:51]
	s_cbranch_execz .LBB132_93
.LBB132_104:
	global_load_dwordx2 v[9:10], v[27:28], off offset:1536
	s_or_b64 exec, exec, s[0:1]
                                        ; implicit-def: $vgpr11_vgpr12
	s_and_saveexec_b64 s[0:1], s[8:9]
	s_cbranch_execnz .LBB132_94
.LBB132_105:
	s_or_b64 exec, exec, s[0:1]
                                        ; implicit-def: $vgpr13_vgpr14
	s_and_saveexec_b64 s[0:1], s[12:13]
	s_cbranch_execz .LBB132_95
.LBB132_106:
	global_load_dwordx2 v[13:14], v[27:28], off offset:2560
	s_or_b64 exec, exec, s[0:1]
                                        ; implicit-def: $vgpr15_vgpr16
	s_and_saveexec_b64 s[0:1], s[16:17]
	s_cbranch_execnz .LBB132_96
.LBB132_107:
	s_or_b64 exec, exec, s[0:1]
                                        ; implicit-def: $vgpr17_vgpr18
	s_and_saveexec_b64 s[0:1], s[20:21]
	s_cbranch_execz .LBB132_97
.LBB132_108:
	global_load_dwordx2 v[17:18], v[27:28], off offset:3584
	s_or_b64 exec, exec, s[0:1]
                                        ; implicit-def: $vgpr19_vgpr20
	s_and_saveexec_b64 s[0:1], s[22:23]
	s_cbranch_execnz .LBB132_98
.LBB132_109:
	s_or_b64 exec, exec, s[0:1]
                                        ; implicit-def: $vgpr21_vgpr22
	s_and_saveexec_b64 s[0:1], s[18:19]
	s_cbranch_execz .LBB132_99
.LBB132_110:
	v_add_co_u32_e32 v21, vcc, 0x1000, v27
	v_addc_co_u32_e32 v22, vcc, 0, v28, vcc
	global_load_dwordx2 v[21:22], v[21:22], off offset:512
	s_or_b64 exec, exec, s[0:1]
                                        ; implicit-def: $vgpr23_vgpr24
	s_and_saveexec_b64 s[0:1], s[14:15]
	s_cbranch_execnz .LBB132_100
.LBB132_111:
	s_or_b64 exec, exec, s[0:1]
                                        ; implicit-def: $vgpr25_vgpr26
	s_and_saveexec_b64 s[0:1], s[10:11]
	s_cbranch_execz .LBB132_113
.LBB132_112:
	v_add_co_u32_e32 v25, vcc, 0x1000, v27
	v_addc_co_u32_e32 v26, vcc, 0, v28, vcc
	global_load_dwordx2 v[25:26], v[25:26], off offset:1536
.LBB132_113:
	s_or_b64 exec, exec, s[0:1]
	v_mov_b32_e32 v60, 0
	v_mov_b32_e32 v64, 0
	s_and_saveexec_b64 s[0:1], s[24:25]
	s_cbranch_execz .LBB132_115
; %bb.114:
	v_lshlrev_b32_e32 v27, 2, v0
	ds_read_b32 v27, v27 offset:2048
	s_brev_b32 s2, 1
	v_bfrev_b32_e32 v28, -2
	s_waitcnt lgkmcnt(0)
	v_cmp_ne_u32_e32 vcc, s2, v27
	v_cndmask_b32_e32 v27, v28, v27, vcc
	v_lshrrev_b32_e32 v27, s68, v27
	v_and_b32_e32 v64, s74, v27
.LBB132_115:
	s_or_b64 exec, exec, s[0:1]
	s_and_saveexec_b64 s[0:1], s[26:27]
	s_cbranch_execz .LBB132_117
; %bb.116:
	v_lshlrev_b32_e32 v27, 2, v0
	ds_read_b32 v27, v27 offset:3072
	s_brev_b32 s2, 1
	v_bfrev_b32_e32 v28, -2
	s_waitcnt lgkmcnt(0)
	v_cmp_ne_u32_e32 vcc, s2, v27
	v_cndmask_b32_e32 v27, v28, v27, vcc
	v_lshrrev_b32_e32 v27, s68, v27
	v_and_b32_e32 v60, s74, v27
.LBB132_117:
	s_or_b64 exec, exec, s[0:1]
	v_mov_b32_e32 v58, 0
	v_mov_b32_e32 v63, 0
	s_and_saveexec_b64 s[0:1], s[28:29]
	s_cbranch_execz .LBB132_119
; %bb.118:
	v_lshlrev_b32_e32 v27, 2, v0
	ds_read_b32 v27, v27 offset:4096
	s_brev_b32 s2, 1
	v_bfrev_b32_e32 v28, -2
	s_waitcnt lgkmcnt(0)
	v_cmp_ne_u32_e32 vcc, s2, v27
	v_cndmask_b32_e32 v27, v28, v27, vcc
	v_lshrrev_b32_e32 v27, s68, v27
	v_and_b32_e32 v63, s74, v27
.LBB132_119:
	s_or_b64 exec, exec, s[0:1]
	s_and_saveexec_b64 s[0:1], s[30:31]
	s_cbranch_execz .LBB132_121
; %bb.120:
	v_lshlrev_b32_e32 v27, 2, v0
	ds_read_b32 v27, v27 offset:5120
	s_brev_b32 s2, 1
	v_bfrev_b32_e32 v28, -2
	s_waitcnt lgkmcnt(0)
	v_cmp_ne_u32_e32 vcc, s2, v27
	v_cndmask_b32_e32 v27, v28, v27, vcc
	v_lshrrev_b32_e32 v27, s68, v27
	v_and_b32_e32 v58, s74, v27
.LBB132_121:
	;; [unrolled: 30-line block ×6, first 2 shown]
	s_or_b64 exec, exec, s[0:1]
	v_lshlrev_b32_e32 v44, 3, v44
	s_waitcnt vmcnt(0)
	s_barrier
	ds_write_b64 v44, v[3:4] offset:2048
	v_lshlrev_b32_e32 v3, 3, v43
	ds_write_b64 v3, v[5:6] offset:2048
	v_lshlrev_b32_e32 v3, 3, v42
	;; [unrolled: 2-line block ×11, first 2 shown]
	ds_write_b64 v3, v[25:26] offset:2048
	s_waitcnt lgkmcnt(0)
	s_barrier
	s_and_saveexec_b64 s[0:1], s[24:25]
	s_cbranch_execz .LBB132_196
; %bb.138:
	v_lshlrev_b32_e32 v3, 3, v64
	ds_read_b64 v[3:4], v3
	ds_read_b64 v[5:6], v32 offset:2048
	v_mov_b32_e32 v7, s63
	s_waitcnt lgkmcnt(1)
	v_lshlrev_b64 v[3:4], 3, v[3:4]
	v_add_co_u32_e32 v3, vcc, s62, v3
	v_addc_co_u32_e32 v4, vcc, v7, v4, vcc
	v_add_co_u32_e32 v3, vcc, v3, v32
	v_addc_co_u32_e32 v4, vcc, 0, v4, vcc
	s_waitcnt lgkmcnt(0)
	global_store_dwordx2 v[3:4], v[5:6], off
	s_or_b64 exec, exec, s[0:1]
	s_and_saveexec_b64 s[0:1], s[26:27]
	s_cbranch_execnz .LBB132_197
.LBB132_139:
	s_or_b64 exec, exec, s[0:1]
	s_and_saveexec_b64 s[0:1], s[28:29]
	s_cbranch_execz .LBB132_198
.LBB132_140:
	v_lshlrev_b32_e32 v3, 3, v63
	ds_read_b64 v[3:4], v3
	ds_read_b64 v[5:6], v32 offset:6144
	v_mov_b32_e32 v7, s63
	s_waitcnt lgkmcnt(1)
	v_lshlrev_b64 v[3:4], 3, v[3:4]
	v_add_co_u32_e32 v3, vcc, s62, v3
	v_addc_co_u32_e32 v4, vcc, v7, v4, vcc
	v_lshlrev_b32_e32 v7, 3, v45
	v_add_co_u32_e32 v3, vcc, v3, v7
	v_addc_co_u32_e32 v4, vcc, 0, v4, vcc
	s_waitcnt lgkmcnt(0)
	global_store_dwordx2 v[3:4], v[5:6], off
	s_or_b64 exec, exec, s[0:1]
	s_and_saveexec_b64 s[0:1], s[30:31]
	s_cbranch_execnz .LBB132_199
.LBB132_141:
	s_or_b64 exec, exec, s[0:1]
	s_and_saveexec_b64 s[0:1], s[34:35]
	s_cbranch_execz .LBB132_200
.LBB132_142:
	v_lshlrev_b32_e32 v3, 3, v62
	ds_read_b64 v[3:4], v3
	ds_read_b64 v[5:6], v32 offset:10240
	v_mov_b32_e32 v7, s63
	s_waitcnt lgkmcnt(1)
	v_lshlrev_b64 v[3:4], 3, v[3:4]
	v_add_co_u32_e32 v3, vcc, s62, v3
	v_addc_co_u32_e32 v4, vcc, v7, v4, vcc
	v_lshlrev_b32_e32 v7, 3, v47
	v_add_co_u32_e32 v3, vcc, v3, v7
	v_addc_co_u32_e32 v4, vcc, 0, v4, vcc
	s_waitcnt lgkmcnt(0)
	global_store_dwordx2 v[3:4], v[5:6], off
	s_or_b64 exec, exec, s[0:1]
	s_and_saveexec_b64 s[0:1], s[36:37]
	s_cbranch_execnz .LBB132_201
.LBB132_143:
	s_or_b64 exec, exec, s[0:1]
	s_and_saveexec_b64 s[0:1], s[38:39]
	s_cbranch_execz .LBB132_202
.LBB132_144:
	v_lshlrev_b32_e32 v3, 3, v61
	ds_read_b64 v[3:4], v3
	ds_read_b64 v[5:6], v32 offset:14336
	v_mov_b32_e32 v7, s63
	s_waitcnt lgkmcnt(1)
	v_lshlrev_b64 v[3:4], 3, v[3:4]
	v_add_co_u32_e32 v3, vcc, s62, v3
	v_addc_co_u32_e32 v4, vcc, v7, v4, vcc
	v_lshlrev_b32_e32 v7, 3, v49
	v_add_co_u32_e32 v3, vcc, v3, v7
	v_addc_co_u32_e32 v4, vcc, 0, v4, vcc
	s_waitcnt lgkmcnt(0)
	global_store_dwordx2 v[3:4], v[5:6], off
	s_or_b64 exec, exec, s[0:1]
	s_and_saveexec_b64 s[0:1], s[40:41]
	s_cbranch_execnz .LBB132_203
.LBB132_145:
	s_or_b64 exec, exec, s[0:1]
	s_and_saveexec_b64 s[0:1], s[42:43]
	s_cbranch_execz .LBB132_204
.LBB132_146:
	v_lshlrev_b32_e32 v3, 3, v59
	ds_read_b64 v[3:4], v3
	ds_read_b64 v[5:6], v32 offset:18432
	v_mov_b32_e32 v7, s63
	s_waitcnt lgkmcnt(1)
	v_lshlrev_b64 v[3:4], 3, v[3:4]
	v_add_co_u32_e32 v3, vcc, s62, v3
	v_addc_co_u32_e32 v4, vcc, v7, v4, vcc
	v_lshlrev_b32_e32 v7, 3, v51
	v_add_co_u32_e32 v3, vcc, v3, v7
	v_addc_co_u32_e32 v4, vcc, 0, v4, vcc
	s_waitcnt lgkmcnt(0)
	global_store_dwordx2 v[3:4], v[5:6], off
	s_or_b64 exec, exec, s[0:1]
	s_and_saveexec_b64 s[0:1], s[44:45]
	s_cbranch_execnz .LBB132_205
.LBB132_147:
	s_or_b64 exec, exec, s[0:1]
	s_and_saveexec_b64 s[0:1], s[46:47]
	s_cbranch_execz .LBB132_206
.LBB132_148:
	v_lshlrev_b32_e32 v3, 3, v57
	ds_read_b64 v[3:4], v3
	ds_read_b64 v[5:6], v32 offset:22528
	v_mov_b32_e32 v7, s63
	s_waitcnt lgkmcnt(1)
	v_lshlrev_b64 v[3:4], 3, v[3:4]
	v_add_co_u32_e32 v3, vcc, s62, v3
	v_addc_co_u32_e32 v4, vcc, v7, v4, vcc
	v_lshlrev_b32_e32 v7, 3, v53
	v_add_co_u32_e32 v3, vcc, v3, v7
	v_addc_co_u32_e32 v4, vcc, 0, v4, vcc
	s_waitcnt lgkmcnt(0)
	global_store_dwordx2 v[3:4], v[5:6], off
	s_or_b64 exec, exec, s[0:1]
	s_and_saveexec_b64 s[0:1], s[48:49]
	s_cbranch_execnz .LBB132_207
.LBB132_149:
	s_or_b64 exec, exec, s[0:1]
	s_add_i32 s33, s33, -1
	s_cmp_eq_u32 s6, s33
	s_cbranch_scc0 .LBB132_151
.LBB132_150:
	ds_read_b64 v[3:4], v32
	v_add_co_u32_e32 v5, vcc, v31, v30
	v_addc_co_u32_e64 v6, s[0:1], 0, 0, vcc
	s_waitcnt lgkmcnt(0)
	v_add_co_u32_e32 v3, vcc, v5, v3
	v_addc_co_u32_e32 v4, vcc, v6, v4, vcc
	global_store_dwordx2 v32, v[3:4], s[66:67]
.LBB132_151:
	s_mov_b64 s[0:1], 0
.LBB132_152:
	s_and_b64 vcc, exec, s[0:1]
	s_cbranch_vccz .LBB132_195
; %bb.153:
	s_mov_b32 s55, 0
	s_lshl_b64 s[0:1], s[54:55], 2
	v_mbcnt_hi_u32_b32 v8, -1, v29
	s_add_u32 s0, s56, s0
	v_lshlrev_b32_e32 v4, 2, v8
	v_add_co_u32_e32 v4, vcc, s0, v4
	s_load_dword s8, s[4:5], 0x50
	s_load_dword s0, s[4:5], 0x5c
	s_addc_u32 s1, s57, s1
	v_and_b32_e32 v9, 0xc0, v0
	v_mul_u32_u24_e32 v7, 12, v9
	v_mov_b32_e32 v5, s1
	v_addc_co_u32_e32 v5, vcc, 0, v5, vcc
	v_lshlrev_b32_e32 v6, 2, v7
	v_add_co_u32_e32 v4, vcc, v4, v6
	s_add_u32 s1, s4, 0x50
	v_addc_co_u32_e32 v5, vcc, 0, v5, vcc
	s_addc_u32 s2, s5, 0
	s_waitcnt lgkmcnt(0)
	s_lshr_b32 s3, s0, 16
	global_load_dword v10, v[4:5], off
	s_cmp_lt_u32 s6, s8
	s_cselect_b32 s0, 12, 18
	s_add_u32 s0, s1, s0
	v_mov_b32_e32 v3, 0
	s_addc_u32 s1, s2, 0
	global_load_ushort v11, v3, s[0:1]
	v_mul_u32_u24_e32 v6, 20, v0
	ds_write2_b32 v6, v3, v3 offset0:4 offset1:5
	ds_write2_b32 v6, v3, v3 offset0:6 offset1:7
	ds_write_b32 v6, v3 offset:32
	global_load_dword v12, v[4:5], off offset:256
	global_load_dword v16, v[4:5], off offset:512
	;; [unrolled: 1-line block ×11, first 2 shown]
	v_bfrev_b32_e32 v13, -2
	v_mad_u32_u24 v1, v2, s3, v1
	s_brev_b32 s2, 1
	s_lshl_b32 s0, -1, s69
	s_not_b32 s9, s0
	s_waitcnt vmcnt(0) lgkmcnt(0)
	s_barrier
	; wave barrier
	v_cmp_gt_i32_e32 vcc, 0, v10
	v_cndmask_b32_e64 v2, v13, 0, vcc
	v_xor_b32_e32 v5, v2, v10
	v_cmp_ne_u32_e32 vcc, s2, v5
	v_cndmask_b32_e32 v4, v13, v5, vcc
	v_mad_u64_u32 v[1:2], s[0:1], v1, v11, v[0:1]
	v_lshrrev_b32_e32 v2, s68, v4
	v_and_b32_e32 v2, s9, v2
	v_and_b32_e32 v11, 1, v2
	v_add_co_u32_e32 v14, vcc, -1, v11
	v_lshlrev_b32_e32 v4, 30, v2
	v_addc_co_u32_e64 v15, s[0:1], 0, -1, vcc
	v_cmp_ne_u32_e32 vcc, 0, v11
	v_cmp_gt_i64_e64 s[0:1], 0, v[3:4]
	v_not_b32_e32 v11, v4
	v_lshlrev_b32_e32 v4, 29, v2
	v_lshrrev_b32_e32 v19, 6, v1
	v_xor_b32_e32 v1, vcc_hi, v15
	v_xor_b32_e32 v14, vcc_lo, v14
	v_ashrrev_i32_e32 v11, 31, v11
	v_cmp_gt_i64_e32 vcc, 0, v[3:4]
	v_not_b32_e32 v15, v4
	v_lshlrev_b32_e32 v4, 28, v2
	v_and_b32_e32 v1, exec_hi, v1
	v_and_b32_e32 v14, exec_lo, v14
	v_xor_b32_e32 v18, s1, v11
	v_xor_b32_e32 v11, s0, v11
	v_ashrrev_i32_e32 v15, 31, v15
	v_cmp_gt_i64_e64 s[0:1], 0, v[3:4]
	v_not_b32_e32 v4, v4
	v_and_b32_e32 v1, v1, v18
	v_and_b32_e32 v11, v14, v11
	v_xor_b32_e32 v14, vcc_hi, v15
	v_xor_b32_e32 v15, vcc_lo, v15
	v_ashrrev_i32_e32 v4, 31, v4
	v_and_b32_e32 v1, v1, v14
	v_and_b32_e32 v11, v11, v15
	v_xor_b32_e32 v14, s1, v4
	v_xor_b32_e32 v4, s0, v4
	v_and_b32_e32 v11, v11, v4
	v_lshlrev_b32_e32 v4, 27, v2
	v_cmp_gt_i64_e32 vcc, 0, v[3:4]
	v_not_b32_e32 v4, v4
	v_ashrrev_i32_e32 v4, 31, v4
	v_and_b32_e32 v1, v1, v14
	v_xor_b32_e32 v14, vcc_hi, v4
	v_xor_b32_e32 v4, vcc_lo, v4
	v_and_b32_e32 v11, v11, v4
	v_lshlrev_b32_e32 v4, 26, v2
	v_cmp_gt_i64_e32 vcc, 0, v[3:4]
	v_not_b32_e32 v4, v4
	v_ashrrev_i32_e32 v4, 31, v4
	v_and_b32_e32 v1, v1, v14
	v_xor_b32_e32 v14, vcc_hi, v4
	v_xor_b32_e32 v4, vcc_lo, v4
	;; [unrolled: 8-line block ×3, first 2 shown]
	v_and_b32_e32 v11, v11, v4
	v_lshlrev_b32_e32 v4, 24, v2
	v_mul_lo_u32 v10, v2, 20
	v_cmp_gt_i64_e32 vcc, 0, v[3:4]
	v_not_b32_e32 v2, v4
	v_ashrrev_i32_e32 v2, 31, v2
	v_and_b32_e32 v1, v1, v14
	v_xor_b32_e32 v4, vcc_hi, v2
	v_xor_b32_e32 v14, vcc_lo, v2
	v_and_b32_e32 v2, v1, v4
	v_and_b32_e32 v1, v11, v14
	v_mbcnt_lo_u32_b32 v4, v1, 0
	v_mbcnt_hi_u32_b32 v11, v2, v4
	v_cmp_ne_u64_e32 vcc, 0, v[1:2]
	v_cmp_eq_u32_e64 s[0:1], 0, v11
	v_lshl_add_u32 v10, v19, 2, v10
	s_and_b64 s[4:5], vcc, s[0:1]
	s_and_saveexec_b64 s[0:1], s[4:5]
; %bb.154:
	v_bcnt_u32_b32 v1, v1, 0
	v_bcnt_u32_b32 v1, v2, v1
	ds_write_b32 v10, v1 offset:16
; %bb.155:
	s_or_b64 exec, exec, s[0:1]
	v_cmp_gt_i32_e32 vcc, 0, v12
	v_cndmask_b32_e64 v1, v13, 0, vcc
	v_xor_b32_e32 v12, v1, v12
	v_cmp_ne_u32_e32 vcc, s2, v12
	v_cndmask_b32_e32 v1, v13, v12, vcc
	v_lshrrev_b32_e32 v1, s68, v1
	v_and_b32_e32 v1, s9, v1
	v_mul_lo_u32 v2, v1, 20
	; wave barrier
	v_lshl_add_u32 v14, v19, 2, v2
	v_and_b32_e32 v2, 1, v1
	v_add_co_u32_e32 v4, vcc, -1, v2
	v_addc_co_u32_e64 v15, s[0:1], 0, -1, vcc
	v_cmp_ne_u32_e32 vcc, 0, v2
	v_xor_b32_e32 v4, vcc_lo, v4
	v_xor_b32_e32 v2, vcc_hi, v15
	v_and_b32_e32 v15, exec_lo, v4
	v_lshlrev_b32_e32 v4, 30, v1
	v_cmp_gt_i64_e32 vcc, 0, v[3:4]
	v_not_b32_e32 v4, v4
	v_ashrrev_i32_e32 v4, 31, v4
	v_xor_b32_e32 v18, vcc_hi, v4
	v_xor_b32_e32 v4, vcc_lo, v4
	v_and_b32_e32 v15, v15, v4
	v_lshlrev_b32_e32 v4, 29, v1
	v_cmp_gt_i64_e32 vcc, 0, v[3:4]
	v_not_b32_e32 v4, v4
	v_and_b32_e32 v2, exec_hi, v2
	v_ashrrev_i32_e32 v4, 31, v4
	v_and_b32_e32 v2, v2, v18
	v_xor_b32_e32 v18, vcc_hi, v4
	v_xor_b32_e32 v4, vcc_lo, v4
	v_and_b32_e32 v15, v15, v4
	v_lshlrev_b32_e32 v4, 28, v1
	v_cmp_gt_i64_e32 vcc, 0, v[3:4]
	v_not_b32_e32 v4, v4
	v_ashrrev_i32_e32 v4, 31, v4
	v_and_b32_e32 v2, v2, v18
	v_xor_b32_e32 v18, vcc_hi, v4
	v_xor_b32_e32 v4, vcc_lo, v4
	v_and_b32_e32 v15, v15, v4
	v_lshlrev_b32_e32 v4, 27, v1
	v_cmp_gt_i64_e32 vcc, 0, v[3:4]
	v_not_b32_e32 v4, v4
	;; [unrolled: 8-line block ×5, first 2 shown]
	v_ashrrev_i32_e32 v1, 31, v1
	v_xor_b32_e32 v3, vcc_hi, v1
	v_xor_b32_e32 v1, vcc_lo, v1
	ds_read_b32 v13, v14 offset:16
	v_and_b32_e32 v2, v2, v18
	v_and_b32_e32 v1, v15, v1
	;; [unrolled: 1-line block ×3, first 2 shown]
	v_mbcnt_lo_u32_b32 v3, v1, 0
	v_mbcnt_hi_u32_b32 v15, v2, v3
	v_cmp_ne_u64_e32 vcc, 0, v[1:2]
	v_cmp_eq_u32_e64 s[0:1], 0, v15
	s_and_b64 s[2:3], vcc, s[0:1]
	; wave barrier
	s_and_saveexec_b64 s[0:1], s[2:3]
	s_cbranch_execz .LBB132_157
; %bb.156:
	v_bcnt_u32_b32 v1, v1, 0
	v_bcnt_u32_b32 v1, v2, v1
	s_waitcnt lgkmcnt(0)
	v_add_u32_e32 v1, v13, v1
	ds_write_b32 v14, v1 offset:16
.LBB132_157:
	s_or_b64 exec, exec, s[0:1]
	v_bfrev_b32_e32 v4, -2
	v_cmp_gt_i32_e32 vcc, 0, v16
	v_cndmask_b32_e64 v1, v4, 0, vcc
	v_xor_b32_e32 v16, v1, v16
	s_brev_b32 s2, 1
	v_cmp_ne_u32_e32 vcc, s2, v16
	v_cndmask_b32_e32 v1, v4, v16, vcc
	v_lshrrev_b32_e32 v1, s68, v1
	v_and_b32_e32 v3, s9, v1
	v_mul_lo_u32 v1, v3, 20
	v_and_b32_e32 v2, 1, v3
	v_add_co_u32_e32 v22, vcc, -1, v2
	v_addc_co_u32_e64 v24, s[0:1], 0, -1, vcc
	v_cmp_ne_u32_e32 vcc, 0, v2
	v_xor_b32_e32 v2, vcc_hi, v24
	v_lshl_add_u32 v20, v19, 2, v1
	v_mov_b32_e32 v1, 0
	v_and_b32_e32 v24, exec_hi, v2
	v_lshlrev_b32_e32 v2, 30, v3
	v_xor_b32_e32 v22, vcc_lo, v22
	v_cmp_gt_i64_e32 vcc, 0, v[1:2]
	v_not_b32_e32 v2, v2
	v_ashrrev_i32_e32 v2, 31, v2
	v_and_b32_e32 v22, exec_lo, v22
	v_xor_b32_e32 v25, vcc_hi, v2
	v_xor_b32_e32 v2, vcc_lo, v2
	v_and_b32_e32 v22, v22, v2
	v_lshlrev_b32_e32 v2, 29, v3
	v_cmp_gt_i64_e32 vcc, 0, v[1:2]
	v_not_b32_e32 v2, v2
	v_ashrrev_i32_e32 v2, 31, v2
	v_and_b32_e32 v24, v24, v25
	v_xor_b32_e32 v25, vcc_hi, v2
	v_xor_b32_e32 v2, vcc_lo, v2
	v_and_b32_e32 v22, v22, v2
	v_lshlrev_b32_e32 v2, 28, v3
	v_cmp_gt_i64_e32 vcc, 0, v[1:2]
	v_not_b32_e32 v2, v2
	v_ashrrev_i32_e32 v2, 31, v2
	v_and_b32_e32 v24, v24, v25
	;; [unrolled: 8-line block ×5, first 2 shown]
	v_xor_b32_e32 v25, vcc_hi, v2
	v_xor_b32_e32 v2, vcc_lo, v2
	v_and_b32_e32 v22, v22, v2
	v_lshlrev_b32_e32 v2, 24, v3
	v_cmp_gt_i64_e32 vcc, 0, v[1:2]
	v_not_b32_e32 v2, v2
	v_ashrrev_i32_e32 v2, 31, v2
	v_xor_b32_e32 v3, vcc_hi, v2
	v_xor_b32_e32 v2, vcc_lo, v2
	; wave barrier
	ds_read_b32 v18, v20 offset:16
	v_and_b32_e32 v24, v24, v25
	v_and_b32_e32 v2, v22, v2
	;; [unrolled: 1-line block ×3, first 2 shown]
	v_mbcnt_lo_u32_b32 v22, v2, 0
	v_mbcnt_hi_u32_b32 v22, v3, v22
	v_cmp_ne_u64_e32 vcc, 0, v[2:3]
	v_cmp_eq_u32_e64 s[0:1], 0, v22
	s_and_b64 s[4:5], vcc, s[0:1]
	; wave barrier
	s_and_saveexec_b64 s[0:1], s[4:5]
	s_cbranch_execz .LBB132_159
; %bb.158:
	v_bcnt_u32_b32 v2, v2, 0
	v_bcnt_u32_b32 v2, v3, v2
	s_waitcnt lgkmcnt(0)
	v_add_u32_e32 v2, v18, v2
	ds_write_b32 v20, v2 offset:16
.LBB132_159:
	s_or_b64 exec, exec, s[0:1]
	v_cmp_gt_i32_e32 vcc, 0, v21
	v_cndmask_b32_e64 v2, v4, 0, vcc
	v_xor_b32_e32 v21, v2, v21
	v_cmp_ne_u32_e32 vcc, s2, v21
	v_cndmask_b32_e32 v2, v4, v21, vcc
	v_lshrrev_b32_e32 v2, s68, v2
	v_and_b32_e32 v3, s9, v2
	v_mul_lo_u32 v2, v3, 20
	; wave barrier
	v_lshl_add_u32 v25, v19, 2, v2
	v_and_b32_e32 v2, 1, v3
	v_add_co_u32_e32 v4, vcc, -1, v2
	v_addc_co_u32_e64 v26, s[0:1], 0, -1, vcc
	v_cmp_ne_u32_e32 vcc, 0, v2
	v_xor_b32_e32 v2, vcc_hi, v26
	v_and_b32_e32 v26, exec_hi, v2
	v_lshlrev_b32_e32 v2, 30, v3
	v_xor_b32_e32 v4, vcc_lo, v4
	v_cmp_gt_i64_e32 vcc, 0, v[1:2]
	v_not_b32_e32 v2, v2
	v_ashrrev_i32_e32 v2, 31, v2
	v_and_b32_e32 v4, exec_lo, v4
	v_xor_b32_e32 v29, vcc_hi, v2
	v_xor_b32_e32 v2, vcc_lo, v2
	v_and_b32_e32 v4, v4, v2
	v_lshlrev_b32_e32 v2, 29, v3
	v_cmp_gt_i64_e32 vcc, 0, v[1:2]
	v_not_b32_e32 v2, v2
	v_ashrrev_i32_e32 v2, 31, v2
	v_and_b32_e32 v26, v26, v29
	v_xor_b32_e32 v29, vcc_hi, v2
	v_xor_b32_e32 v2, vcc_lo, v2
	v_and_b32_e32 v4, v4, v2
	v_lshlrev_b32_e32 v2, 28, v3
	v_cmp_gt_i64_e32 vcc, 0, v[1:2]
	v_not_b32_e32 v2, v2
	v_ashrrev_i32_e32 v2, 31, v2
	v_and_b32_e32 v26, v26, v29
	;; [unrolled: 8-line block ×5, first 2 shown]
	v_xor_b32_e32 v29, vcc_hi, v2
	v_xor_b32_e32 v2, vcc_lo, v2
	v_and_b32_e32 v4, v4, v2
	v_lshlrev_b32_e32 v2, 24, v3
	v_cmp_gt_i64_e32 vcc, 0, v[1:2]
	v_not_b32_e32 v1, v2
	v_ashrrev_i32_e32 v1, 31, v1
	v_xor_b32_e32 v2, vcc_hi, v1
	v_xor_b32_e32 v1, vcc_lo, v1
	ds_read_b32 v24, v25 offset:16
	v_and_b32_e32 v26, v26, v29
	v_and_b32_e32 v1, v4, v1
	;; [unrolled: 1-line block ×3, first 2 shown]
	v_mbcnt_lo_u32_b32 v3, v1, 0
	v_mbcnt_hi_u32_b32 v26, v2, v3
	v_cmp_ne_u64_e32 vcc, 0, v[1:2]
	v_cmp_eq_u32_e64 s[0:1], 0, v26
	s_and_b64 s[2:3], vcc, s[0:1]
	; wave barrier
	s_and_saveexec_b64 s[0:1], s[2:3]
	s_cbranch_execz .LBB132_161
; %bb.160:
	v_bcnt_u32_b32 v1, v1, 0
	v_bcnt_u32_b32 v1, v2, v1
	s_waitcnt lgkmcnt(0)
	v_add_u32_e32 v1, v24, v1
	ds_write_b32 v25, v1 offset:16
.LBB132_161:
	s_or_b64 exec, exec, s[0:1]
	v_bfrev_b32_e32 v4, -2
	v_cmp_gt_i32_e32 vcc, 0, v27
	v_cndmask_b32_e64 v1, v4, 0, vcc
	v_xor_b32_e32 v27, v1, v27
	s_brev_b32 s2, 1
	v_cmp_ne_u32_e32 vcc, s2, v27
	v_cndmask_b32_e32 v1, v4, v27, vcc
	v_lshrrev_b32_e32 v1, s68, v1
	v_and_b32_e32 v3, s9, v1
	v_mul_lo_u32 v1, v3, 20
	v_and_b32_e32 v2, 1, v3
	v_add_co_u32_e32 v32, vcc, -1, v2
	v_addc_co_u32_e64 v34, s[0:1], 0, -1, vcc
	v_cmp_ne_u32_e32 vcc, 0, v2
	v_xor_b32_e32 v2, vcc_hi, v34
	v_lshl_add_u32 v30, v19, 2, v1
	v_mov_b32_e32 v1, 0
	v_and_b32_e32 v34, exec_hi, v2
	v_lshlrev_b32_e32 v2, 30, v3
	v_xor_b32_e32 v32, vcc_lo, v32
	v_cmp_gt_i64_e32 vcc, 0, v[1:2]
	v_not_b32_e32 v2, v2
	v_ashrrev_i32_e32 v2, 31, v2
	v_and_b32_e32 v32, exec_lo, v32
	v_xor_b32_e32 v35, vcc_hi, v2
	v_xor_b32_e32 v2, vcc_lo, v2
	v_and_b32_e32 v32, v32, v2
	v_lshlrev_b32_e32 v2, 29, v3
	v_cmp_gt_i64_e32 vcc, 0, v[1:2]
	v_not_b32_e32 v2, v2
	v_ashrrev_i32_e32 v2, 31, v2
	v_and_b32_e32 v34, v34, v35
	v_xor_b32_e32 v35, vcc_hi, v2
	v_xor_b32_e32 v2, vcc_lo, v2
	v_and_b32_e32 v32, v32, v2
	v_lshlrev_b32_e32 v2, 28, v3
	v_cmp_gt_i64_e32 vcc, 0, v[1:2]
	v_not_b32_e32 v2, v2
	v_ashrrev_i32_e32 v2, 31, v2
	v_and_b32_e32 v34, v34, v35
	;; [unrolled: 8-line block ×5, first 2 shown]
	v_xor_b32_e32 v35, vcc_hi, v2
	v_xor_b32_e32 v2, vcc_lo, v2
	v_and_b32_e32 v32, v32, v2
	v_lshlrev_b32_e32 v2, 24, v3
	v_cmp_gt_i64_e32 vcc, 0, v[1:2]
	v_not_b32_e32 v2, v2
	v_ashrrev_i32_e32 v2, 31, v2
	v_xor_b32_e32 v3, vcc_hi, v2
	v_xor_b32_e32 v2, vcc_lo, v2
	; wave barrier
	ds_read_b32 v29, v30 offset:16
	v_and_b32_e32 v34, v34, v35
	v_and_b32_e32 v2, v32, v2
	v_and_b32_e32 v3, v34, v3
	v_mbcnt_lo_u32_b32 v32, v2, 0
	v_mbcnt_hi_u32_b32 v32, v3, v32
	v_cmp_ne_u64_e32 vcc, 0, v[2:3]
	v_cmp_eq_u32_e64 s[0:1], 0, v32
	s_and_b64 s[4:5], vcc, s[0:1]
	; wave barrier
	s_and_saveexec_b64 s[0:1], s[4:5]
	s_cbranch_execz .LBB132_163
; %bb.162:
	v_bcnt_u32_b32 v2, v2, 0
	v_bcnt_u32_b32 v2, v3, v2
	s_waitcnt lgkmcnt(0)
	v_add_u32_e32 v2, v29, v2
	ds_write_b32 v30, v2 offset:16
.LBB132_163:
	s_or_b64 exec, exec, s[0:1]
	v_cmp_gt_i32_e32 vcc, 0, v31
	v_cndmask_b32_e64 v2, v4, 0, vcc
	v_xor_b32_e32 v31, v2, v31
	v_cmp_ne_u32_e32 vcc, s2, v31
	v_cndmask_b32_e32 v2, v4, v31, vcc
	v_lshrrev_b32_e32 v2, s68, v2
	v_and_b32_e32 v3, s9, v2
	v_mul_lo_u32 v2, v3, 20
	; wave barrier
	v_lshl_add_u32 v35, v19, 2, v2
	v_and_b32_e32 v2, 1, v3
	v_add_co_u32_e32 v4, vcc, -1, v2
	v_addc_co_u32_e64 v37, s[0:1], 0, -1, vcc
	v_cmp_ne_u32_e32 vcc, 0, v2
	v_xor_b32_e32 v2, vcc_hi, v37
	v_and_b32_e32 v37, exec_hi, v2
	v_lshlrev_b32_e32 v2, 30, v3
	v_xor_b32_e32 v4, vcc_lo, v4
	v_cmp_gt_i64_e32 vcc, 0, v[1:2]
	v_not_b32_e32 v2, v2
	v_ashrrev_i32_e32 v2, 31, v2
	v_and_b32_e32 v4, exec_lo, v4
	v_xor_b32_e32 v39, vcc_hi, v2
	v_xor_b32_e32 v2, vcc_lo, v2
	v_and_b32_e32 v4, v4, v2
	v_lshlrev_b32_e32 v2, 29, v3
	v_cmp_gt_i64_e32 vcc, 0, v[1:2]
	v_not_b32_e32 v2, v2
	v_ashrrev_i32_e32 v2, 31, v2
	v_and_b32_e32 v37, v37, v39
	v_xor_b32_e32 v39, vcc_hi, v2
	v_xor_b32_e32 v2, vcc_lo, v2
	v_and_b32_e32 v4, v4, v2
	v_lshlrev_b32_e32 v2, 28, v3
	v_cmp_gt_i64_e32 vcc, 0, v[1:2]
	v_not_b32_e32 v2, v2
	v_ashrrev_i32_e32 v2, 31, v2
	v_and_b32_e32 v37, v37, v39
	;; [unrolled: 8-line block ×5, first 2 shown]
	v_xor_b32_e32 v39, vcc_hi, v2
	v_xor_b32_e32 v2, vcc_lo, v2
	v_and_b32_e32 v4, v4, v2
	v_lshlrev_b32_e32 v2, 24, v3
	v_cmp_gt_i64_e32 vcc, 0, v[1:2]
	v_not_b32_e32 v1, v2
	v_ashrrev_i32_e32 v1, 31, v1
	v_xor_b32_e32 v2, vcc_hi, v1
	v_xor_b32_e32 v1, vcc_lo, v1
	ds_read_b32 v34, v35 offset:16
	v_and_b32_e32 v37, v37, v39
	v_and_b32_e32 v1, v4, v1
	;; [unrolled: 1-line block ×3, first 2 shown]
	v_mbcnt_lo_u32_b32 v3, v1, 0
	v_mbcnt_hi_u32_b32 v37, v2, v3
	v_cmp_ne_u64_e32 vcc, 0, v[1:2]
	v_cmp_eq_u32_e64 s[0:1], 0, v37
	s_and_b64 s[2:3], vcc, s[0:1]
	; wave barrier
	s_and_saveexec_b64 s[0:1], s[2:3]
	s_cbranch_execz .LBB132_165
; %bb.164:
	v_bcnt_u32_b32 v1, v1, 0
	v_bcnt_u32_b32 v1, v2, v1
	s_waitcnt lgkmcnt(0)
	v_add_u32_e32 v1, v34, v1
	ds_write_b32 v35, v1 offset:16
.LBB132_165:
	s_or_b64 exec, exec, s[0:1]
	v_bfrev_b32_e32 v4, -2
	v_cmp_gt_i32_e32 vcc, 0, v36
	v_cndmask_b32_e64 v1, v4, 0, vcc
	v_xor_b32_e32 v36, v1, v36
	s_brev_b32 s2, 1
	v_cmp_ne_u32_e32 vcc, s2, v36
	v_cndmask_b32_e32 v1, v4, v36, vcc
	v_lshrrev_b32_e32 v1, s68, v1
	v_and_b32_e32 v3, s9, v1
	v_mul_lo_u32 v1, v3, 20
	v_and_b32_e32 v2, 1, v3
	v_add_co_u32_e32 v41, vcc, -1, v2
	v_addc_co_u32_e64 v42, s[0:1], 0, -1, vcc
	v_cmp_ne_u32_e32 vcc, 0, v2
	v_xor_b32_e32 v2, vcc_hi, v42
	v_lshl_add_u32 v40, v19, 2, v1
	v_mov_b32_e32 v1, 0
	v_and_b32_e32 v42, exec_hi, v2
	v_lshlrev_b32_e32 v2, 30, v3
	v_xor_b32_e32 v41, vcc_lo, v41
	v_cmp_gt_i64_e32 vcc, 0, v[1:2]
	v_not_b32_e32 v2, v2
	v_ashrrev_i32_e32 v2, 31, v2
	v_and_b32_e32 v41, exec_lo, v41
	v_xor_b32_e32 v43, vcc_hi, v2
	v_xor_b32_e32 v2, vcc_lo, v2
	v_and_b32_e32 v41, v41, v2
	v_lshlrev_b32_e32 v2, 29, v3
	v_cmp_gt_i64_e32 vcc, 0, v[1:2]
	v_not_b32_e32 v2, v2
	v_ashrrev_i32_e32 v2, 31, v2
	v_and_b32_e32 v42, v42, v43
	v_xor_b32_e32 v43, vcc_hi, v2
	v_xor_b32_e32 v2, vcc_lo, v2
	v_and_b32_e32 v41, v41, v2
	v_lshlrev_b32_e32 v2, 28, v3
	v_cmp_gt_i64_e32 vcc, 0, v[1:2]
	v_not_b32_e32 v2, v2
	v_ashrrev_i32_e32 v2, 31, v2
	v_and_b32_e32 v42, v42, v43
	;; [unrolled: 8-line block ×5, first 2 shown]
	v_xor_b32_e32 v43, vcc_hi, v2
	v_xor_b32_e32 v2, vcc_lo, v2
	v_and_b32_e32 v41, v41, v2
	v_lshlrev_b32_e32 v2, 24, v3
	v_cmp_gt_i64_e32 vcc, 0, v[1:2]
	v_not_b32_e32 v2, v2
	v_ashrrev_i32_e32 v2, 31, v2
	v_xor_b32_e32 v3, vcc_hi, v2
	v_xor_b32_e32 v2, vcc_lo, v2
	; wave barrier
	ds_read_b32 v39, v40 offset:16
	v_and_b32_e32 v42, v42, v43
	v_and_b32_e32 v2, v41, v2
	;; [unrolled: 1-line block ×3, first 2 shown]
	v_mbcnt_lo_u32_b32 v41, v2, 0
	v_mbcnt_hi_u32_b32 v41, v3, v41
	v_cmp_ne_u64_e32 vcc, 0, v[2:3]
	v_cmp_eq_u32_e64 s[0:1], 0, v41
	s_and_b64 s[4:5], vcc, s[0:1]
	; wave barrier
	s_and_saveexec_b64 s[0:1], s[4:5]
	s_cbranch_execz .LBB132_167
; %bb.166:
	v_bcnt_u32_b32 v2, v2, 0
	v_bcnt_u32_b32 v2, v3, v2
	s_waitcnt lgkmcnt(0)
	v_add_u32_e32 v2, v39, v2
	ds_write_b32 v40, v2 offset:16
.LBB132_167:
	s_or_b64 exec, exec, s[0:1]
	v_cmp_gt_i32_e32 vcc, 0, v38
	v_cndmask_b32_e64 v2, v4, 0, vcc
	v_xor_b32_e32 v38, v2, v38
	v_cmp_ne_u32_e32 vcc, s2, v38
	v_cndmask_b32_e32 v2, v4, v38, vcc
	v_lshrrev_b32_e32 v2, s68, v2
	v_and_b32_e32 v3, s9, v2
	v_mul_lo_u32 v2, v3, 20
	; wave barrier
	v_lshl_add_u32 v43, v19, 2, v2
	v_and_b32_e32 v2, 1, v3
	v_add_co_u32_e32 v4, vcc, -1, v2
	v_addc_co_u32_e64 v44, s[0:1], 0, -1, vcc
	v_cmp_ne_u32_e32 vcc, 0, v2
	v_xor_b32_e32 v2, vcc_hi, v44
	v_and_b32_e32 v44, exec_hi, v2
	v_lshlrev_b32_e32 v2, 30, v3
	v_xor_b32_e32 v4, vcc_lo, v4
	v_cmp_gt_i64_e32 vcc, 0, v[1:2]
	v_not_b32_e32 v2, v2
	v_ashrrev_i32_e32 v2, 31, v2
	v_and_b32_e32 v4, exec_lo, v4
	v_xor_b32_e32 v45, vcc_hi, v2
	v_xor_b32_e32 v2, vcc_lo, v2
	v_and_b32_e32 v4, v4, v2
	v_lshlrev_b32_e32 v2, 29, v3
	v_cmp_gt_i64_e32 vcc, 0, v[1:2]
	v_not_b32_e32 v2, v2
	v_ashrrev_i32_e32 v2, 31, v2
	v_and_b32_e32 v44, v44, v45
	v_xor_b32_e32 v45, vcc_hi, v2
	v_xor_b32_e32 v2, vcc_lo, v2
	v_and_b32_e32 v4, v4, v2
	v_lshlrev_b32_e32 v2, 28, v3
	v_cmp_gt_i64_e32 vcc, 0, v[1:2]
	v_not_b32_e32 v2, v2
	v_ashrrev_i32_e32 v2, 31, v2
	v_and_b32_e32 v44, v44, v45
	;; [unrolled: 8-line block ×5, first 2 shown]
	v_xor_b32_e32 v45, vcc_hi, v2
	v_xor_b32_e32 v2, vcc_lo, v2
	v_and_b32_e32 v4, v4, v2
	v_lshlrev_b32_e32 v2, 24, v3
	v_cmp_gt_i64_e32 vcc, 0, v[1:2]
	v_not_b32_e32 v1, v2
	v_ashrrev_i32_e32 v1, 31, v1
	v_xor_b32_e32 v2, vcc_hi, v1
	v_xor_b32_e32 v1, vcc_lo, v1
	ds_read_b32 v42, v43 offset:16
	v_and_b32_e32 v44, v44, v45
	v_and_b32_e32 v1, v4, v1
	;; [unrolled: 1-line block ×3, first 2 shown]
	v_mbcnt_lo_u32_b32 v3, v1, 0
	v_mbcnt_hi_u32_b32 v44, v2, v3
	v_cmp_ne_u64_e32 vcc, 0, v[1:2]
	v_cmp_eq_u32_e64 s[0:1], 0, v44
	s_and_b64 s[2:3], vcc, s[0:1]
	; wave barrier
	s_and_saveexec_b64 s[0:1], s[2:3]
	s_cbranch_execz .LBB132_169
; %bb.168:
	v_bcnt_u32_b32 v1, v1, 0
	v_bcnt_u32_b32 v1, v2, v1
	s_waitcnt lgkmcnt(0)
	v_add_u32_e32 v1, v42, v1
	ds_write_b32 v43, v1 offset:16
.LBB132_169:
	s_or_b64 exec, exec, s[0:1]
	v_bfrev_b32_e32 v4, -2
	v_cmp_gt_i32_e32 vcc, 0, v33
	v_cndmask_b32_e64 v1, v4, 0, vcc
	v_xor_b32_e32 v33, v1, v33
	s_brev_b32 s2, 1
	v_cmp_ne_u32_e32 vcc, s2, v33
	v_cndmask_b32_e32 v1, v4, v33, vcc
	v_lshrrev_b32_e32 v1, s68, v1
	v_and_b32_e32 v3, s9, v1
	v_mul_lo_u32 v1, v3, 20
	v_and_b32_e32 v2, 1, v3
	v_add_co_u32_e32 v47, vcc, -1, v2
	v_addc_co_u32_e64 v48, s[0:1], 0, -1, vcc
	v_cmp_ne_u32_e32 vcc, 0, v2
	v_xor_b32_e32 v2, vcc_hi, v48
	v_lshl_add_u32 v46, v19, 2, v1
	v_mov_b32_e32 v1, 0
	v_and_b32_e32 v48, exec_hi, v2
	v_lshlrev_b32_e32 v2, 30, v3
	v_xor_b32_e32 v47, vcc_lo, v47
	v_cmp_gt_i64_e32 vcc, 0, v[1:2]
	v_not_b32_e32 v2, v2
	v_ashrrev_i32_e32 v2, 31, v2
	v_and_b32_e32 v47, exec_lo, v47
	v_xor_b32_e32 v49, vcc_hi, v2
	v_xor_b32_e32 v2, vcc_lo, v2
	v_and_b32_e32 v47, v47, v2
	v_lshlrev_b32_e32 v2, 29, v3
	v_cmp_gt_i64_e32 vcc, 0, v[1:2]
	v_not_b32_e32 v2, v2
	v_ashrrev_i32_e32 v2, 31, v2
	v_and_b32_e32 v48, v48, v49
	v_xor_b32_e32 v49, vcc_hi, v2
	v_xor_b32_e32 v2, vcc_lo, v2
	v_and_b32_e32 v47, v47, v2
	v_lshlrev_b32_e32 v2, 28, v3
	v_cmp_gt_i64_e32 vcc, 0, v[1:2]
	v_not_b32_e32 v2, v2
	v_ashrrev_i32_e32 v2, 31, v2
	v_and_b32_e32 v48, v48, v49
	;; [unrolled: 8-line block ×5, first 2 shown]
	v_xor_b32_e32 v49, vcc_hi, v2
	v_xor_b32_e32 v2, vcc_lo, v2
	v_and_b32_e32 v47, v47, v2
	v_lshlrev_b32_e32 v2, 24, v3
	v_cmp_gt_i64_e32 vcc, 0, v[1:2]
	v_not_b32_e32 v2, v2
	v_ashrrev_i32_e32 v2, 31, v2
	v_xor_b32_e32 v3, vcc_hi, v2
	v_xor_b32_e32 v2, vcc_lo, v2
	; wave barrier
	ds_read_b32 v45, v46 offset:16
	v_and_b32_e32 v48, v48, v49
	v_and_b32_e32 v2, v47, v2
	;; [unrolled: 1-line block ×3, first 2 shown]
	v_mbcnt_lo_u32_b32 v47, v2, 0
	v_mbcnt_hi_u32_b32 v48, v3, v47
	v_cmp_ne_u64_e32 vcc, 0, v[2:3]
	v_cmp_eq_u32_e64 s[0:1], 0, v48
	s_and_b64 s[4:5], vcc, s[0:1]
	; wave barrier
	s_and_saveexec_b64 s[0:1], s[4:5]
	s_cbranch_execz .LBB132_171
; %bb.170:
	v_bcnt_u32_b32 v2, v2, 0
	v_bcnt_u32_b32 v2, v3, v2
	s_waitcnt lgkmcnt(0)
	v_add_u32_e32 v2, v45, v2
	ds_write_b32 v46, v2 offset:16
.LBB132_171:
	s_or_b64 exec, exec, s[0:1]
	v_cmp_gt_i32_e32 vcc, 0, v28
	v_cndmask_b32_e64 v2, v4, 0, vcc
	v_xor_b32_e32 v47, v2, v28
	v_cmp_ne_u32_e32 vcc, s2, v47
	v_cndmask_b32_e32 v2, v4, v47, vcc
	v_lshrrev_b32_e32 v2, s68, v2
	v_and_b32_e32 v3, s9, v2
	v_mul_lo_u32 v2, v3, 20
	; wave barrier
	v_lshl_add_u32 v28, v19, 2, v2
	v_and_b32_e32 v2, 1, v3
	v_add_co_u32_e32 v4, vcc, -1, v2
	v_addc_co_u32_e64 v50, s[0:1], 0, -1, vcc
	v_cmp_ne_u32_e32 vcc, 0, v2
	v_xor_b32_e32 v2, vcc_hi, v50
	v_and_b32_e32 v50, exec_hi, v2
	v_lshlrev_b32_e32 v2, 30, v3
	v_xor_b32_e32 v4, vcc_lo, v4
	v_cmp_gt_i64_e32 vcc, 0, v[1:2]
	v_not_b32_e32 v2, v2
	v_ashrrev_i32_e32 v2, 31, v2
	v_and_b32_e32 v4, exec_lo, v4
	v_xor_b32_e32 v51, vcc_hi, v2
	v_xor_b32_e32 v2, vcc_lo, v2
	v_and_b32_e32 v4, v4, v2
	v_lshlrev_b32_e32 v2, 29, v3
	v_cmp_gt_i64_e32 vcc, 0, v[1:2]
	v_not_b32_e32 v2, v2
	v_ashrrev_i32_e32 v2, 31, v2
	v_and_b32_e32 v50, v50, v51
	v_xor_b32_e32 v51, vcc_hi, v2
	v_xor_b32_e32 v2, vcc_lo, v2
	v_and_b32_e32 v4, v4, v2
	v_lshlrev_b32_e32 v2, 28, v3
	v_cmp_gt_i64_e32 vcc, 0, v[1:2]
	v_not_b32_e32 v2, v2
	v_ashrrev_i32_e32 v2, 31, v2
	v_and_b32_e32 v50, v50, v51
	;; [unrolled: 8-line block ×5, first 2 shown]
	v_xor_b32_e32 v51, vcc_hi, v2
	v_xor_b32_e32 v2, vcc_lo, v2
	v_and_b32_e32 v4, v4, v2
	v_lshlrev_b32_e32 v2, 24, v3
	v_cmp_gt_i64_e32 vcc, 0, v[1:2]
	v_not_b32_e32 v1, v2
	v_ashrrev_i32_e32 v1, 31, v1
	v_xor_b32_e32 v2, vcc_hi, v1
	v_xor_b32_e32 v1, vcc_lo, v1
	ds_read_b32 v49, v28 offset:16
	v_and_b32_e32 v50, v50, v51
	v_and_b32_e32 v1, v4, v1
	;; [unrolled: 1-line block ×3, first 2 shown]
	v_mbcnt_lo_u32_b32 v3, v1, 0
	v_mbcnt_hi_u32_b32 v51, v2, v3
	v_cmp_ne_u64_e32 vcc, 0, v[1:2]
	v_cmp_eq_u32_e64 s[0:1], 0, v51
	s_and_b64 s[2:3], vcc, s[0:1]
	; wave barrier
	s_and_saveexec_b64 s[0:1], s[2:3]
	s_cbranch_execz .LBB132_173
; %bb.172:
	v_bcnt_u32_b32 v1, v1, 0
	v_bcnt_u32_b32 v1, v2, v1
	s_waitcnt lgkmcnt(0)
	v_add_u32_e32 v1, v49, v1
	ds_write_b32 v28, v1 offset:16
.LBB132_173:
	s_or_b64 exec, exec, s[0:1]
	v_bfrev_b32_e32 v4, -2
	v_cmp_gt_i32_e32 vcc, 0, v23
	v_cndmask_b32_e64 v1, v4, 0, vcc
	v_xor_b32_e32 v50, v1, v23
	s_brev_b32 s2, 1
	v_cmp_ne_u32_e32 vcc, s2, v50
	v_cndmask_b32_e32 v1, v4, v50, vcc
	v_lshrrev_b32_e32 v1, s68, v1
	v_and_b32_e32 v3, s9, v1
	v_mul_lo_u32 v1, v3, 20
	v_and_b32_e32 v2, 1, v3
	v_add_co_u32_e32 v52, vcc, -1, v2
	v_addc_co_u32_e64 v54, s[0:1], 0, -1, vcc
	v_cmp_ne_u32_e32 vcc, 0, v2
	v_xor_b32_e32 v2, vcc_hi, v54
	v_lshl_add_u32 v23, v19, 2, v1
	v_mov_b32_e32 v1, 0
	v_and_b32_e32 v54, exec_hi, v2
	v_lshlrev_b32_e32 v2, 30, v3
	v_xor_b32_e32 v52, vcc_lo, v52
	v_cmp_gt_i64_e32 vcc, 0, v[1:2]
	v_not_b32_e32 v2, v2
	v_ashrrev_i32_e32 v2, 31, v2
	v_and_b32_e32 v52, exec_lo, v52
	v_xor_b32_e32 v55, vcc_hi, v2
	v_xor_b32_e32 v2, vcc_lo, v2
	v_and_b32_e32 v52, v52, v2
	v_lshlrev_b32_e32 v2, 29, v3
	v_cmp_gt_i64_e32 vcc, 0, v[1:2]
	v_not_b32_e32 v2, v2
	v_ashrrev_i32_e32 v2, 31, v2
	v_and_b32_e32 v54, v54, v55
	v_xor_b32_e32 v55, vcc_hi, v2
	v_xor_b32_e32 v2, vcc_lo, v2
	v_and_b32_e32 v52, v52, v2
	v_lshlrev_b32_e32 v2, 28, v3
	v_cmp_gt_i64_e32 vcc, 0, v[1:2]
	v_not_b32_e32 v2, v2
	v_ashrrev_i32_e32 v2, 31, v2
	v_and_b32_e32 v54, v54, v55
	;; [unrolled: 8-line block ×5, first 2 shown]
	v_xor_b32_e32 v55, vcc_hi, v2
	v_xor_b32_e32 v2, vcc_lo, v2
	v_and_b32_e32 v52, v52, v2
	v_lshlrev_b32_e32 v2, 24, v3
	v_cmp_gt_i64_e32 vcc, 0, v[1:2]
	v_not_b32_e32 v2, v2
	v_ashrrev_i32_e32 v2, 31, v2
	v_xor_b32_e32 v3, vcc_hi, v2
	v_xor_b32_e32 v2, vcc_lo, v2
	; wave barrier
	ds_read_b32 v53, v23 offset:16
	v_and_b32_e32 v54, v54, v55
	v_and_b32_e32 v2, v52, v2
	;; [unrolled: 1-line block ×3, first 2 shown]
	v_mbcnt_lo_u32_b32 v52, v2, 0
	v_mbcnt_hi_u32_b32 v55, v3, v52
	v_cmp_ne_u64_e32 vcc, 0, v[2:3]
	v_cmp_eq_u32_e64 s[0:1], 0, v55
	s_and_b64 s[4:5], vcc, s[0:1]
	; wave barrier
	s_and_saveexec_b64 s[0:1], s[4:5]
	s_cbranch_execz .LBB132_175
; %bb.174:
	v_bcnt_u32_b32 v2, v2, 0
	v_bcnt_u32_b32 v2, v3, v2
	s_waitcnt lgkmcnt(0)
	v_add_u32_e32 v2, v53, v2
	ds_write_b32 v23, v2 offset:16
.LBB132_175:
	s_or_b64 exec, exec, s[0:1]
	v_cmp_gt_i32_e32 vcc, 0, v17
	v_cndmask_b32_e64 v2, v4, 0, vcc
	v_xor_b32_e32 v54, v2, v17
	v_cmp_ne_u32_e32 vcc, s2, v54
	v_cndmask_b32_e32 v2, v4, v54, vcc
	v_lshrrev_b32_e32 v2, s68, v2
	v_and_b32_e32 v3, s9, v2
	v_mul_lo_u32 v2, v3, 20
	; wave barrier
	v_lshl_add_u32 v17, v19, 2, v2
	v_and_b32_e32 v2, 1, v3
	v_add_co_u32_e32 v4, vcc, -1, v2
	v_addc_co_u32_e64 v19, s[0:1], 0, -1, vcc
	v_cmp_ne_u32_e32 vcc, 0, v2
	v_xor_b32_e32 v2, vcc_hi, v19
	v_and_b32_e32 v19, exec_hi, v2
	v_lshlrev_b32_e32 v2, 30, v3
	v_xor_b32_e32 v4, vcc_lo, v4
	v_cmp_gt_i64_e32 vcc, 0, v[1:2]
	v_not_b32_e32 v2, v2
	v_ashrrev_i32_e32 v2, 31, v2
	v_and_b32_e32 v4, exec_lo, v4
	v_xor_b32_e32 v52, vcc_hi, v2
	v_xor_b32_e32 v2, vcc_lo, v2
	v_and_b32_e32 v4, v4, v2
	v_lshlrev_b32_e32 v2, 29, v3
	v_cmp_gt_i64_e32 vcc, 0, v[1:2]
	v_not_b32_e32 v2, v2
	v_ashrrev_i32_e32 v2, 31, v2
	v_and_b32_e32 v19, v19, v52
	v_xor_b32_e32 v52, vcc_hi, v2
	v_xor_b32_e32 v2, vcc_lo, v2
	v_and_b32_e32 v4, v4, v2
	v_lshlrev_b32_e32 v2, 28, v3
	v_cmp_gt_i64_e32 vcc, 0, v[1:2]
	v_not_b32_e32 v2, v2
	v_ashrrev_i32_e32 v2, 31, v2
	v_and_b32_e32 v19, v19, v52
	;; [unrolled: 8-line block ×5, first 2 shown]
	v_xor_b32_e32 v52, vcc_hi, v2
	v_xor_b32_e32 v2, vcc_lo, v2
	v_and_b32_e32 v4, v4, v2
	v_lshlrev_b32_e32 v2, 24, v3
	v_cmp_gt_i64_e32 vcc, 0, v[1:2]
	v_not_b32_e32 v1, v2
	v_ashrrev_i32_e32 v1, 31, v1
	v_xor_b32_e32 v2, vcc_hi, v1
	v_xor_b32_e32 v1, vcc_lo, v1
	ds_read_b32 v56, v17 offset:16
	v_and_b32_e32 v19, v19, v52
	v_and_b32_e32 v1, v4, v1
	;; [unrolled: 1-line block ×3, first 2 shown]
	v_mbcnt_lo_u32_b32 v3, v1, 0
	v_mbcnt_hi_u32_b32 v57, v2, v3
	v_cmp_ne_u64_e32 vcc, 0, v[1:2]
	v_cmp_eq_u32_e64 s[0:1], 0, v57
	s_and_b64 s[2:3], vcc, s[0:1]
	; wave barrier
	s_and_saveexec_b64 s[0:1], s[2:3]
	s_cbranch_execz .LBB132_177
; %bb.176:
	v_bcnt_u32_b32 v1, v1, 0
	v_bcnt_u32_b32 v1, v2, v1
	s_waitcnt lgkmcnt(0)
	v_add_u32_e32 v1, v56, v1
	ds_write_b32 v17, v1 offset:16
.LBB132_177:
	s_or_b64 exec, exec, s[0:1]
	; wave barrier
	s_waitcnt lgkmcnt(0)
	s_barrier
	ds_read2_b32 v[3:4], v6 offset0:4 offset1:5
	ds_read2_b32 v[1:2], v6 offset0:6 offset1:7
	ds_read_b32 v19, v6 offset:32
	v_min_u32_e32 v9, 0xc0, v9
	v_or_b32_e32 v9, 63, v9
	s_waitcnt lgkmcnt(1)
	v_add3_u32 v52, v4, v3, v1
	s_waitcnt lgkmcnt(0)
	v_add3_u32 v19, v52, v2, v19
	v_and_b32_e32 v52, 15, v8
	v_cmp_ne_u32_e32 vcc, 0, v52
	v_mov_b32_dpp v58, v19 row_shr:1 row_mask:0xf bank_mask:0xf
	v_cndmask_b32_e32 v58, 0, v58, vcc
	v_add_u32_e32 v19, v58, v19
	v_cmp_lt_u32_e32 vcc, 1, v52
	s_nop 0
	v_mov_b32_dpp v58, v19 row_shr:2 row_mask:0xf bank_mask:0xf
	v_cndmask_b32_e32 v58, 0, v58, vcc
	v_add_u32_e32 v19, v19, v58
	v_cmp_lt_u32_e32 vcc, 3, v52
	s_nop 0
	;; [unrolled: 5-line block ×3, first 2 shown]
	v_mov_b32_dpp v58, v19 row_shr:8 row_mask:0xf bank_mask:0xf
	v_cndmask_b32_e32 v52, 0, v58, vcc
	v_add_u32_e32 v19, v19, v52
	v_bfe_i32 v58, v8, 4, 1
	v_cmp_lt_u32_e32 vcc, 31, v8
	v_mov_b32_dpp v52, v19 row_bcast:15 row_mask:0xf bank_mask:0xf
	v_and_b32_e32 v52, v58, v52
	v_add_u32_e32 v19, v19, v52
	v_lshrrev_b32_e32 v58, 6, v0
	s_nop 0
	v_mov_b32_dpp v52, v19 row_bcast:31 row_mask:0xf bank_mask:0xf
	v_cndmask_b32_e32 v52, 0, v52, vcc
	v_add_u32_e32 v19, v19, v52
	v_cmp_eq_u32_e32 vcc, v0, v9
	s_and_saveexec_b64 s[0:1], vcc
; %bb.178:
	v_lshlrev_b32_e32 v9, 2, v58
	ds_write_b32 v9, v19
; %bb.179:
	s_or_b64 exec, exec, s[0:1]
	v_cmp_gt_u32_e32 vcc, 4, v0
	v_lshlrev_b32_e32 v52, 2, v0
	s_waitcnt lgkmcnt(0)
	s_barrier
	s_and_saveexec_b64 s[0:1], vcc
	s_cbranch_execz .LBB132_181
; %bb.180:
	ds_read_b32 v9, v52
	v_and_b32_e32 v59, 3, v8
	v_cmp_ne_u32_e32 vcc, 0, v59
	s_waitcnt lgkmcnt(0)
	v_mov_b32_dpp v60, v9 row_shr:1 row_mask:0xf bank_mask:0xf
	v_cndmask_b32_e32 v60, 0, v60, vcc
	v_add_u32_e32 v9, v60, v9
	v_cmp_lt_u32_e32 vcc, 1, v59
	s_nop 0
	v_mov_b32_dpp v60, v9 row_shr:2 row_mask:0xf bank_mask:0xf
	v_cndmask_b32_e32 v59, 0, v60, vcc
	v_add_u32_e32 v9, v9, v59
	ds_write_b32 v52, v9
.LBB132_181:
	s_or_b64 exec, exec, s[0:1]
	v_cmp_lt_u32_e32 vcc, 63, v0
	v_mov_b32_e32 v9, 0
	s_waitcnt lgkmcnt(0)
	s_barrier
	s_and_saveexec_b64 s[0:1], vcc
; %bb.182:
	v_lshl_add_u32 v9, v58, 2, -4
	ds_read_b32 v9, v9
; %bb.183:
	s_or_b64 exec, exec, s[0:1]
	v_add_u32_e32 v58, -1, v8
	v_and_b32_e32 v59, 64, v8
	v_cmp_lt_i32_e32 vcc, v58, v59
	v_cndmask_b32_e32 v58, v58, v8, vcc
	s_waitcnt lgkmcnt(0)
	v_add_u32_e32 v19, v9, v19
	v_lshlrev_b32_e32 v58, 2, v58
	ds_bpermute_b32 v19, v58, v19
	v_cmp_eq_u32_e32 vcc, 0, v8
	s_movk_i32 s0, 0x100
	s_waitcnt lgkmcnt(0)
	v_cndmask_b32_e32 v9, v19, v9, vcc
	v_cmp_ne_u32_e32 vcc, 0, v0
	v_cndmask_b32_e32 v9, 0, v9, vcc
	v_add_u32_e32 v3, v9, v3
	v_add_u32_e32 v4, v3, v4
	;; [unrolled: 1-line block ×4, first 2 shown]
	ds_write2_b32 v6, v9, v3 offset0:4 offset1:5
	ds_write2_b32 v6, v4, v1 offset0:6 offset1:7
	ds_write_b32 v6, v2 offset:32
	s_waitcnt lgkmcnt(0)
	s_barrier
	ds_read_b32 v2, v43 offset:16
	ds_read_b32 v3, v46 offset:16
	;; [unrolled: 1-line block ×13, first 2 shown]
	v_add_u32_e32 v6, 1, v0
	v_cmp_ne_u32_e32 vcc, s0, v6
	v_mov_b32_e32 v1, 0xc00
	s_and_saveexec_b64 s[0:1], vcc
; %bb.184:
	v_mul_u32_u24_e32 v1, 20, v6
	ds_read_b32 v1, v1 offset:16
; %bb.185:
	s_or_b64 exec, exec, s[0:1]
	s_waitcnt lgkmcnt(7)
	v_add_u32_e32 v28, v10, v11
	s_waitcnt lgkmcnt(6)
	v_add3_u32 v25, v15, v13, v14
	s_waitcnt lgkmcnt(5)
	v_add3_u32 v23, v22, v18, v17
	v_add3_u32 v17, v44, v42, v2
	v_lshlrev_b32_e32 v2, 2, v28
	s_waitcnt lgkmcnt(0)
	s_barrier
	ds_write_b32 v2, v5 offset:2048
	v_lshlrev_b32_e32 v2, 2, v25
	v_add3_u32 v22, v26, v24, v19
	ds_write_b32 v2, v12 offset:2048
	v_lshlrev_b32_e32 v2, 2, v23
	v_add3_u32 v20, v32, v29, v20
	;; [unrolled: 3-line block ×4, first 2 shown]
	ds_write_b32 v2, v27 offset:2048
	v_lshlrev_b32_e32 v2, 2, v19
	ds_write_b32 v2, v31 offset:2048
	v_lshlrev_b32_e32 v2, 2, v18
	v_add3_u32 v15, v48, v45, v3
	ds_write_b32 v2, v36 offset:2048
	v_lshlrev_b32_e32 v2, 2, v17
	v_add3_u32 v14, v51, v49, v4
	;; [unrolled: 3-line block ×4, first 2 shown]
	ds_write_b32 v2, v47 offset:2048
	v_lshlrev_b32_e32 v2, 2, v13
	ds_write_b32 v2, v50 offset:2048
	v_lshlrev_b32_e32 v2, 2, v11
	v_lshl_or_b32 v3, s6, 8, v0
	v_mov_b32_e32 v4, 0
	ds_write_b32 v2, v54 offset:2048
	v_sub_u32_e32 v10, v1, v9
	v_lshlrev_b64 v[1:2], 2, v[3:4]
	v_mov_b32_e32 v12, s73
	v_add_co_u32_e32 v1, vcc, s72, v1
	v_addc_co_u32_e32 v2, vcc, v12, v2, vcc
	v_or_b32_e32 v3, 2.0, v10
	s_mov_b64 s[0:1], 0
	s_brev_b32 s10, -4
	v_mov_b32_e32 v16, 0
	s_waitcnt lgkmcnt(0)
	s_barrier
	global_store_dword v[1:2], v3, off
                                        ; implicit-def: $sgpr2_sgpr3
	s_branch .LBB132_188
.LBB132_186:                            ;   in Loop: Header=BB132_188 Depth=1
	s_or_b64 exec, exec, s[4:5]
.LBB132_187:                            ;   in Loop: Header=BB132_188 Depth=1
	s_or_b64 exec, exec, s[2:3]
	v_and_b32_e32 v5, 0x3fffffff, v3
	v_add_u32_e32 v16, v5, v16
	v_cmp_gt_i32_e64 s[2:3], -2.0, v3
	s_and_b64 s[4:5], exec, s[2:3]
	s_or_b64 s[0:1], s[4:5], s[0:1]
	s_andn2_b64 exec, exec, s[0:1]
	s_cbranch_execz .LBB132_193
.LBB132_188:                            ; =>This Loop Header: Depth=1
                                        ;     Child Loop BB132_191 Depth 2
	s_or_b64 s[2:3], s[2:3], exec
	s_cmp_eq_u32 s7, 0
	s_cbranch_scc1 .LBB132_192
; %bb.189:                              ;   in Loop: Header=BB132_188 Depth=1
	s_add_i32 s7, s7, -1
	v_lshl_or_b32 v3, s7, 8, v0
	v_lshlrev_b64 v[5:6], 2, v[3:4]
	v_add_co_u32_e32 v5, vcc, s72, v5
	v_addc_co_u32_e32 v6, vcc, v12, v6, vcc
	global_load_dword v3, v[5:6], off glc
	s_waitcnt vmcnt(0)
	v_cmp_gt_u32_e32 vcc, 2.0, v3
	s_and_saveexec_b64 s[2:3], vcc
	s_cbranch_execz .LBB132_187
; %bb.190:                              ;   in Loop: Header=BB132_188 Depth=1
	s_mov_b64 s[4:5], 0
.LBB132_191:                            ;   Parent Loop BB132_188 Depth=1
                                        ; =>  This Inner Loop Header: Depth=2
	global_load_dword v3, v[5:6], off glc
	s_waitcnt vmcnt(0)
	v_cmp_lt_u32_e32 vcc, s10, v3
	s_or_b64 s[4:5], vcc, s[4:5]
	s_andn2_b64 exec, exec, s[4:5]
	s_cbranch_execnz .LBB132_191
	s_branch .LBB132_186
.LBB132_192:                            ;   in Loop: Header=BB132_188 Depth=1
                                        ; implicit-def: $sgpr7
	s_and_b64 s[4:5], exec, s[2:3]
	s_or_b64 s[0:1], s[4:5], s[0:1]
	s_andn2_b64 exec, exec, s[0:1]
	s_cbranch_execnz .LBB132_188
.LBB132_193:
	s_or_b64 exec, exec, s[0:1]
	v_add_u32_e32 v4, v16, v10
	v_or_b32_e32 v4, 0x80000000, v4
	v_lshlrev_b32_e32 v3, 3, v0
	global_store_dword v[1:2], v4, off
	global_load_dwordx2 v[1:2], v3, s[64:65]
	v_sub_co_u32_e32 v4, vcc, v16, v9
	v_subb_co_u32_e64 v5, s[2:3], 0, 0, vcc
	v_sub_u32_e32 v21, v3, v52
	s_brev_b32 s0, 1
	v_bfrev_b32_e32 v12, -2
	v_mov_b32_e32 v6, s59
	v_mov_b32_e32 v16, s59
	;; [unrolled: 1-line block ×4, first 2 shown]
	v_or_b32_e32 v65, 0x500, v0
	v_or_b32_e32 v66, 0x600, v0
	;; [unrolled: 1-line block ×3, first 2 shown]
	v_lshlrev_b32_e32 v7, 3, v7
	v_or_b32_e32 v68, 0x800, v0
	v_lshlrev_b32_e32 v55, 2, v68
	s_waitcnt vmcnt(0)
	v_add_co_u32_e32 v1, vcc, v4, v1
	v_addc_co_u32_e32 v2, vcc, v5, v2, vcc
	ds_write_b64 v3, v[1:2]
	s_waitcnt lgkmcnt(0)
	s_barrier
	ds_read2st64_b32 v[1:2], v21 offset0:8 offset1:12
	ds_read2st64_b32 v[4:5], v21 offset0:16 offset1:20
	;; [unrolled: 1-line block ×3, first 2 shown]
	s_waitcnt lgkmcnt(2)
	v_cmp_ne_u32_e32 vcc, s0, v1
	v_cndmask_b32_e32 v29, v12, v1, vcc
	v_cmp_gt_i32_e32 vcc, 0, v1
	v_cndmask_b32_e64 v30, v12, 0, vcc
	v_cmp_ne_u32_e32 vcc, s0, v2
	v_cndmask_b32_e32 v31, v12, v2, vcc
	v_cmp_gt_i32_e32 vcc, 0, v2
	v_cndmask_b32_e64 v32, v12, 0, vcc
	s_waitcnt lgkmcnt(1)
	v_cmp_ne_u32_e32 vcc, s0, v4
	v_cndmask_b32_e32 v33, v12, v4, vcc
	v_cmp_gt_i32_e32 vcc, 0, v4
	v_cndmask_b32_e64 v34, v12, 0, vcc
	v_cmp_ne_u32_e32 vcc, s0, v5
	v_cndmask_b32_e32 v36, v12, v5, vcc
	v_lshrrev_b32_e32 v29, s68, v29
	v_xor_b32_e32 v38, v30, v1
	v_lshrrev_b32_e32 v1, s68, v31
	v_xor_b32_e32 v39, v32, v2
	;; [unrolled: 2-line block ×3, first 2 shown]
	v_lshrrev_b32_e32 v4, s68, v36
	v_and_b32_e32 v29, s9, v29
	v_and_b32_e32 v1, s9, v1
	;; [unrolled: 1-line block ×4, first 2 shown]
	v_lshlrev_b32_e32 v57, 3, v29
	v_lshlrev_b32_e32 v58, 3, v1
	v_lshlrev_b32_e32 v59, 3, v2
	v_lshlrev_b32_e32 v60, 3, v4
	ds_read_b64 v[1:2], v57
	ds_read_b64 v[29:30], v58
	;; [unrolled: 1-line block ×4, first 2 shown]
	v_cmp_gt_i32_e32 vcc, 0, v5
	s_waitcnt lgkmcnt(3)
	v_lshlrev_b64 v[1:2], 2, v[1:2]
	v_cndmask_b32_e64 v37, v12, 0, vcc
	v_xor_b32_e32 v36, v37, v5
	s_waitcnt lgkmcnt(2)
	v_lshlrev_b64 v[4:5], 2, v[29:30]
	v_add_co_u32_e32 v1, vcc, s58, v1
	v_addc_co_u32_e32 v2, vcc, v6, v2, vcc
	s_waitcnt lgkmcnt(1)
	v_lshlrev_b64 v[29:30], 2, v[31:32]
	v_add_co_u32_e32 v4, vcc, s58, v4
	v_addc_co_u32_e32 v5, vcc, v16, v5, vcc
	;; [unrolled: 4-line block ×3, first 2 shown]
	v_add_co_u32_e32 v24, vcc, s58, v31
	v_addc_co_u32_e32 v32, vcc, v35, v32, vcc
	v_add_co_u32_e32 v1, vcc, v1, v52
	v_addc_co_u32_e32 v2, vcc, 0, v2, vcc
	v_add_co_u32_e32 v4, vcc, v4, v52
	v_addc_co_u32_e32 v5, vcc, 0, v5, vcc
	v_add_co_u32_e32 v29, vcc, v6, v52
	v_addc_co_u32_e32 v30, vcc, 0, v16, vcc
	v_add_co_u32_e32 v31, vcc, v24, v52
	v_addc_co_u32_e32 v32, vcc, 0, v32, vcc
	v_cmp_ne_u32_e32 vcc, s0, v26
	global_store_dword v[1:2], v38, off
	global_store_dword v[4:5], v39, off offset:1024
	global_store_dword v[29:30], v40, off offset:2048
	;; [unrolled: 1-line block ×3, first 2 shown]
	v_cndmask_b32_e32 v1, v12, v26, vcc
	v_lshrrev_b32_e32 v1, s68, v1
	v_and_b32_e32 v1, s9, v1
	v_cmp_gt_i32_e32 vcc, 0, v26
	v_cndmask_b32_e64 v2, v12, 0, vcc
	v_lshlrev_b32_e32 v61, 3, v1
	v_xor_b32_e32 v6, v2, v26
	ds_read_b64 v[1:2], v61
	ds_read2st64_b32 v[4:5], v21 offset0:32 offset1:36
	v_cmp_ne_u32_e32 vcc, s0, v27
	v_cndmask_b32_e32 v16, v12, v27, vcc
	v_lshrrev_b32_e32 v16, s68, v16
	v_and_b32_e32 v16, s9, v16
	s_waitcnt lgkmcnt(0)
	v_cmp_ne_u32_e32 vcc, s0, v4
	v_lshlrev_b32_e32 v62, 3, v16
	v_cndmask_b32_e32 v16, v12, v4, vcc
	v_lshrrev_b32_e32 v16, s68, v16
	v_and_b32_e32 v16, s9, v16
	v_cmp_ne_u32_e32 vcc, s0, v5
	v_lshlrev_b32_e32 v63, 3, v16
	v_cndmask_b32_e32 v16, v12, v5, vcc
	v_lshrrev_b32_e32 v16, s68, v16
	v_lshlrev_b64 v[1:2], 2, v[1:2]
	v_and_b32_e32 v16, s9, v16
	v_or_b32_e32 v24, 0x400, v0
	v_lshlrev_b32_e32 v64, 3, v16
	v_mov_b32_e32 v16, s59
	v_add_co_u32_e32 v1, vcc, s58, v1
	v_addc_co_u32_e32 v2, vcc, v16, v2, vcc
	v_lshlrev_b32_e32 v16, 2, v24
	v_add_co_u32_e32 v1, vcc, v1, v16
	ds_read_b64 v[29:30], v62
	ds_read_b64 v[31:32], v63
	;; [unrolled: 1-line block ×3, first 2 shown]
	v_addc_co_u32_e32 v2, vcc, 0, v2, vcc
	v_cmp_gt_i32_e32 vcc, 0, v27
	global_store_dword v[1:2], v6, off
	v_cndmask_b32_e64 v1, v12, 0, vcc
	v_xor_b32_e32 v6, v1, v27
	s_waitcnt lgkmcnt(2)
	v_lshlrev_b64 v[1:2], 2, v[29:30]
	v_mov_b32_e32 v16, s59
	v_add_co_u32_e32 v1, vcc, s58, v1
	v_addc_co_u32_e32 v2, vcc, v16, v2, vcc
	v_lshlrev_b32_e32 v16, 2, v65
	v_add_co_u32_e32 v1, vcc, v1, v16
	v_addc_co_u32_e32 v2, vcc, 0, v2, vcc
	v_cmp_gt_i32_e32 vcc, 0, v4
	global_store_dword v[1:2], v6, off
	v_cndmask_b32_e64 v1, v12, 0, vcc
	v_xor_b32_e32 v4, v1, v4
	s_waitcnt lgkmcnt(1)
	v_lshlrev_b64 v[1:2], 2, v[31:32]
	v_mov_b32_e32 v6, s59
	v_add_co_u32_e32 v1, vcc, s58, v1
	v_addc_co_u32_e32 v2, vcc, v6, v2, vcc
	v_lshlrev_b32_e32 v6, 2, v66
	v_add_co_u32_e32 v1, vcc, v1, v6
	v_addc_co_u32_e32 v2, vcc, 0, v2, vcc
	v_cmp_gt_i32_e32 vcc, 0, v5
	global_store_dword v[1:2], v4, off
	v_cndmask_b32_e64 v1, v12, 0, vcc
	v_xor_b32_e32 v6, v1, v5
	s_waitcnt lgkmcnt(0)
	v_lshlrev_b64 v[1:2], 2, v[33:34]
	v_mov_b32_e32 v4, s59
	v_add_co_u32_e32 v5, vcc, s58, v1
	v_addc_co_u32_e32 v16, vcc, v4, v2, vcc
	ds_read2st64_b32 v[1:2], v21 offset0:40 offset1:44
	v_lshlrev_b32_e32 v4, 2, v67
	v_add_co_u32_e32 v4, vcc, v5, v4
	v_addc_co_u32_e32 v5, vcc, 0, v16, vcc
	s_waitcnt lgkmcnt(0)
	v_cmp_ne_u32_e32 vcc, s0, v1
	global_store_dword v[4:5], v6, off
	v_cndmask_b32_e32 v4, v12, v1, vcc
	v_lshrrev_b32_e32 v4, s68, v4
	v_and_b32_e32 v4, s9, v4
	v_cmp_gt_i32_e32 vcc, 0, v1
	v_cndmask_b32_e64 v5, v12, 0, vcc
	v_lshlrev_b32_e32 v69, 3, v4
	v_xor_b32_e32 v1, v5, v1
	ds_read_b64 v[4:5], v69
	ds_read2st64_b32 v[26:27], v21 offset0:48 offset1:52
	v_cmp_ne_u32_e32 vcc, s0, v2
	v_cndmask_b32_e32 v6, v12, v2, vcc
	v_lshrrev_b32_e32 v6, s68, v6
	v_and_b32_e32 v6, s9, v6
	s_waitcnt lgkmcnt(0)
	v_cmp_ne_u32_e32 vcc, s0, v26
	v_lshlrev_b32_e32 v21, 3, v6
	v_cndmask_b32_e32 v6, v12, v26, vcc
	v_lshrrev_b32_e32 v6, s68, v6
	v_and_b32_e32 v6, s9, v6
	v_cmp_ne_u32_e32 vcc, s0, v27
	v_lshlrev_b32_e32 v70, 3, v6
	v_cndmask_b32_e32 v6, v12, v27, vcc
	v_lshrrev_b32_e32 v6, s68, v6
	s_lshl_b64 s[0:1], s[54:55], 3
	v_and_b32_e32 v6, s9, v6
	s_add_u32 s0, s60, s0
	v_lshlrev_b32_e32 v71, 3, v6
	s_addc_u32 s1, s61, s1
	v_lshlrev_b32_e32 v6, 3, v8
	v_mov_b32_e32 v8, s1
	v_add_co_u32_e32 v6, vcc, s0, v6
	v_addc_co_u32_e32 v8, vcc, 0, v8, vcc
	v_add_co_u32_e32 v6, vcc, v6, v7
	v_addc_co_u32_e32 v7, vcc, 0, v8, vcc
	ds_read_b64 v[29:30], v21
	ds_read_b64 v[31:32], v70
	;; [unrolled: 1-line block ×3, first 2 shown]
	global_load_dwordx2 v[35:36], v[6:7], off
	s_movk_i32 s0, 0x1000
	v_lshlrev_b64 v[4:5], 2, v[4:5]
	global_load_dwordx2 v[37:38], v[6:7], off offset:512
	global_load_dwordx2 v[39:40], v[6:7], off offset:1024
	global_load_dwordx2 v[41:42], v[6:7], off offset:1536
	global_load_dwordx2 v[43:44], v[6:7], off offset:2048
	global_load_dwordx2 v[45:46], v[6:7], off offset:2560
	global_load_dwordx2 v[47:48], v[6:7], off offset:3072
	global_load_dwordx2 v[49:50], v[6:7], off offset:3584
	v_add_co_u32_e32 v6, vcc, s0, v6
	v_addc_co_u32_e32 v7, vcc, 0, v7, vcc
	v_mov_b32_e32 v8, s59
	global_load_dwordx2 v[51:52], v[6:7], off
	global_load_dwordx2 v[53:54], v[6:7], off offset:512
	v_add_co_u32_e32 v16, vcc, s58, v4
	v_addc_co_u32_e32 v8, vcc, v8, v5, vcc
	global_load_dwordx2 v[4:5], v[6:7], off offset:1024
	v_add_co_u32_e32 v55, vcc, v16, v55
	global_load_dwordx2 v[6:7], v[6:7], off offset:1536
	v_addc_co_u32_e32 v56, vcc, 0, v8, vcc
	v_cmp_gt_i32_e32 vcc, 0, v2
	global_store_dword v[55:56], v1, off
	v_cndmask_b32_e64 v1, v12, 0, vcc
	v_xor_b32_e32 v16, v1, v2
	s_waitcnt lgkmcnt(2)
	v_lshlrev_b64 v[1:2], 2, v[29:30]
	v_or_b32_e32 v8, 0x900, v0
	v_mov_b32_e32 v29, s59
	v_add_co_u32_e32 v1, vcc, s58, v1
	v_addc_co_u32_e32 v2, vcc, v29, v2, vcc
	v_lshlrev_b32_e32 v29, 2, v8
	v_add_co_u32_e32 v1, vcc, v1, v29
	v_addc_co_u32_e32 v2, vcc, 0, v2, vcc
	v_cmp_gt_i32_e32 vcc, 0, v26
	global_store_dword v[1:2], v16, off
	v_cndmask_b32_e64 v1, v12, 0, vcc
	v_xor_b32_e32 v16, v1, v26
	s_waitcnt lgkmcnt(1)
	v_lshlrev_b64 v[1:2], 2, v[31:32]
	v_or_b32_e32 v29, 0xa00, v0
	v_mov_b32_e32 v26, s59
	v_add_co_u32_e32 v1, vcc, s58, v1
	v_addc_co_u32_e32 v2, vcc, v26, v2, vcc
	v_lshlrev_b32_e32 v26, 2, v29
	v_add_co_u32_e32 v1, vcc, v1, v26
	v_addc_co_u32_e32 v2, vcc, 0, v2, vcc
	v_cmp_gt_i32_e32 vcc, 0, v27
	global_store_dword v[1:2], v16, off
	v_or_b32_e32 v2, 0xb00, v0
	v_cndmask_b32_e64 v0, v12, 0, vcc
	v_xor_b32_e32 v12, v0, v27
	s_waitcnt lgkmcnt(0)
	v_lshlrev_b64 v[0:1], 2, v[33:34]
	v_mov_b32_e32 v16, s59
	v_add_co_u32_e32 v0, vcc, s58, v0
	v_addc_co_u32_e32 v1, vcc, v16, v1, vcc
	v_lshlrev_b32_e32 v16, 2, v2
	v_add_co_u32_e32 v0, vcc, v0, v16
	v_addc_co_u32_e32 v1, vcc, 0, v1, vcc
	global_store_dword v[0:1], v12, off
	v_lshlrev_b32_e32 v0, 3, v28
	s_waitcnt vmcnt(0)
	s_barrier
	v_lshlrev_b32_e32 v2, 3, v2
	s_add_i32 s8, s8, -1
	s_cmp_lg_u32 s6, s8
	ds_write_b64 v0, v[35:36] offset:2048
	v_lshlrev_b32_e32 v0, 3, v25
	ds_write_b64 v0, v[37:38] offset:2048
	v_lshlrev_b32_e32 v0, 3, v23
	;; [unrolled: 2-line block ×11, first 2 shown]
	ds_write_b64 v0, v[6:7] offset:2048
	s_waitcnt lgkmcnt(0)
	s_barrier
	ds_read_b64 v[0:1], v57
	ds_read2st64_b64 v[4:7], v3 offset0:4 offset1:8
	ds_read_b64 v[11:12], v58
	ds_read_b64 v[13:14], v59
	ds_read_b64 v[15:16], v60
	s_waitcnt lgkmcnt(4)
	v_lshlrev_b64 v[0:1], 3, v[0:1]
	v_mov_b32_e32 v17, s63
	v_add_co_u32_e32 v0, vcc, s62, v0
	v_addc_co_u32_e32 v1, vcc, v17, v1, vcc
	v_add_co_u32_e32 v0, vcc, v0, v3
	v_addc_co_u32_e32 v1, vcc, 0, v1, vcc
	s_waitcnt lgkmcnt(3)
	global_store_dwordx2 v[0:1], v[4:5], off
	s_waitcnt lgkmcnt(2)
	v_lshlrev_b64 v[0:1], 3, v[11:12]
	v_mov_b32_e32 v4, s63
	v_add_co_u32_e32 v0, vcc, s62, v0
	v_addc_co_u32_e32 v1, vcc, v4, v1, vcc
	v_add_co_u32_e32 v0, vcc, v0, v3
	v_addc_co_u32_e32 v1, vcc, 0, v1, vcc
	global_store_dwordx2 v[0:1], v[6:7], off offset:2048
	s_waitcnt lgkmcnt(1)
	v_lshlrev_b64 v[0:1], 3, v[13:14]
	ds_read2st64_b64 v[4:7], v3 offset0:12 offset1:16
	v_mov_b32_e32 v11, s63
	v_add_co_u32_e32 v0, vcc, s62, v0
	v_addc_co_u32_e32 v1, vcc, v11, v1, vcc
	v_or_b32_e32 v11, 0x1000, v3
	v_add_co_u32_e32 v0, vcc, v0, v11
	v_addc_co_u32_e32 v1, vcc, 0, v1, vcc
	s_waitcnt lgkmcnt(0)
	global_store_dwordx2 v[0:1], v[4:5], off
	v_lshlrev_b64 v[0:1], 3, v[15:16]
	v_mov_b32_e32 v4, s63
	v_add_co_u32_e32 v0, vcc, s62, v0
	v_addc_co_u32_e32 v1, vcc, v4, v1, vcc
	v_or_b32_e32 v4, 0x1800, v3
	v_add_co_u32_e32 v0, vcc, v0, v4
	v_addc_co_u32_e32 v1, vcc, 0, v1, vcc
	global_store_dwordx2 v[0:1], v[6:7], off
	ds_read_b64 v[0:1], v61
	ds_read2st64_b64 v[4:7], v3 offset0:20 offset1:24
	ds_read_b64 v[11:12], v62
	ds_read_b64 v[13:14], v63
	ds_read_b64 v[15:16], v64
	s_waitcnt lgkmcnt(4)
	v_lshlrev_b64 v[0:1], 3, v[0:1]
	v_add_co_u32_e32 v0, vcc, s62, v0
	v_addc_co_u32_e32 v1, vcc, v17, v1, vcc
	v_lshlrev_b32_e32 v17, 3, v24
	v_add_co_u32_e32 v0, vcc, v0, v17
	v_addc_co_u32_e32 v1, vcc, 0, v1, vcc
	s_waitcnt lgkmcnt(3)
	global_store_dwordx2 v[0:1], v[4:5], off
	s_waitcnt lgkmcnt(2)
	v_lshlrev_b64 v[0:1], 3, v[11:12]
	v_mov_b32_e32 v4, s63
	v_add_co_u32_e32 v0, vcc, s62, v0
	v_addc_co_u32_e32 v1, vcc, v4, v1, vcc
	v_lshlrev_b32_e32 v4, 3, v65
	v_add_co_u32_e32 v0, vcc, v0, v4
	v_addc_co_u32_e32 v1, vcc, 0, v1, vcc
	global_store_dwordx2 v[0:1], v[6:7], off
	s_waitcnt lgkmcnt(1)
	v_lshlrev_b64 v[0:1], 3, v[13:14]
	ds_read2st64_b64 v[4:7], v3 offset0:28 offset1:32
	v_mov_b32_e32 v11, s63
	v_add_co_u32_e32 v0, vcc, s62, v0
	v_addc_co_u32_e32 v1, vcc, v11, v1, vcc
	v_lshlrev_b32_e32 v11, 3, v66
	v_add_co_u32_e32 v0, vcc, v0, v11
	v_addc_co_u32_e32 v1, vcc, 0, v1, vcc
	s_waitcnt lgkmcnt(0)
	global_store_dwordx2 v[0:1], v[4:5], off
	v_lshlrev_b64 v[0:1], 3, v[15:16]
	v_mov_b32_e32 v4, s63
	v_add_co_u32_e32 v0, vcc, s62, v0
	v_addc_co_u32_e32 v1, vcc, v4, v1, vcc
	v_lshlrev_b32_e32 v4, 3, v67
	v_add_co_u32_e32 v0, vcc, v0, v4
	v_addc_co_u32_e32 v1, vcc, 0, v1, vcc
	global_store_dwordx2 v[0:1], v[6:7], off
	ds_read_b64 v[0:1], v69
	ds_read2st64_b64 v[4:7], v3 offset0:36 offset1:40
	ds_read_b64 v[11:12], v21
	ds_read_b64 v[13:14], v70
	;; [unrolled: 1-line block ×3, first 2 shown]
	s_waitcnt lgkmcnt(4)
	v_lshlrev_b64 v[0:1], 3, v[0:1]
	v_mov_b32_e32 v17, s63
	v_add_co_u32_e32 v0, vcc, s62, v0
	v_addc_co_u32_e32 v1, vcc, v17, v1, vcc
	v_lshlrev_b32_e32 v17, 3, v68
	v_add_co_u32_e32 v0, vcc, v0, v17
	v_addc_co_u32_e32 v1, vcc, 0, v1, vcc
	s_waitcnt lgkmcnt(3)
	global_store_dwordx2 v[0:1], v[4:5], off
	s_waitcnt lgkmcnt(2)
	v_lshlrev_b64 v[0:1], 3, v[11:12]
	v_mov_b32_e32 v4, s63
	v_add_co_u32_e32 v0, vcc, s62, v0
	v_addc_co_u32_e32 v1, vcc, v4, v1, vcc
	v_lshlrev_b32_e32 v4, 3, v8
	v_add_co_u32_e32 v0, vcc, v0, v4
	v_addc_co_u32_e32 v1, vcc, 0, v1, vcc
	global_store_dwordx2 v[0:1], v[6:7], off
	s_waitcnt lgkmcnt(1)
	v_lshlrev_b64 v[0:1], 3, v[13:14]
	ds_read2st64_b64 v[4:7], v3 offset0:44 offset1:48
	v_mov_b32_e32 v8, s63
	v_add_co_u32_e32 v0, vcc, s62, v0
	v_addc_co_u32_e32 v1, vcc, v8, v1, vcc
	v_lshlrev_b32_e32 v8, 3, v29
	v_add_co_u32_e32 v0, vcc, v0, v8
	v_addc_co_u32_e32 v1, vcc, 0, v1, vcc
	s_waitcnt lgkmcnt(0)
	global_store_dwordx2 v[0:1], v[4:5], off
	v_lshlrev_b64 v[0:1], 3, v[15:16]
	v_mov_b32_e32 v4, s63
	v_add_co_u32_e32 v0, vcc, s62, v0
	v_addc_co_u32_e32 v1, vcc, v4, v1, vcc
	v_add_co_u32_e32 v0, vcc, v0, v2
	v_addc_co_u32_e32 v1, vcc, 0, v1, vcc
	global_store_dwordx2 v[0:1], v[6:7], off
	s_cbranch_scc1 .LBB132_195
; %bb.194:
	ds_read_b64 v[0:1], v3
	v_add_co_u32_e32 v2, vcc, v10, v9
	v_addc_co_u32_e64 v4, s[0:1], 0, 0, vcc
	s_waitcnt lgkmcnt(0)
	v_add_co_u32_e32 v0, vcc, v2, v0
	v_addc_co_u32_e32 v1, vcc, v4, v1, vcc
	global_store_dwordx2 v3, v[0:1], s[66:67]
.LBB132_195:
	s_endpgm
.LBB132_196:
	s_or_b64 exec, exec, s[0:1]
	s_and_saveexec_b64 s[0:1], s[26:27]
	s_cbranch_execz .LBB132_139
.LBB132_197:
	v_lshlrev_b32_e32 v3, 3, v60
	ds_read_b64 v[3:4], v3
	ds_read_b64 v[5:6], v32 offset:4096
	v_mov_b32_e32 v7, s63
	s_waitcnt lgkmcnt(1)
	v_lshlrev_b64 v[3:4], 3, v[3:4]
	v_add_co_u32_e32 v3, vcc, s62, v3
	v_addc_co_u32_e32 v4, vcc, v7, v4, vcc
	v_add_co_u32_e32 v3, vcc, v3, v32
	v_addc_co_u32_e32 v4, vcc, 0, v4, vcc
	s_waitcnt lgkmcnt(0)
	global_store_dwordx2 v[3:4], v[5:6], off offset:2048
	s_or_b64 exec, exec, s[0:1]
	s_and_saveexec_b64 s[0:1], s[28:29]
	s_cbranch_execnz .LBB132_140
.LBB132_198:
	s_or_b64 exec, exec, s[0:1]
	s_and_saveexec_b64 s[0:1], s[30:31]
	s_cbranch_execz .LBB132_141
.LBB132_199:
	v_lshlrev_b32_e32 v3, 3, v58
	ds_read_b64 v[3:4], v3
	ds_read_b64 v[5:6], v32 offset:8192
	v_mov_b32_e32 v7, s63
	s_waitcnt lgkmcnt(1)
	v_lshlrev_b64 v[3:4], 3, v[3:4]
	v_add_co_u32_e32 v3, vcc, s62, v3
	v_addc_co_u32_e32 v4, vcc, v7, v4, vcc
	v_lshlrev_b32_e32 v7, 3, v46
	v_add_co_u32_e32 v3, vcc, v3, v7
	v_addc_co_u32_e32 v4, vcc, 0, v4, vcc
	s_waitcnt lgkmcnt(0)
	global_store_dwordx2 v[3:4], v[5:6], off
	s_or_b64 exec, exec, s[0:1]
	s_and_saveexec_b64 s[0:1], s[34:35]
	s_cbranch_execnz .LBB132_142
.LBB132_200:
	s_or_b64 exec, exec, s[0:1]
	s_and_saveexec_b64 s[0:1], s[36:37]
	s_cbranch_execz .LBB132_143
.LBB132_201:
	v_lshlrev_b32_e32 v3, 3, v56
	ds_read_b64 v[3:4], v3
	ds_read_b64 v[5:6], v32 offset:12288
	v_mov_b32_e32 v7, s63
	s_waitcnt lgkmcnt(1)
	v_lshlrev_b64 v[3:4], 3, v[3:4]
	v_add_co_u32_e32 v3, vcc, s62, v3
	v_addc_co_u32_e32 v4, vcc, v7, v4, vcc
	v_lshlrev_b32_e32 v7, 3, v48
	v_add_co_u32_e32 v3, vcc, v3, v7
	v_addc_co_u32_e32 v4, vcc, 0, v4, vcc
	s_waitcnt lgkmcnt(0)
	global_store_dwordx2 v[3:4], v[5:6], off
	s_or_b64 exec, exec, s[0:1]
	s_and_saveexec_b64 s[0:1], s[38:39]
	s_cbranch_execnz .LBB132_144
.LBB132_202:
	s_or_b64 exec, exec, s[0:1]
	s_and_saveexec_b64 s[0:1], s[40:41]
	s_cbranch_execz .LBB132_145
.LBB132_203:
	v_lshlrev_b32_e32 v3, 3, v55
	ds_read_b64 v[3:4], v3
	ds_read_b64 v[5:6], v32 offset:16384
	v_mov_b32_e32 v7, s63
	s_waitcnt lgkmcnt(1)
	v_lshlrev_b64 v[3:4], 3, v[3:4]
	v_add_co_u32_e32 v3, vcc, s62, v3
	v_addc_co_u32_e32 v4, vcc, v7, v4, vcc
	v_lshlrev_b32_e32 v7, 3, v50
	v_add_co_u32_e32 v3, vcc, v3, v7
	v_addc_co_u32_e32 v4, vcc, 0, v4, vcc
	s_waitcnt lgkmcnt(0)
	global_store_dwordx2 v[3:4], v[5:6], off
	s_or_b64 exec, exec, s[0:1]
	s_and_saveexec_b64 s[0:1], s[42:43]
	s_cbranch_execnz .LBB132_146
.LBB132_204:
	s_or_b64 exec, exec, s[0:1]
	s_and_saveexec_b64 s[0:1], s[44:45]
	s_cbranch_execz .LBB132_147
.LBB132_205:
	v_lshlrev_b32_e32 v3, 3, v28
	ds_read_b64 v[3:4], v3
	ds_read_b64 v[5:6], v32 offset:20480
	v_mov_b32_e32 v7, s63
	s_waitcnt lgkmcnt(1)
	v_lshlrev_b64 v[3:4], 3, v[3:4]
	v_add_co_u32_e32 v3, vcc, s62, v3
	v_addc_co_u32_e32 v4, vcc, v7, v4, vcc
	v_lshlrev_b32_e32 v7, 3, v52
	v_add_co_u32_e32 v3, vcc, v3, v7
	v_addc_co_u32_e32 v4, vcc, 0, v4, vcc
	s_waitcnt lgkmcnt(0)
	global_store_dwordx2 v[3:4], v[5:6], off
	s_or_b64 exec, exec, s[0:1]
	s_and_saveexec_b64 s[0:1], s[46:47]
	s_cbranch_execnz .LBB132_148
.LBB132_206:
	s_or_b64 exec, exec, s[0:1]
	s_and_saveexec_b64 s[0:1], s[48:49]
	s_cbranch_execz .LBB132_149
.LBB132_207:
	v_lshlrev_b32_e32 v3, 3, v27
	ds_read_b64 v[3:4], v3
	ds_read_b64 v[5:6], v32 offset:24576
	v_mov_b32_e32 v7, s63
	s_waitcnt lgkmcnt(1)
	v_lshlrev_b64 v[3:4], 3, v[3:4]
	v_add_co_u32_e32 v3, vcc, s62, v3
	v_addc_co_u32_e32 v4, vcc, v7, v4, vcc
	v_lshlrev_b32_e32 v7, 3, v54
	v_add_co_u32_e32 v3, vcc, v3, v7
	v_addc_co_u32_e32 v4, vcc, 0, v4, vcc
	s_waitcnt lgkmcnt(0)
	global_store_dwordx2 v[3:4], v[5:6], off
	s_or_b64 exec, exec, s[0:1]
	s_add_i32 s33, s33, -1
	s_cmp_eq_u32 s6, s33
	s_cbranch_scc1 .LBB132_150
	s_branch .LBB132_151
	.section	.rodata,"a",@progbits
	.p2align	6, 0x0
	.amdhsa_kernel _ZN7rocprim17ROCPRIM_304000_NS6detail25onesweep_iteration_kernelINS1_34wrapped_radix_sort_onesweep_configINS0_14default_configEfN2at4cuda3cub6detail10OpaqueTypeILi8EEEEELb1EPfSC_PSA_SD_mNS0_19identity_decomposerEEEvT1_T2_T3_T4_jPT5_SK_PNS1_23onesweep_lookback_stateET6_jjj
		.amdhsa_group_segment_fixed_size 26624
		.amdhsa_private_segment_fixed_size 0
		.amdhsa_kernarg_size 336
		.amdhsa_user_sgpr_count 6
		.amdhsa_user_sgpr_private_segment_buffer 1
		.amdhsa_user_sgpr_dispatch_ptr 0
		.amdhsa_user_sgpr_queue_ptr 0
		.amdhsa_user_sgpr_kernarg_segment_ptr 1
		.amdhsa_user_sgpr_dispatch_id 0
		.amdhsa_user_sgpr_flat_scratch_init 0
		.amdhsa_user_sgpr_private_segment_size 0
		.amdhsa_uses_dynamic_stack 0
		.amdhsa_system_sgpr_private_segment_wavefront_offset 0
		.amdhsa_system_sgpr_workgroup_id_x 1
		.amdhsa_system_sgpr_workgroup_id_y 0
		.amdhsa_system_sgpr_workgroup_id_z 0
		.amdhsa_system_sgpr_workgroup_info 0
		.amdhsa_system_vgpr_workitem_id 2
		.amdhsa_next_free_vgpr 85
		.amdhsa_next_free_sgpr 98
		.amdhsa_reserve_vcc 1
		.amdhsa_reserve_flat_scratch 0
		.amdhsa_float_round_mode_32 0
		.amdhsa_float_round_mode_16_64 0
		.amdhsa_float_denorm_mode_32 3
		.amdhsa_float_denorm_mode_16_64 3
		.amdhsa_dx10_clamp 1
		.amdhsa_ieee_mode 1
		.amdhsa_fp16_overflow 0
		.amdhsa_exception_fp_ieee_invalid_op 0
		.amdhsa_exception_fp_denorm_src 0
		.amdhsa_exception_fp_ieee_div_zero 0
		.amdhsa_exception_fp_ieee_overflow 0
		.amdhsa_exception_fp_ieee_underflow 0
		.amdhsa_exception_fp_ieee_inexact 0
		.amdhsa_exception_int_div_zero 0
	.end_amdhsa_kernel
	.section	.text._ZN7rocprim17ROCPRIM_304000_NS6detail25onesweep_iteration_kernelINS1_34wrapped_radix_sort_onesweep_configINS0_14default_configEfN2at4cuda3cub6detail10OpaqueTypeILi8EEEEELb1EPfSC_PSA_SD_mNS0_19identity_decomposerEEEvT1_T2_T3_T4_jPT5_SK_PNS1_23onesweep_lookback_stateET6_jjj,"axG",@progbits,_ZN7rocprim17ROCPRIM_304000_NS6detail25onesweep_iteration_kernelINS1_34wrapped_radix_sort_onesweep_configINS0_14default_configEfN2at4cuda3cub6detail10OpaqueTypeILi8EEEEELb1EPfSC_PSA_SD_mNS0_19identity_decomposerEEEvT1_T2_T3_T4_jPT5_SK_PNS1_23onesweep_lookback_stateET6_jjj,comdat
.Lfunc_end132:
	.size	_ZN7rocprim17ROCPRIM_304000_NS6detail25onesweep_iteration_kernelINS1_34wrapped_radix_sort_onesweep_configINS0_14default_configEfN2at4cuda3cub6detail10OpaqueTypeILi8EEEEELb1EPfSC_PSA_SD_mNS0_19identity_decomposerEEEvT1_T2_T3_T4_jPT5_SK_PNS1_23onesweep_lookback_stateET6_jjj, .Lfunc_end132-_ZN7rocprim17ROCPRIM_304000_NS6detail25onesweep_iteration_kernelINS1_34wrapped_radix_sort_onesweep_configINS0_14default_configEfN2at4cuda3cub6detail10OpaqueTypeILi8EEEEELb1EPfSC_PSA_SD_mNS0_19identity_decomposerEEEvT1_T2_T3_T4_jPT5_SK_PNS1_23onesweep_lookback_stateET6_jjj
                                        ; -- End function
	.set _ZN7rocprim17ROCPRIM_304000_NS6detail25onesweep_iteration_kernelINS1_34wrapped_radix_sort_onesweep_configINS0_14default_configEfN2at4cuda3cub6detail10OpaqueTypeILi8EEEEELb1EPfSC_PSA_SD_mNS0_19identity_decomposerEEEvT1_T2_T3_T4_jPT5_SK_PNS1_23onesweep_lookback_stateET6_jjj.num_vgpr, 72
	.set _ZN7rocprim17ROCPRIM_304000_NS6detail25onesweep_iteration_kernelINS1_34wrapped_radix_sort_onesweep_configINS0_14default_configEfN2at4cuda3cub6detail10OpaqueTypeILi8EEEEELb1EPfSC_PSA_SD_mNS0_19identity_decomposerEEEvT1_T2_T3_T4_jPT5_SK_PNS1_23onesweep_lookback_stateET6_jjj.num_agpr, 0
	.set _ZN7rocprim17ROCPRIM_304000_NS6detail25onesweep_iteration_kernelINS1_34wrapped_radix_sort_onesweep_configINS0_14default_configEfN2at4cuda3cub6detail10OpaqueTypeILi8EEEEELb1EPfSC_PSA_SD_mNS0_19identity_decomposerEEEvT1_T2_T3_T4_jPT5_SK_PNS1_23onesweep_lookback_stateET6_jjj.numbered_sgpr, 75
	.set _ZN7rocprim17ROCPRIM_304000_NS6detail25onesweep_iteration_kernelINS1_34wrapped_radix_sort_onesweep_configINS0_14default_configEfN2at4cuda3cub6detail10OpaqueTypeILi8EEEEELb1EPfSC_PSA_SD_mNS0_19identity_decomposerEEEvT1_T2_T3_T4_jPT5_SK_PNS1_23onesweep_lookback_stateET6_jjj.num_named_barrier, 0
	.set _ZN7rocprim17ROCPRIM_304000_NS6detail25onesweep_iteration_kernelINS1_34wrapped_radix_sort_onesweep_configINS0_14default_configEfN2at4cuda3cub6detail10OpaqueTypeILi8EEEEELb1EPfSC_PSA_SD_mNS0_19identity_decomposerEEEvT1_T2_T3_T4_jPT5_SK_PNS1_23onesweep_lookback_stateET6_jjj.private_seg_size, 0
	.set _ZN7rocprim17ROCPRIM_304000_NS6detail25onesweep_iteration_kernelINS1_34wrapped_radix_sort_onesweep_configINS0_14default_configEfN2at4cuda3cub6detail10OpaqueTypeILi8EEEEELb1EPfSC_PSA_SD_mNS0_19identity_decomposerEEEvT1_T2_T3_T4_jPT5_SK_PNS1_23onesweep_lookback_stateET6_jjj.uses_vcc, 1
	.set _ZN7rocprim17ROCPRIM_304000_NS6detail25onesweep_iteration_kernelINS1_34wrapped_radix_sort_onesweep_configINS0_14default_configEfN2at4cuda3cub6detail10OpaqueTypeILi8EEEEELb1EPfSC_PSA_SD_mNS0_19identity_decomposerEEEvT1_T2_T3_T4_jPT5_SK_PNS1_23onesweep_lookback_stateET6_jjj.uses_flat_scratch, 0
	.set _ZN7rocprim17ROCPRIM_304000_NS6detail25onesweep_iteration_kernelINS1_34wrapped_radix_sort_onesweep_configINS0_14default_configEfN2at4cuda3cub6detail10OpaqueTypeILi8EEEEELb1EPfSC_PSA_SD_mNS0_19identity_decomposerEEEvT1_T2_T3_T4_jPT5_SK_PNS1_23onesweep_lookback_stateET6_jjj.has_dyn_sized_stack, 0
	.set _ZN7rocprim17ROCPRIM_304000_NS6detail25onesweep_iteration_kernelINS1_34wrapped_radix_sort_onesweep_configINS0_14default_configEfN2at4cuda3cub6detail10OpaqueTypeILi8EEEEELb1EPfSC_PSA_SD_mNS0_19identity_decomposerEEEvT1_T2_T3_T4_jPT5_SK_PNS1_23onesweep_lookback_stateET6_jjj.has_recursion, 0
	.set _ZN7rocprim17ROCPRIM_304000_NS6detail25onesweep_iteration_kernelINS1_34wrapped_radix_sort_onesweep_configINS0_14default_configEfN2at4cuda3cub6detail10OpaqueTypeILi8EEEEELb1EPfSC_PSA_SD_mNS0_19identity_decomposerEEEvT1_T2_T3_T4_jPT5_SK_PNS1_23onesweep_lookback_stateET6_jjj.has_indirect_call, 0
	.section	.AMDGPU.csdata,"",@progbits
; Kernel info:
; codeLenInByte = 20392
; TotalNumSgprs: 79
; NumVgprs: 72
; ScratchSize: 0
; MemoryBound: 0
; FloatMode: 240
; IeeeMode: 1
; LDSByteSize: 26624 bytes/workgroup (compile time only)
; SGPRBlocks: 12
; VGPRBlocks: 21
; NumSGPRsForWavesPerEU: 102
; NumVGPRsForWavesPerEU: 85
; Occupancy: 2
; WaveLimiterHint : 1
; COMPUTE_PGM_RSRC2:SCRATCH_EN: 0
; COMPUTE_PGM_RSRC2:USER_SGPR: 6
; COMPUTE_PGM_RSRC2:TRAP_HANDLER: 0
; COMPUTE_PGM_RSRC2:TGID_X_EN: 1
; COMPUTE_PGM_RSRC2:TGID_Y_EN: 0
; COMPUTE_PGM_RSRC2:TGID_Z_EN: 0
; COMPUTE_PGM_RSRC2:TIDIG_COMP_CNT: 2
	.section	.text._ZN7rocprim17ROCPRIM_304000_NS6detail28radix_sort_block_sort_kernelINS1_36wrapped_radix_sort_block_sort_configINS0_13kernel_configILj256ELj4ELj4294967295EEEfN2at4cuda3cub6detail10OpaqueTypeILi8EEEEELb0EPKfPfPKSB_PSB_NS0_19identity_decomposerEEEvT1_T2_T3_T4_jT5_jj,"axG",@progbits,_ZN7rocprim17ROCPRIM_304000_NS6detail28radix_sort_block_sort_kernelINS1_36wrapped_radix_sort_block_sort_configINS0_13kernel_configILj256ELj4ELj4294967295EEEfN2at4cuda3cub6detail10OpaqueTypeILi8EEEEELb0EPKfPfPKSB_PSB_NS0_19identity_decomposerEEEvT1_T2_T3_T4_jT5_jj,comdat
	.protected	_ZN7rocprim17ROCPRIM_304000_NS6detail28radix_sort_block_sort_kernelINS1_36wrapped_radix_sort_block_sort_configINS0_13kernel_configILj256ELj4ELj4294967295EEEfN2at4cuda3cub6detail10OpaqueTypeILi8EEEEELb0EPKfPfPKSB_PSB_NS0_19identity_decomposerEEEvT1_T2_T3_T4_jT5_jj ; -- Begin function _ZN7rocprim17ROCPRIM_304000_NS6detail28radix_sort_block_sort_kernelINS1_36wrapped_radix_sort_block_sort_configINS0_13kernel_configILj256ELj4ELj4294967295EEEfN2at4cuda3cub6detail10OpaqueTypeILi8EEEEELb0EPKfPfPKSB_PSB_NS0_19identity_decomposerEEEvT1_T2_T3_T4_jT5_jj
	.globl	_ZN7rocprim17ROCPRIM_304000_NS6detail28radix_sort_block_sort_kernelINS1_36wrapped_radix_sort_block_sort_configINS0_13kernel_configILj256ELj4ELj4294967295EEEfN2at4cuda3cub6detail10OpaqueTypeILi8EEEEELb0EPKfPfPKSB_PSB_NS0_19identity_decomposerEEEvT1_T2_T3_T4_jT5_jj
	.p2align	8
	.type	_ZN7rocprim17ROCPRIM_304000_NS6detail28radix_sort_block_sort_kernelINS1_36wrapped_radix_sort_block_sort_configINS0_13kernel_configILj256ELj4ELj4294967295EEEfN2at4cuda3cub6detail10OpaqueTypeILi8EEEEELb0EPKfPfPKSB_PSB_NS0_19identity_decomposerEEEvT1_T2_T3_T4_jT5_jj,@function
_ZN7rocprim17ROCPRIM_304000_NS6detail28radix_sort_block_sort_kernelINS1_36wrapped_radix_sort_block_sort_configINS0_13kernel_configILj256ELj4ELj4294967295EEEfN2at4cuda3cub6detail10OpaqueTypeILi8EEEEELb0EPKfPfPKSB_PSB_NS0_19identity_decomposerEEEvT1_T2_T3_T4_jT5_jj: ; @_ZN7rocprim17ROCPRIM_304000_NS6detail28radix_sort_block_sort_kernelINS1_36wrapped_radix_sort_block_sort_configINS0_13kernel_configILj256ELj4ELj4294967295EEEfN2at4cuda3cub6detail10OpaqueTypeILi8EEEEELb0EPKfPfPKSB_PSB_NS0_19identity_decomposerEEEvT1_T2_T3_T4_jT5_jj
; %bb.0:
	s_load_dword s2, s[4:5], 0x20
	s_load_dwordx8 s[36:43], s[4:5], 0x0
	s_lshl_b32 s28, s6, 10
	s_mov_b32 s29, 0
	v_mbcnt_lo_u32_b32 v3, -1, 0
	s_waitcnt lgkmcnt(0)
	s_lshr_b32 s0, s2, 10
	s_cmp_lg_u32 s6, s0
	s_cselect_b64 s[30:31], -1, 0
	s_lshl_b64 s[34:35], s[28:29], 2
	s_add_u32 s1, s36, s34
	v_mbcnt_hi_u32_b32 v9, -1, v3
	s_addc_u32 s3, s37, s35
	v_lshlrev_b32_e32 v27, 2, v0
	v_lshlrev_b32_e32 v3, 2, v9
	v_and_b32_e32 v10, 0x300, v27
	v_mov_b32_e32 v4, s3
	v_add_co_u32_e32 v3, vcc, s1, v3
	v_addc_co_u32_e32 v4, vcc, 0, v4, vcc
	v_lshlrev_b32_e32 v5, 2, v10
	v_add_co_u32_e32 v7, vcc, v3, v5
	s_cmp_eq_u32 s6, s0
	v_addc_co_u32_e32 v8, vcc, 0, v4, vcc
	v_lshlrev_b32_e32 v15, 3, v9
	v_lshlrev_b32_e32 v14, 3, v10
	v_add_u32_e32 v12, v9, v10
	s_cbranch_scc1 .LBB133_2
; %bb.1:
	s_lshl_b64 s[0:1], s[28:29], 3
	s_add_u32 s0, s40, s0
	s_addc_u32 s1, s41, s1
	v_mov_b32_e32 v11, s1
	v_add_co_u32_e32 v13, vcc, s0, v15
	v_addc_co_u32_e32 v11, vcc, 0, v11, vcc
	v_add_co_u32_e32 v16, vcc, v13, v14
	v_addc_co_u32_e32 v17, vcc, 0, v11, vcc
	global_load_dword v3, v[7:8], off
	global_load_dword v4, v[7:8], off offset:256
	global_load_dword v5, v[7:8], off offset:512
	;; [unrolled: 1-line block ×3, first 2 shown]
	global_load_dwordx2 v[19:20], v[16:17], off
	global_load_dwordx2 v[21:22], v[16:17], off offset:512
	global_load_dwordx2 v[23:24], v[16:17], off offset:1024
	;; [unrolled: 1-line block ×3, first 2 shown]
	v_add_u32_e32 v16, v9, v10
	v_add_u32_e32 v10, 64, v16
	;; [unrolled: 1-line block ×4, first 2 shown]
	s_sub_i32 s33, s2, s28
	s_cbranch_execz .LBB133_3
	s_branch .LBB133_17
.LBB133_2:
                                        ; implicit-def: $vgpr3_vgpr4_vgpr5_vgpr6
                                        ; implicit-def: $vgpr19_vgpr20
                                        ; implicit-def: $vgpr21_vgpr22
                                        ; implicit-def: $vgpr23_vgpr24
                                        ; implicit-def: $vgpr25_vgpr26
                                        ; implicit-def: $vgpr16
                                        ; implicit-def: $vgpr10
                                        ; implicit-def: $vgpr11
                                        ; implicit-def: $vgpr13
	s_sub_i32 s33, s2, s28
.LBB133_3:
	s_waitcnt vmcnt(7)
	v_bfrev_b32_e32 v3, -2
	v_cmp_gt_u32_e32 vcc, s33, v12
	s_waitcnt vmcnt(6)
	v_mov_b32_e32 v4, v3
	s_waitcnt vmcnt(5)
	v_mov_b32_e32 v5, v3
	;; [unrolled: 2-line block ×3, first 2 shown]
	s_and_saveexec_b64 s[0:1], vcc
	s_cbranch_execz .LBB133_5
; %bb.4:
	global_load_dword v16, v[7:8], off
	v_mov_b32_e32 v17, v3
	v_mov_b32_e32 v18, v3
	s_waitcnt vmcnt(4)
	v_mov_b32_e32 v19, v3
	s_waitcnt vmcnt(0)
	v_mov_b32_e32 v3, v16
	v_mov_b32_e32 v4, v17
	;; [unrolled: 1-line block ×4, first 2 shown]
.LBB133_5:
	s_or_b64 exec, exec, s[0:1]
	v_add_u32_e32 v10, 64, v12
	v_cmp_gt_u32_e64 s[0:1], s33, v10
	s_and_saveexec_b64 s[2:3], s[0:1]
	s_cbranch_execz .LBB133_7
; %bb.6:
	global_load_dword v4, v[7:8], off offset:256
.LBB133_7:
	s_or_b64 exec, exec, s[2:3]
	v_add_u32_e32 v11, 0x80, v12
	v_cmp_gt_u32_e64 s[2:3], s33, v11
	s_and_saveexec_b64 s[6:7], s[2:3]
	s_cbranch_execz .LBB133_9
; %bb.8:
	global_load_dword v5, v[7:8], off offset:512
.LBB133_9:
	;; [unrolled: 8-line block ×3, first 2 shown]
	s_or_b64 exec, exec, s[8:9]
	s_lshl_b64 s[8:9], s[28:29], 3
	s_add_u32 s8, s40, s8
	s_addc_u32 s9, s41, s9
	v_mov_b32_e32 v7, s9
	v_add_co_u32_e64 v8, s[8:9], s8, v15
	v_addc_co_u32_e64 v15, s[8:9], 0, v7, s[8:9]
	v_add_co_u32_e64 v7, s[8:9], v8, v14
	v_addc_co_u32_e64 v8, s[8:9], 0, v15, s[8:9]
                                        ; implicit-def: $vgpr19_vgpr20
	s_and_saveexec_b64 s[8:9], vcc
	s_cbranch_execnz .LBB133_54
; %bb.12:
	s_or_b64 exec, exec, s[8:9]
                                        ; implicit-def: $vgpr21_vgpr22
	s_and_saveexec_b64 s[8:9], s[0:1]
	s_cbranch_execnz .LBB133_55
.LBB133_13:
	s_or_b64 exec, exec, s[8:9]
                                        ; implicit-def: $vgpr23_vgpr24
	s_and_saveexec_b64 s[0:1], s[2:3]
	s_cbranch_execnz .LBB133_56
.LBB133_14:
	s_or_b64 exec, exec, s[0:1]
                                        ; implicit-def: $vgpr25_vgpr26
	s_and_saveexec_b64 s[0:1], s[6:7]
	s_cbranch_execz .LBB133_16
.LBB133_15:
	global_load_dwordx2 v[25:26], v[7:8], off offset:1536
.LBB133_16:
	s_or_b64 exec, exec, s[0:1]
	v_mov_b32_e32 v16, v12
.LBB133_17:
	s_load_dwordx2 s[36:37], s[4:5], 0x28
	s_load_dword s0, s[4:5], 0x3c
	v_bfrev_b32_e32 v28, 1
	s_waitcnt vmcnt(7)
	v_cmp_lt_i32_e32 vcc, -1, v3
	v_cndmask_b32_e32 v7, -1, v28, vcc
	s_waitcnt vmcnt(0)
	v_cmp_lt_i32_e32 vcc, -1, v4
	v_xor_b32_e32 v3, v7, v3
	v_cndmask_b32_e32 v7, -1, v28, vcc
	v_cmp_lt_i32_e32 vcc, -1, v5
	s_waitcnt lgkmcnt(0)
	s_lshr_b32 s1, s0, 16
	v_xor_b32_e32 v4, v7, v4
	v_cndmask_b32_e32 v7, -1, v28, vcc
	s_and_b32 s0, s0, 0xffff
	v_mad_u32_u24 v1, v2, s1, v1
	v_xor_b32_e32 v47, v7, v5
	v_mad_u64_u32 v[7:8], s[0:1], v1, s0, v[0:1]
	v_cmp_lt_i32_e32 vcc, -1, v6
	v_and_b32_e32 v5, 64, v9
	v_lshrrev_b32_e32 v2, 4, v7
	v_and_b32_e32 v30, 0xffffffc, v2
	v_and_b32_e32 v2, 15, v9
	v_cmp_eq_u32_e64 s[0:1], 0, v2
	v_cmp_lt_u32_e64 s[2:3], 1, v2
	v_cmp_lt_u32_e64 s[4:5], 3, v2
	;; [unrolled: 1-line block ×3, first 2 shown]
	v_and_b32_e32 v2, 16, v9
	v_cmp_eq_u32_e64 s[8:9], 0, v2
	v_or_b32_e32 v2, 63, v0
	v_cmp_eq_u32_e64 s[12:13], v0, v2
	v_subrev_co_u32_e64 v2, s[18:19], 1, v9
	v_cndmask_b32_e32 v1, -1, v28, vcc
	v_cmp_lt_i32_e32 vcc, v2, v5
	s_mov_b32 s26, 0
	v_cndmask_b32_e32 v2, v2, v9, vcc
	v_lshlrev_b32_e32 v32, 2, v2
	v_lshrrev_b32_e32 v2, 4, v0
	s_mov_b32 s44, s26
	v_xor_b32_e32 v1, v1, v6
	v_and_b32_e32 v33, 12, v2
	v_and_b32_e32 v2, 3, v9
	v_lshlrev_b32_e32 v35, 2, v16
	v_lshlrev_b32_e32 v36, 2, v10
	;; [unrolled: 1-line block ×4, first 2 shown]
	s_mov_b32 s27, s26
	s_mov_b32 s45, s26
	v_mov_b32_e32 v5, s26
	v_mov_b32_e32 v7, s44
	s_add_i32 s40, s37, s36
	v_lshlrev_b32_e32 v29, 2, v27
	v_cmp_lt_u32_e64 s[10:11], 31, v9
	v_cmp_gt_u32_e64 s[14:15], 4, v0
	v_cmp_lt_u32_e64 s[16:17], 63, v0
	v_cmp_eq_u32_e64 s[20:21], 0, v0
	v_mul_i32_i24_e32 v31, -12, v0
	v_cmp_eq_u32_e64 s[22:23], 0, v2
	v_cmp_lt_u32_e64 s[24:25], 1, v2
	v_add_u32_e32 v34, -4, v33
	v_mov_b32_e32 v6, s27
	v_mov_b32_e32 v8, s45
	s_brev_b32 s41, -2
	v_mov_b32_e32 v9, 0
	v_add_u32_e32 v39, v35, v35
	v_add_u32_e32 v40, v36, v36
	v_add_u32_e32 v41, v37, v37
	v_add_u32_e32 v42, v38, v38
	s_branch .LBB133_19
.LBB133_18:                             ;   in Loop: Header=BB133_19 Depth=1
	s_andn2_b64 vcc, exec, s[26:27]
	s_cbranch_vccz .LBB133_35
.LBB133_19:                             ; =>This Inner Loop Header: Depth=1
	v_mov_b32_e32 v46, v3
	s_min_u32 s26, s37, 8
	v_cmp_ne_u32_e32 vcc, s41, v46
	v_mov_b32_e32 v43, v1
	s_lshl_b32 s26, -1, s26
	v_cndmask_b32_e32 v1, v28, v46, vcc
	s_not_b32 s44, s26
	v_lshrrev_b32_e32 v1, s36, v1
	v_and_b32_e32 v1, s44, v1
	v_and_b32_e32 v2, 1, v1
	v_mov_b32_e32 v45, v4
	v_add_co_u32_e32 v4, vcc, -1, v2
	v_addc_co_u32_e64 v10, s[26:27], 0, -1, vcc
	v_cmp_ne_u32_e32 vcc, 0, v2
	v_xor_b32_e32 v2, vcc_hi, v10
	v_lshlrev_b32_e32 v10, 30, v1
	v_xor_b32_e32 v4, vcc_lo, v4
	v_cmp_gt_i64_e32 vcc, 0, v[9:10]
	v_not_b32_e32 v10, v10
	v_mov_b32_e32 v17, v19
	v_ashrrev_i32_e32 v10, 31, v10
	v_mov_b32_e32 v18, v20
	v_and_b32_e32 v4, exec_lo, v4
	v_xor_b32_e32 v19, vcc_hi, v10
	v_xor_b32_e32 v10, vcc_lo, v10
	v_and_b32_e32 v4, v4, v10
	v_lshlrev_b32_e32 v10, 29, v1
	v_cmp_gt_i64_e32 vcc, 0, v[9:10]
	v_not_b32_e32 v10, v10
	v_and_b32_e32 v2, exec_hi, v2
	v_ashrrev_i32_e32 v10, 31, v10
	v_and_b32_e32 v2, v2, v19
	v_xor_b32_e32 v19, vcc_hi, v10
	v_xor_b32_e32 v10, vcc_lo, v10
	v_and_b32_e32 v4, v4, v10
	v_lshlrev_b32_e32 v10, 28, v1
	v_cmp_gt_i64_e32 vcc, 0, v[9:10]
	v_not_b32_e32 v10, v10
	v_ashrrev_i32_e32 v10, 31, v10
	v_and_b32_e32 v2, v2, v19
	v_xor_b32_e32 v19, vcc_hi, v10
	v_xor_b32_e32 v10, vcc_lo, v10
	v_and_b32_e32 v4, v4, v10
	v_lshlrev_b32_e32 v10, 27, v1
	v_cmp_gt_i64_e32 vcc, 0, v[9:10]
	v_not_b32_e32 v10, v10
	v_ashrrev_i32_e32 v10, 31, v10
	v_and_b32_e32 v2, v2, v19
	v_xor_b32_e32 v19, vcc_hi, v10
	v_xor_b32_e32 v10, vcc_lo, v10
	v_and_b32_e32 v4, v4, v10
	v_lshlrev_b32_e32 v10, 26, v1
	v_cmp_gt_i64_e32 vcc, 0, v[9:10]
	v_not_b32_e32 v10, v10
	v_ashrrev_i32_e32 v10, 31, v10
	v_and_b32_e32 v2, v2, v19
	v_xor_b32_e32 v19, vcc_hi, v10
	v_xor_b32_e32 v10, vcc_lo, v10
	v_and_b32_e32 v4, v4, v10
	v_lshlrev_b32_e32 v10, 25, v1
	v_cmp_gt_i64_e32 vcc, 0, v[9:10]
	v_not_b32_e32 v10, v10
	v_ashrrev_i32_e32 v10, 31, v10
	v_and_b32_e32 v2, v2, v19
	v_xor_b32_e32 v19, vcc_hi, v10
	v_xor_b32_e32 v10, vcc_lo, v10
	v_and_b32_e32 v4, v4, v10
	v_lshlrev_b32_e32 v10, 24, v1
	v_lshlrev_b32_e32 v3, 4, v1
	v_cmp_gt_i64_e32 vcc, 0, v[9:10]
	v_not_b32_e32 v1, v10
	v_ashrrev_i32_e32 v1, 31, v1
	v_xor_b32_e32 v10, vcc_hi, v1
	v_xor_b32_e32 v1, vcc_lo, v1
	v_and_b32_e32 v2, v2, v19
	v_and_b32_e32 v1, v4, v1
	;; [unrolled: 1-line block ×3, first 2 shown]
	v_mbcnt_lo_u32_b32 v4, v1, 0
	v_mbcnt_hi_u32_b32 v19, v2, v4
	v_cmp_ne_u64_e32 vcc, 0, v[1:2]
	v_mov_b32_e32 v15, v21
	v_mov_b32_e32 v13, v23
	;; [unrolled: 1-line block ×3, first 2 shown]
	v_cmp_eq_u32_e64 s[26:27], 0, v19
	v_mov_b32_e32 v44, v47
	v_mov_b32_e32 v16, v22
	;; [unrolled: 1-line block ×4, first 2 shown]
	s_and_b64 s[46:47], vcc, s[26:27]
	v_add_u32_e32 v20, v30, v3
	ds_write2_b64 v29, v[5:6], v[7:8] offset0:2 offset1:3
	s_waitcnt lgkmcnt(0)
	s_barrier
	; wave barrier
	s_and_saveexec_b64 s[26:27], s[46:47]
; %bb.20:                               ;   in Loop: Header=BB133_19 Depth=1
	v_bcnt_u32_b32 v1, v1, 0
	v_bcnt_u32_b32 v1, v2, v1
	ds_write_b32 v20, v1 offset:16
; %bb.21:                               ;   in Loop: Header=BB133_19 Depth=1
	s_or_b64 exec, exec, s[26:27]
	v_cmp_ne_u32_e32 vcc, s41, v45
	v_cndmask_b32_e32 v1, v28, v45, vcc
	v_lshrrev_b32_e32 v1, s36, v1
	v_and_b32_e32 v1, s44, v1
	v_lshlrev_b32_e32 v2, 4, v1
	v_add_u32_e32 v22, v30, v2
	v_and_b32_e32 v2, 1, v1
	v_add_co_u32_e32 v3, vcc, -1, v2
	v_addc_co_u32_e64 v4, s[26:27], 0, -1, vcc
	v_cmp_ne_u32_e32 vcc, 0, v2
	v_lshlrev_b32_e32 v10, 30, v1
	v_xor_b32_e32 v2, vcc_hi, v4
	v_xor_b32_e32 v3, vcc_lo, v3
	v_cmp_gt_i64_e32 vcc, 0, v[9:10]
	v_not_b32_e32 v4, v10
	v_ashrrev_i32_e32 v4, 31, v4
	v_and_b32_e32 v2, exec_hi, v2
	v_xor_b32_e32 v10, vcc_hi, v4
	v_and_b32_e32 v3, exec_lo, v3
	v_xor_b32_e32 v4, vcc_lo, v4
	v_and_b32_e32 v2, v2, v10
	v_lshlrev_b32_e32 v10, 29, v1
	v_and_b32_e32 v3, v3, v4
	v_cmp_gt_i64_e32 vcc, 0, v[9:10]
	v_not_b32_e32 v4, v10
	v_ashrrev_i32_e32 v4, 31, v4
	v_xor_b32_e32 v10, vcc_hi, v4
	v_xor_b32_e32 v4, vcc_lo, v4
	v_and_b32_e32 v2, v2, v10
	v_lshlrev_b32_e32 v10, 28, v1
	v_and_b32_e32 v3, v3, v4
	v_cmp_gt_i64_e32 vcc, 0, v[9:10]
	v_not_b32_e32 v4, v10
	v_ashrrev_i32_e32 v4, 31, v4
	v_xor_b32_e32 v10, vcc_hi, v4
	;; [unrolled: 8-line block ×5, first 2 shown]
	v_and_b32_e32 v2, v2, v10
	v_lshlrev_b32_e32 v10, 24, v1
	v_xor_b32_e32 v4, vcc_lo, v4
	v_cmp_gt_i64_e32 vcc, 0, v[9:10]
	v_not_b32_e32 v1, v10
	v_ashrrev_i32_e32 v1, 31, v1
	v_and_b32_e32 v3, v3, v4
	v_xor_b32_e32 v4, vcc_hi, v1
	v_xor_b32_e32 v1, vcc_lo, v1
	; wave barrier
	ds_read_b32 v21, v22 offset:16
	v_and_b32_e32 v1, v3, v1
	v_and_b32_e32 v2, v2, v4
	v_mbcnt_lo_u32_b32 v3, v1, 0
	v_mbcnt_hi_u32_b32 v23, v2, v3
	v_cmp_ne_u64_e32 vcc, 0, v[1:2]
	v_cmp_eq_u32_e64 s[26:27], 0, v23
	s_and_b64 s[46:47], vcc, s[26:27]
	; wave barrier
	s_and_saveexec_b64 s[26:27], s[46:47]
	s_cbranch_execz .LBB133_23
; %bb.22:                               ;   in Loop: Header=BB133_19 Depth=1
	v_bcnt_u32_b32 v1, v1, 0
	v_bcnt_u32_b32 v1, v2, v1
	s_waitcnt lgkmcnt(0)
	v_add_u32_e32 v1, v21, v1
	ds_write_b32 v22, v1 offset:16
.LBB133_23:                             ;   in Loop: Header=BB133_19 Depth=1
	s_or_b64 exec, exec, s[26:27]
	v_cmp_ne_u32_e32 vcc, s41, v44
	v_cndmask_b32_e32 v1, v28, v44, vcc
	v_lshrrev_b32_e32 v1, s36, v1
	v_and_b32_e32 v1, s44, v1
	v_lshlrev_b32_e32 v2, 4, v1
	v_add_u32_e32 v25, v30, v2
	v_and_b32_e32 v2, 1, v1
	v_add_co_u32_e32 v3, vcc, -1, v2
	v_addc_co_u32_e64 v4, s[26:27], 0, -1, vcc
	v_cmp_ne_u32_e32 vcc, 0, v2
	v_lshlrev_b32_e32 v10, 30, v1
	v_xor_b32_e32 v2, vcc_hi, v4
	v_xor_b32_e32 v3, vcc_lo, v3
	v_cmp_gt_i64_e32 vcc, 0, v[9:10]
	v_not_b32_e32 v4, v10
	v_ashrrev_i32_e32 v4, 31, v4
	v_and_b32_e32 v2, exec_hi, v2
	v_xor_b32_e32 v10, vcc_hi, v4
	v_and_b32_e32 v3, exec_lo, v3
	v_xor_b32_e32 v4, vcc_lo, v4
	v_and_b32_e32 v2, v2, v10
	v_lshlrev_b32_e32 v10, 29, v1
	v_and_b32_e32 v3, v3, v4
	v_cmp_gt_i64_e32 vcc, 0, v[9:10]
	v_not_b32_e32 v4, v10
	v_ashrrev_i32_e32 v4, 31, v4
	v_xor_b32_e32 v10, vcc_hi, v4
	v_xor_b32_e32 v4, vcc_lo, v4
	v_and_b32_e32 v2, v2, v10
	v_lshlrev_b32_e32 v10, 28, v1
	v_and_b32_e32 v3, v3, v4
	v_cmp_gt_i64_e32 vcc, 0, v[9:10]
	v_not_b32_e32 v4, v10
	v_ashrrev_i32_e32 v4, 31, v4
	v_xor_b32_e32 v10, vcc_hi, v4
	;; [unrolled: 8-line block ×5, first 2 shown]
	v_and_b32_e32 v2, v2, v10
	v_lshlrev_b32_e32 v10, 24, v1
	v_xor_b32_e32 v4, vcc_lo, v4
	v_cmp_gt_i64_e32 vcc, 0, v[9:10]
	v_not_b32_e32 v1, v10
	v_ashrrev_i32_e32 v1, 31, v1
	v_and_b32_e32 v3, v3, v4
	v_xor_b32_e32 v4, vcc_hi, v1
	v_xor_b32_e32 v1, vcc_lo, v1
	; wave barrier
	ds_read_b32 v24, v25 offset:16
	v_and_b32_e32 v1, v3, v1
	v_and_b32_e32 v2, v2, v4
	v_mbcnt_lo_u32_b32 v3, v1, 0
	v_mbcnt_hi_u32_b32 v26, v2, v3
	v_cmp_ne_u64_e32 vcc, 0, v[1:2]
	v_cmp_eq_u32_e64 s[26:27], 0, v26
	s_and_b64 s[46:47], vcc, s[26:27]
	; wave barrier
	s_and_saveexec_b64 s[26:27], s[46:47]
	s_cbranch_execz .LBB133_25
; %bb.24:                               ;   in Loop: Header=BB133_19 Depth=1
	v_bcnt_u32_b32 v1, v1, 0
	v_bcnt_u32_b32 v1, v2, v1
	s_waitcnt lgkmcnt(0)
	v_add_u32_e32 v1, v24, v1
	ds_write_b32 v25, v1 offset:16
.LBB133_25:                             ;   in Loop: Header=BB133_19 Depth=1
	s_or_b64 exec, exec, s[26:27]
	v_cmp_ne_u32_e32 vcc, s41, v43
	v_cndmask_b32_e32 v1, v28, v43, vcc
	v_lshrrev_b32_e32 v1, s36, v1
	v_and_b32_e32 v1, s44, v1
	v_lshlrev_b32_e32 v2, 4, v1
	v_add_u32_e32 v48, v30, v2
	v_and_b32_e32 v2, 1, v1
	v_add_co_u32_e32 v3, vcc, -1, v2
	v_addc_co_u32_e64 v4, s[26:27], 0, -1, vcc
	v_cmp_ne_u32_e32 vcc, 0, v2
	v_lshlrev_b32_e32 v10, 30, v1
	v_xor_b32_e32 v2, vcc_hi, v4
	v_xor_b32_e32 v3, vcc_lo, v3
	v_cmp_gt_i64_e32 vcc, 0, v[9:10]
	v_not_b32_e32 v4, v10
	v_ashrrev_i32_e32 v4, 31, v4
	v_and_b32_e32 v2, exec_hi, v2
	v_xor_b32_e32 v10, vcc_hi, v4
	v_and_b32_e32 v3, exec_lo, v3
	v_xor_b32_e32 v4, vcc_lo, v4
	v_and_b32_e32 v2, v2, v10
	v_lshlrev_b32_e32 v10, 29, v1
	v_and_b32_e32 v3, v3, v4
	v_cmp_gt_i64_e32 vcc, 0, v[9:10]
	v_not_b32_e32 v4, v10
	v_ashrrev_i32_e32 v4, 31, v4
	v_xor_b32_e32 v10, vcc_hi, v4
	v_xor_b32_e32 v4, vcc_lo, v4
	v_and_b32_e32 v2, v2, v10
	v_lshlrev_b32_e32 v10, 28, v1
	v_and_b32_e32 v3, v3, v4
	v_cmp_gt_i64_e32 vcc, 0, v[9:10]
	v_not_b32_e32 v4, v10
	v_ashrrev_i32_e32 v4, 31, v4
	v_xor_b32_e32 v10, vcc_hi, v4
	;; [unrolled: 8-line block ×5, first 2 shown]
	v_and_b32_e32 v2, v2, v10
	v_lshlrev_b32_e32 v10, 24, v1
	v_xor_b32_e32 v4, vcc_lo, v4
	v_cmp_gt_i64_e32 vcc, 0, v[9:10]
	v_not_b32_e32 v1, v10
	v_ashrrev_i32_e32 v1, 31, v1
	v_and_b32_e32 v3, v3, v4
	v_xor_b32_e32 v4, vcc_hi, v1
	v_xor_b32_e32 v1, vcc_lo, v1
	; wave barrier
	ds_read_b32 v47, v48 offset:16
	v_and_b32_e32 v1, v3, v1
	v_and_b32_e32 v2, v2, v4
	v_mbcnt_lo_u32_b32 v3, v1, 0
	v_mbcnt_hi_u32_b32 v49, v2, v3
	v_cmp_ne_u64_e32 vcc, 0, v[1:2]
	v_cmp_eq_u32_e64 s[26:27], 0, v49
	s_and_b64 s[44:45], vcc, s[26:27]
	; wave barrier
	s_and_saveexec_b64 s[26:27], s[44:45]
	s_cbranch_execz .LBB133_27
; %bb.26:                               ;   in Loop: Header=BB133_19 Depth=1
	v_bcnt_u32_b32 v1, v1, 0
	v_bcnt_u32_b32 v1, v2, v1
	s_waitcnt lgkmcnt(0)
	v_add_u32_e32 v1, v47, v1
	ds_write_b32 v48, v1 offset:16
.LBB133_27:                             ;   in Loop: Header=BB133_19 Depth=1
	s_or_b64 exec, exec, s[26:27]
	; wave barrier
	s_waitcnt lgkmcnt(0)
	s_barrier
	ds_read2_b64 v[1:4], v29 offset0:2 offset1:3
	s_waitcnt lgkmcnt(0)
	v_add_u32_e32 v10, v2, v1
	v_add3_u32 v4, v10, v3, v4
	s_nop 1
	v_mov_b32_dpp v10, v4 row_shr:1 row_mask:0xf bank_mask:0xf
	v_cndmask_b32_e64 v10, v10, 0, s[0:1]
	v_add_u32_e32 v4, v10, v4
	s_nop 1
	v_mov_b32_dpp v10, v4 row_shr:2 row_mask:0xf bank_mask:0xf
	v_cndmask_b32_e64 v10, 0, v10, s[2:3]
	v_add_u32_e32 v4, v4, v10
	;; [unrolled: 4-line block ×4, first 2 shown]
	s_nop 1
	v_mov_b32_dpp v10, v4 row_bcast:15 row_mask:0xf bank_mask:0xf
	v_cndmask_b32_e64 v10, v10, 0, s[8:9]
	v_add_u32_e32 v4, v4, v10
	s_nop 1
	v_mov_b32_dpp v10, v4 row_bcast:31 row_mask:0xf bank_mask:0xf
	v_cndmask_b32_e64 v10, 0, v10, s[10:11]
	v_add_u32_e32 v4, v4, v10
	s_and_saveexec_b64 s[26:27], s[12:13]
; %bb.28:                               ;   in Loop: Header=BB133_19 Depth=1
	ds_write_b32 v33, v4
; %bb.29:                               ;   in Loop: Header=BB133_19 Depth=1
	s_or_b64 exec, exec, s[26:27]
	s_waitcnt lgkmcnt(0)
	s_barrier
	s_and_saveexec_b64 s[26:27], s[14:15]
	s_cbranch_execz .LBB133_31
; %bb.30:                               ;   in Loop: Header=BB133_19 Depth=1
	v_add_u32_e32 v10, v29, v31
	ds_read_b32 v50, v10
	s_waitcnt lgkmcnt(0)
	s_nop 0
	v_mov_b32_dpp v51, v50 row_shr:1 row_mask:0xf bank_mask:0xf
	v_cndmask_b32_e64 v51, v51, 0, s[22:23]
	v_add_u32_e32 v50, v51, v50
	s_nop 1
	v_mov_b32_dpp v51, v50 row_shr:2 row_mask:0xf bank_mask:0xf
	v_cndmask_b32_e64 v51, 0, v51, s[24:25]
	v_add_u32_e32 v50, v50, v51
	ds_write_b32 v10, v50
.LBB133_31:                             ;   in Loop: Header=BB133_19 Depth=1
	s_or_b64 exec, exec, s[26:27]
	v_mov_b32_e32 v10, 0
	s_waitcnt lgkmcnt(0)
	s_barrier
	s_and_saveexec_b64 s[26:27], s[16:17]
; %bb.32:                               ;   in Loop: Header=BB133_19 Depth=1
	ds_read_b32 v10, v34
; %bb.33:                               ;   in Loop: Header=BB133_19 Depth=1
	s_or_b64 exec, exec, s[26:27]
	s_waitcnt lgkmcnt(0)
	v_add_u32_e32 v4, v10, v4
	ds_bpermute_b32 v4, v32, v4
	s_add_i32 s36, s36, 8
	s_cmp_ge_u32 s36, s40
	s_mov_b64 s[26:27], -1
	s_waitcnt lgkmcnt(0)
	v_cndmask_b32_e64 v4, v4, v10, s[18:19]
	v_cndmask_b32_e64 v50, v4, 0, s[20:21]
	v_add_u32_e32 v51, v50, v1
	v_add_u32_e32 v1, v51, v2
	v_add_u32_e32 v2, v1, v3
	ds_write2_b64 v29, v[50:51], v[1:2] offset0:2 offset1:3
	s_waitcnt lgkmcnt(0)
	s_barrier
	ds_read_b32 v1, v20 offset:16
	ds_read_b32 v2, v22 offset:16
	;; [unrolled: 1-line block ×4, first 2 shown]
	s_waitcnt lgkmcnt(0)
	v_add_u32_e32 v50, v1, v19
	v_add3_u32 v48, v23, v21, v2
	v_add3_u32 v10, v26, v24, v3
	;; [unrolled: 1-line block ×3, first 2 shown]
	v_lshlrev_b32_e32 v53, 2, v50
	v_lshlrev_b32_e32 v52, 2, v48
	;; [unrolled: 1-line block ×4, first 2 shown]
                                        ; implicit-def: $vgpr1
                                        ; implicit-def: $vgpr47
                                        ; implicit-def: $vgpr4
                                        ; implicit-def: $vgpr3
                                        ; implicit-def: $vgpr19_vgpr20
                                        ; implicit-def: $vgpr21_vgpr22
                                        ; implicit-def: $vgpr23_vgpr24
                                        ; implicit-def: $vgpr25_vgpr26
	s_cbranch_scc1 .LBB133_18
; %bb.34:                               ;   in Loop: Header=BB133_19 Depth=1
	v_lshl_add_u32 v19, v50, 2, v53
	s_barrier
	ds_write_b32 v53, v46
	ds_write_b32 v52, v45
	;; [unrolled: 1-line block ×4, first 2 shown]
	s_waitcnt lgkmcnt(0)
	s_barrier
	ds_read_b32 v3, v35
	ds_read_b32 v4, v36
	;; [unrolled: 1-line block ×4, first 2 shown]
	s_waitcnt lgkmcnt(0)
	s_barrier
	ds_write_b64 v19, v[17:18]
	v_lshl_add_u32 v19, v48, 2, v52
	ds_write_b64 v19, v[15:16]
	v_lshl_add_u32 v19, v10, 2, v51
	;; [unrolled: 2-line block ×3, first 2 shown]
	ds_write_b64 v19, v[11:12]
	s_waitcnt lgkmcnt(0)
	s_barrier
	ds_read_b64 v[19:20], v39
	ds_read_b64 v[21:22], v40
	;; [unrolled: 1-line block ×4, first 2 shown]
	s_add_i32 s37, s37, -8
	s_mov_b64 s[26:27], 0
	s_waitcnt lgkmcnt(0)
	s_barrier
	s_branch .LBB133_18
.LBB133_35:
	v_add_u32_e32 v1, v29, v31
	s_barrier
	ds_write_b32 v53, v46
	ds_write_b32 v52, v45
	;; [unrolled: 1-line block ×4, first 2 shown]
	s_waitcnt lgkmcnt(0)
	s_barrier
	ds_read2st64_b32 v[19:20], v1 offset1:4
	ds_read2st64_b32 v[21:22], v1 offset0:8 offset1:12
	v_lshl_add_u32 v1, v50, 2, v53
	s_waitcnt lgkmcnt(0)
	s_barrier
	ds_write_b64 v1, v[17:18]
	v_lshl_add_u32 v1, v48, 2, v52
	ds_write_b64 v1, v[15:16]
	v_lshl_add_u32 v1, v10, 2, v51
	;; [unrolled: 2-line block ×3, first 2 shown]
	v_bfrev_b32_e32 v9, 1
	v_cmp_lt_i32_e32 vcc, -1, v19
	ds_write_b64 v1, v[11:12]
	v_lshlrev_b32_e32 v11, 3, v0
	v_cndmask_b32_e64 v10, v9, -1, vcc
	v_cmp_lt_i32_e32 vcc, -1, v20
	s_waitcnt lgkmcnt(0)
	s_barrier
	ds_read2st64_b64 v[5:8], v11 offset1:4
	ds_read2st64_b64 v[1:4], v11 offset0:8 offset1:12
	v_xor_b32_e32 v15, v10, v19
	v_cndmask_b32_e64 v10, v9, -1, vcc
	v_cmp_lt_i32_e32 vcc, -1, v21
	v_xor_b32_e32 v14, v10, v20
	v_cndmask_b32_e64 v10, v9, -1, vcc
	v_cmp_lt_i32_e32 vcc, -1, v22
	s_add_u32 s0, s38, s34
	v_cndmask_b32_e64 v9, v9, -1, vcc
	s_addc_u32 s1, s39, s35
	v_xor_b32_e32 v13, v10, v21
	v_xor_b32_e32 v12, v9, v22
	v_mov_b32_e32 v10, s1
	v_add_co_u32_e64 v9, s[0:1], s0, v27
	s_andn2_b64 vcc, exec, s[30:31]
	v_addc_co_u32_e64 v10, s[0:1], 0, v10, s[0:1]
	s_cbranch_vccnz .LBB133_37
; %bb.36:
	s_lshl_b64 s[0:1], s[28:29], 3
	s_add_u32 s0, s42, s0
	s_addc_u32 s1, s43, s1
	v_mov_b32_e32 v16, s1
	v_add_co_u32_e32 v17, vcc, s0, v11
	v_addc_co_u32_e32 v18, vcc, 0, v16, vcc
	v_add_co_u32_e32 v16, vcc, 0x1000, v17
	global_store_dword v[9:10], v15, off
	global_store_dword v[9:10], v14, off offset:1024
	global_store_dword v[9:10], v13, off offset:2048
	;; [unrolled: 1-line block ×3, first 2 shown]
	s_waitcnt lgkmcnt(1)
	global_store_dwordx2 v11, v[5:6], s[0:1]
	global_store_dwordx2 v11, v[7:8], s[0:1] offset:2048
	v_addc_co_u32_e32 v17, vcc, 0, v18, vcc
	s_mov_b64 s[6:7], -1
	s_waitcnt lgkmcnt(0)
	global_store_dwordx2 v[16:17], v[1:2], off
	s_cbranch_execz .LBB133_38
	s_branch .LBB133_51
.LBB133_37:
	s_mov_b64 s[6:7], 0
.LBB133_38:
	v_cmp_gt_u32_e32 vcc, s33, v0
	s_and_saveexec_b64 s[0:1], vcc
	s_cbranch_execz .LBB133_40
; %bb.39:
	global_store_dword v[9:10], v15, off
.LBB133_40:
	s_or_b64 exec, exec, s[0:1]
	v_or_b32_e32 v15, 0x100, v0
	v_cmp_gt_u32_e64 s[0:1], s33, v15
	s_and_saveexec_b64 s[2:3], s[0:1]
	s_cbranch_execz .LBB133_42
; %bb.41:
	global_store_dword v[9:10], v14, off offset:1024
.LBB133_42:
	s_or_b64 exec, exec, s[2:3]
	v_or_b32_e32 v14, 0x200, v0
	v_cmp_gt_u32_e64 s[2:3], s33, v14
	s_and_saveexec_b64 s[4:5], s[2:3]
	s_cbranch_execz .LBB133_44
; %bb.43:
	global_store_dword v[9:10], v13, off offset:2048
.LBB133_44:
	;; [unrolled: 8-line block ×3, first 2 shown]
	s_or_b64 exec, exec, s[4:5]
	s_lshl_b64 s[4:5], s[28:29], 3
	s_add_u32 s4, s42, s4
	s_addc_u32 s5, s43, s5
	v_mov_b32_e32 v0, s5
	v_add_co_u32_e64 v9, s[4:5], s4, v11
	v_addc_co_u32_e64 v10, s[4:5], 0, v0, s[4:5]
	s_and_saveexec_b64 s[4:5], vcc
	s_cbranch_execnz .LBB133_57
; %bb.47:
	s_or_b64 exec, exec, s[4:5]
	s_and_saveexec_b64 s[4:5], s[0:1]
	s_cbranch_execnz .LBB133_58
.LBB133_48:
	s_or_b64 exec, exec, s[4:5]
	s_and_saveexec_b64 s[0:1], s[2:3]
	s_cbranch_execz .LBB133_50
.LBB133_49:
	s_waitcnt lgkmcnt(1)
	v_add_co_u32_e32 v5, vcc, 0x1000, v9
	v_addc_co_u32_e32 v6, vcc, 0, v10, vcc
	s_waitcnt lgkmcnt(0)
	global_store_dwordx2 v[5:6], v[1:2], off
.LBB133_50:
	s_or_b64 exec, exec, s[0:1]
.LBB133_51:
	s_and_saveexec_b64 s[0:1], s[6:7]
	s_cbranch_execnz .LBB133_53
; %bb.52:
	s_endpgm
.LBB133_53:
	s_lshl_b64 s[0:1], s[28:29], 3
	s_add_u32 s0, s42, s0
	s_addc_u32 s1, s43, s1
	v_mov_b32_e32 v0, s1
	s_waitcnt lgkmcnt(0)
	v_add_co_u32_e32 v1, vcc, s0, v11
	v_addc_co_u32_e32 v2, vcc, 0, v0, vcc
	v_add_co_u32_e32 v0, vcc, 0x1000, v1
	v_addc_co_u32_e32 v1, vcc, 0, v2, vcc
	global_store_dwordx2 v[0:1], v[3:4], off offset:2048
	s_endpgm
.LBB133_54:
	global_load_dwordx2 v[19:20], v[7:8], off
	s_or_b64 exec, exec, s[8:9]
                                        ; implicit-def: $vgpr21_vgpr22
	s_and_saveexec_b64 s[8:9], s[0:1]
	s_cbranch_execz .LBB133_13
.LBB133_55:
	global_load_dwordx2 v[21:22], v[7:8], off offset:512
	s_or_b64 exec, exec, s[8:9]
                                        ; implicit-def: $vgpr23_vgpr24
	s_and_saveexec_b64 s[0:1], s[2:3]
	s_cbranch_execz .LBB133_14
.LBB133_56:
	global_load_dwordx2 v[23:24], v[7:8], off offset:1024
	s_or_b64 exec, exec, s[0:1]
                                        ; implicit-def: $vgpr25_vgpr26
	s_and_saveexec_b64 s[0:1], s[6:7]
	s_cbranch_execnz .LBB133_15
	s_branch .LBB133_16
.LBB133_57:
	s_waitcnt lgkmcnt(1)
	global_store_dwordx2 v[9:10], v[5:6], off
	s_or_b64 exec, exec, s[4:5]
	s_and_saveexec_b64 s[4:5], s[0:1]
	s_cbranch_execz .LBB133_48
.LBB133_58:
	s_waitcnt lgkmcnt(1)
	global_store_dwordx2 v[9:10], v[7:8], off offset:2048
	s_or_b64 exec, exec, s[4:5]
	s_and_saveexec_b64 s[0:1], s[2:3]
	s_cbranch_execnz .LBB133_49
	s_branch .LBB133_50
	.section	.rodata,"a",@progbits
	.p2align	6, 0x0
	.amdhsa_kernel _ZN7rocprim17ROCPRIM_304000_NS6detail28radix_sort_block_sort_kernelINS1_36wrapped_radix_sort_block_sort_configINS0_13kernel_configILj256ELj4ELj4294967295EEEfN2at4cuda3cub6detail10OpaqueTypeILi8EEEEELb0EPKfPfPKSB_PSB_NS0_19identity_decomposerEEEvT1_T2_T3_T4_jT5_jj
		.amdhsa_group_segment_fixed_size 8192
		.amdhsa_private_segment_fixed_size 0
		.amdhsa_kernarg_size 304
		.amdhsa_user_sgpr_count 6
		.amdhsa_user_sgpr_private_segment_buffer 1
		.amdhsa_user_sgpr_dispatch_ptr 0
		.amdhsa_user_sgpr_queue_ptr 0
		.amdhsa_user_sgpr_kernarg_segment_ptr 1
		.amdhsa_user_sgpr_dispatch_id 0
		.amdhsa_user_sgpr_flat_scratch_init 0
		.amdhsa_user_sgpr_private_segment_size 0
		.amdhsa_uses_dynamic_stack 0
		.amdhsa_system_sgpr_private_segment_wavefront_offset 0
		.amdhsa_system_sgpr_workgroup_id_x 1
		.amdhsa_system_sgpr_workgroup_id_y 0
		.amdhsa_system_sgpr_workgroup_id_z 0
		.amdhsa_system_sgpr_workgroup_info 0
		.amdhsa_system_vgpr_workitem_id 2
		.amdhsa_next_free_vgpr 54
		.amdhsa_next_free_sgpr 61
		.amdhsa_reserve_vcc 1
		.amdhsa_reserve_flat_scratch 0
		.amdhsa_float_round_mode_32 0
		.amdhsa_float_round_mode_16_64 0
		.amdhsa_float_denorm_mode_32 3
		.amdhsa_float_denorm_mode_16_64 3
		.amdhsa_dx10_clamp 1
		.amdhsa_ieee_mode 1
		.amdhsa_fp16_overflow 0
		.amdhsa_exception_fp_ieee_invalid_op 0
		.amdhsa_exception_fp_denorm_src 0
		.amdhsa_exception_fp_ieee_div_zero 0
		.amdhsa_exception_fp_ieee_overflow 0
		.amdhsa_exception_fp_ieee_underflow 0
		.amdhsa_exception_fp_ieee_inexact 0
		.amdhsa_exception_int_div_zero 0
	.end_amdhsa_kernel
	.section	.text._ZN7rocprim17ROCPRIM_304000_NS6detail28radix_sort_block_sort_kernelINS1_36wrapped_radix_sort_block_sort_configINS0_13kernel_configILj256ELj4ELj4294967295EEEfN2at4cuda3cub6detail10OpaqueTypeILi8EEEEELb0EPKfPfPKSB_PSB_NS0_19identity_decomposerEEEvT1_T2_T3_T4_jT5_jj,"axG",@progbits,_ZN7rocprim17ROCPRIM_304000_NS6detail28radix_sort_block_sort_kernelINS1_36wrapped_radix_sort_block_sort_configINS0_13kernel_configILj256ELj4ELj4294967295EEEfN2at4cuda3cub6detail10OpaqueTypeILi8EEEEELb0EPKfPfPKSB_PSB_NS0_19identity_decomposerEEEvT1_T2_T3_T4_jT5_jj,comdat
.Lfunc_end133:
	.size	_ZN7rocprim17ROCPRIM_304000_NS6detail28radix_sort_block_sort_kernelINS1_36wrapped_radix_sort_block_sort_configINS0_13kernel_configILj256ELj4ELj4294967295EEEfN2at4cuda3cub6detail10OpaqueTypeILi8EEEEELb0EPKfPfPKSB_PSB_NS0_19identity_decomposerEEEvT1_T2_T3_T4_jT5_jj, .Lfunc_end133-_ZN7rocprim17ROCPRIM_304000_NS6detail28radix_sort_block_sort_kernelINS1_36wrapped_radix_sort_block_sort_configINS0_13kernel_configILj256ELj4ELj4294967295EEEfN2at4cuda3cub6detail10OpaqueTypeILi8EEEEELb0EPKfPfPKSB_PSB_NS0_19identity_decomposerEEEvT1_T2_T3_T4_jT5_jj
                                        ; -- End function
	.set _ZN7rocprim17ROCPRIM_304000_NS6detail28radix_sort_block_sort_kernelINS1_36wrapped_radix_sort_block_sort_configINS0_13kernel_configILj256ELj4ELj4294967295EEEfN2at4cuda3cub6detail10OpaqueTypeILi8EEEEELb0EPKfPfPKSB_PSB_NS0_19identity_decomposerEEEvT1_T2_T3_T4_jT5_jj.num_vgpr, 54
	.set _ZN7rocprim17ROCPRIM_304000_NS6detail28radix_sort_block_sort_kernelINS1_36wrapped_radix_sort_block_sort_configINS0_13kernel_configILj256ELj4ELj4294967295EEEfN2at4cuda3cub6detail10OpaqueTypeILi8EEEEELb0EPKfPfPKSB_PSB_NS0_19identity_decomposerEEEvT1_T2_T3_T4_jT5_jj.num_agpr, 0
	.set _ZN7rocprim17ROCPRIM_304000_NS6detail28radix_sort_block_sort_kernelINS1_36wrapped_radix_sort_block_sort_configINS0_13kernel_configILj256ELj4ELj4294967295EEEfN2at4cuda3cub6detail10OpaqueTypeILi8EEEEELb0EPKfPfPKSB_PSB_NS0_19identity_decomposerEEEvT1_T2_T3_T4_jT5_jj.numbered_sgpr, 48
	.set _ZN7rocprim17ROCPRIM_304000_NS6detail28radix_sort_block_sort_kernelINS1_36wrapped_radix_sort_block_sort_configINS0_13kernel_configILj256ELj4ELj4294967295EEEfN2at4cuda3cub6detail10OpaqueTypeILi8EEEEELb0EPKfPfPKSB_PSB_NS0_19identity_decomposerEEEvT1_T2_T3_T4_jT5_jj.num_named_barrier, 0
	.set _ZN7rocprim17ROCPRIM_304000_NS6detail28radix_sort_block_sort_kernelINS1_36wrapped_radix_sort_block_sort_configINS0_13kernel_configILj256ELj4ELj4294967295EEEfN2at4cuda3cub6detail10OpaqueTypeILi8EEEEELb0EPKfPfPKSB_PSB_NS0_19identity_decomposerEEEvT1_T2_T3_T4_jT5_jj.private_seg_size, 0
	.set _ZN7rocprim17ROCPRIM_304000_NS6detail28radix_sort_block_sort_kernelINS1_36wrapped_radix_sort_block_sort_configINS0_13kernel_configILj256ELj4ELj4294967295EEEfN2at4cuda3cub6detail10OpaqueTypeILi8EEEEELb0EPKfPfPKSB_PSB_NS0_19identity_decomposerEEEvT1_T2_T3_T4_jT5_jj.uses_vcc, 1
	.set _ZN7rocprim17ROCPRIM_304000_NS6detail28radix_sort_block_sort_kernelINS1_36wrapped_radix_sort_block_sort_configINS0_13kernel_configILj256ELj4ELj4294967295EEEfN2at4cuda3cub6detail10OpaqueTypeILi8EEEEELb0EPKfPfPKSB_PSB_NS0_19identity_decomposerEEEvT1_T2_T3_T4_jT5_jj.uses_flat_scratch, 0
	.set _ZN7rocprim17ROCPRIM_304000_NS6detail28radix_sort_block_sort_kernelINS1_36wrapped_radix_sort_block_sort_configINS0_13kernel_configILj256ELj4ELj4294967295EEEfN2at4cuda3cub6detail10OpaqueTypeILi8EEEEELb0EPKfPfPKSB_PSB_NS0_19identity_decomposerEEEvT1_T2_T3_T4_jT5_jj.has_dyn_sized_stack, 0
	.set _ZN7rocprim17ROCPRIM_304000_NS6detail28radix_sort_block_sort_kernelINS1_36wrapped_radix_sort_block_sort_configINS0_13kernel_configILj256ELj4ELj4294967295EEEfN2at4cuda3cub6detail10OpaqueTypeILi8EEEEELb0EPKfPfPKSB_PSB_NS0_19identity_decomposerEEEvT1_T2_T3_T4_jT5_jj.has_recursion, 0
	.set _ZN7rocprim17ROCPRIM_304000_NS6detail28radix_sort_block_sort_kernelINS1_36wrapped_radix_sort_block_sort_configINS0_13kernel_configILj256ELj4ELj4294967295EEEfN2at4cuda3cub6detail10OpaqueTypeILi8EEEEELb0EPKfPfPKSB_PSB_NS0_19identity_decomposerEEEvT1_T2_T3_T4_jT5_jj.has_indirect_call, 0
	.section	.AMDGPU.csdata,"",@progbits
; Kernel info:
; codeLenInByte = 3932
; TotalNumSgprs: 52
; NumVgprs: 54
; ScratchSize: 0
; MemoryBound: 0
; FloatMode: 240
; IeeeMode: 1
; LDSByteSize: 8192 bytes/workgroup (compile time only)
; SGPRBlocks: 8
; VGPRBlocks: 13
; NumSGPRsForWavesPerEU: 65
; NumVGPRsForWavesPerEU: 54
; Occupancy: 4
; WaveLimiterHint : 1
; COMPUTE_PGM_RSRC2:SCRATCH_EN: 0
; COMPUTE_PGM_RSRC2:USER_SGPR: 6
; COMPUTE_PGM_RSRC2:TRAP_HANDLER: 0
; COMPUTE_PGM_RSRC2:TGID_X_EN: 1
; COMPUTE_PGM_RSRC2:TGID_Y_EN: 0
; COMPUTE_PGM_RSRC2:TGID_Z_EN: 0
; COMPUTE_PGM_RSRC2:TIDIG_COMP_CNT: 2
	.section	.text._ZN7rocprim17ROCPRIM_304000_NS6detail45device_block_merge_mergepath_partition_kernelINS1_37wrapped_merge_sort_block_merge_configINS0_14default_configEfN2at4cuda3cub6detail10OpaqueTypeILi8EEEEEPfjNS1_19radix_merge_compareILb0ELb0EfNS0_19identity_decomposerEEEEEvT0_T1_jPSH_T2_SH_,"axG",@progbits,_ZN7rocprim17ROCPRIM_304000_NS6detail45device_block_merge_mergepath_partition_kernelINS1_37wrapped_merge_sort_block_merge_configINS0_14default_configEfN2at4cuda3cub6detail10OpaqueTypeILi8EEEEEPfjNS1_19radix_merge_compareILb0ELb0EfNS0_19identity_decomposerEEEEEvT0_T1_jPSH_T2_SH_,comdat
	.protected	_ZN7rocprim17ROCPRIM_304000_NS6detail45device_block_merge_mergepath_partition_kernelINS1_37wrapped_merge_sort_block_merge_configINS0_14default_configEfN2at4cuda3cub6detail10OpaqueTypeILi8EEEEEPfjNS1_19radix_merge_compareILb0ELb0EfNS0_19identity_decomposerEEEEEvT0_T1_jPSH_T2_SH_ ; -- Begin function _ZN7rocprim17ROCPRIM_304000_NS6detail45device_block_merge_mergepath_partition_kernelINS1_37wrapped_merge_sort_block_merge_configINS0_14default_configEfN2at4cuda3cub6detail10OpaqueTypeILi8EEEEEPfjNS1_19radix_merge_compareILb0ELb0EfNS0_19identity_decomposerEEEEEvT0_T1_jPSH_T2_SH_
	.globl	_ZN7rocprim17ROCPRIM_304000_NS6detail45device_block_merge_mergepath_partition_kernelINS1_37wrapped_merge_sort_block_merge_configINS0_14default_configEfN2at4cuda3cub6detail10OpaqueTypeILi8EEEEEPfjNS1_19radix_merge_compareILb0ELb0EfNS0_19identity_decomposerEEEEEvT0_T1_jPSH_T2_SH_
	.p2align	8
	.type	_ZN7rocprim17ROCPRIM_304000_NS6detail45device_block_merge_mergepath_partition_kernelINS1_37wrapped_merge_sort_block_merge_configINS0_14default_configEfN2at4cuda3cub6detail10OpaqueTypeILi8EEEEEPfjNS1_19radix_merge_compareILb0ELb0EfNS0_19identity_decomposerEEEEEvT0_T1_jPSH_T2_SH_,@function
_ZN7rocprim17ROCPRIM_304000_NS6detail45device_block_merge_mergepath_partition_kernelINS1_37wrapped_merge_sort_block_merge_configINS0_14default_configEfN2at4cuda3cub6detail10OpaqueTypeILi8EEEEEPfjNS1_19radix_merge_compareILb0ELb0EfNS0_19identity_decomposerEEEEEvT0_T1_jPSH_T2_SH_: ; @_ZN7rocprim17ROCPRIM_304000_NS6detail45device_block_merge_mergepath_partition_kernelINS1_37wrapped_merge_sort_block_merge_configINS0_14default_configEfN2at4cuda3cub6detail10OpaqueTypeILi8EEEEEPfjNS1_19radix_merge_compareILb0ELb0EfNS0_19identity_decomposerEEEEEvT0_T1_jPSH_T2_SH_
; %bb.0:
	s_load_dwordx2 s[0:1], s[4:5], 0x8
	v_lshl_or_b32 v0, s6, 7, v0
	s_waitcnt lgkmcnt(0)
	v_cmp_gt_u32_e32 vcc, s1, v0
	s_and_saveexec_b64 s[2:3], vcc
	s_cbranch_execz .LBB134_6
; %bb.1:
	s_load_dword s1, s[4:5], 0x1c
	s_waitcnt lgkmcnt(0)
	s_lshr_b32 s2, s1, 9
	s_and_b32 s2, s2, 0x7ffffe
	s_add_i32 s3, s2, -1
	s_sub_i32 s2, 0, s2
	v_and_b32_e32 v1, s2, v0
	v_lshlrev_b32_e32 v3, 10, v1
	v_min_u32_e32 v1, s0, v3
	v_add_u32_e32 v3, s1, v3
	v_min_u32_e32 v3, s0, v3
	v_add_u32_e32 v4, s1, v3
	v_and_b32_e32 v2, s3, v0
	v_min_u32_e32 v4, s0, v4
	v_lshlrev_b32_e32 v2, 10, v2
	v_sub_u32_e32 v5, v4, v1
	v_min_u32_e32 v6, v5, v2
	v_sub_u32_e32 v2, v3, v1
	v_sub_u32_e32 v4, v4, v3
	v_sub_u32_e64 v5, v6, v4 clamp
	v_min_u32_e32 v7, v6, v2
	v_cmp_lt_u32_e32 vcc, v5, v7
	s_and_saveexec_b64 s[0:1], vcc
	s_cbranch_execz .LBB134_5
; %bb.2:
	s_load_dwordx2 s[2:3], s[4:5], 0x0
	v_mov_b32_e32 v4, 0
	v_mov_b32_e32 v2, v4
	v_lshlrev_b64 v[8:9], 2, v[1:2]
	s_brev_b32 s6, 1
	s_waitcnt lgkmcnt(0)
	v_mov_b32_e32 v11, s3
	v_add_co_u32_e32 v2, vcc, s2, v8
	v_addc_co_u32_e32 v8, vcc, v11, v9, vcc
	v_lshlrev_b64 v[9:10], 2, v[3:4]
	v_add_co_u32_e32 v9, vcc, s2, v9
	v_addc_co_u32_e32 v10, vcc, v11, v10, vcc
	s_mov_b64 s[2:3], 0
	v_bfrev_b32_e32 v11, 1
.LBB134_3:                              ; =>This Inner Loop Header: Depth=1
	v_add_u32_e32 v3, v7, v5
	v_lshrrev_b32_e32 v3, 1, v3
	v_lshlrev_b64 v[14:15], 2, v[3:4]
	v_mov_b32_e32 v13, v4
	v_xad_u32 v12, v3, -1, v6
	v_lshlrev_b64 v[12:13], 2, v[12:13]
	v_add_co_u32_e32 v14, vcc, v2, v14
	v_addc_co_u32_e32 v15, vcc, v8, v15, vcc
	v_add_co_u32_e32 v12, vcc, v9, v12
	global_load_dword v14, v[14:15], off
	v_addc_co_u32_e32 v13, vcc, v10, v13, vcc
	global_load_dword v12, v[12:13], off
	v_add_u32_e32 v13, 1, v3
	s_waitcnt vmcnt(1)
	v_cmp_ne_u32_e32 vcc, s6, v14
	v_cndmask_b32_e32 v14, 0, v14, vcc
	s_waitcnt vmcnt(0)
	v_cmp_ne_u32_e32 vcc, s6, v12
	v_cndmask_b32_e32 v12, 0, v12, vcc
	v_cmp_lt_i32_e32 vcc, -1, v14
	v_cndmask_b32_e32 v15, -1, v11, vcc
	v_cmp_lt_i32_e32 vcc, -1, v12
	v_xor_b32_e32 v14, v15, v14
	v_cndmask_b32_e32 v15, -1, v11, vcc
	v_xor_b32_e32 v12, v15, v12
	v_cmp_gt_u32_e32 vcc, v14, v12
	v_cndmask_b32_e32 v7, v7, v3, vcc
	v_cndmask_b32_e32 v5, v13, v5, vcc
	v_cmp_ge_u32_e32 vcc, v5, v7
	s_or_b64 s[2:3], vcc, s[2:3]
	s_andn2_b64 exec, exec, s[2:3]
	s_cbranch_execnz .LBB134_3
; %bb.4:
	s_or_b64 exec, exec, s[2:3]
.LBB134_5:
	s_or_b64 exec, exec, s[0:1]
	s_load_dwordx2 s[0:1], s[4:5], 0x10
	v_add_u32_e32 v2, v5, v1
	v_mov_b32_e32 v1, 0
	v_lshlrev_b64 v[0:1], 2, v[0:1]
	s_waitcnt lgkmcnt(0)
	v_mov_b32_e32 v3, s1
	v_add_co_u32_e32 v0, vcc, s0, v0
	v_addc_co_u32_e32 v1, vcc, v3, v1, vcc
	global_store_dword v[0:1], v2, off
.LBB134_6:
	s_endpgm
	.section	.rodata,"a",@progbits
	.p2align	6, 0x0
	.amdhsa_kernel _ZN7rocprim17ROCPRIM_304000_NS6detail45device_block_merge_mergepath_partition_kernelINS1_37wrapped_merge_sort_block_merge_configINS0_14default_configEfN2at4cuda3cub6detail10OpaqueTypeILi8EEEEEPfjNS1_19radix_merge_compareILb0ELb0EfNS0_19identity_decomposerEEEEEvT0_T1_jPSH_T2_SH_
		.amdhsa_group_segment_fixed_size 0
		.amdhsa_private_segment_fixed_size 0
		.amdhsa_kernarg_size 32
		.amdhsa_user_sgpr_count 6
		.amdhsa_user_sgpr_private_segment_buffer 1
		.amdhsa_user_sgpr_dispatch_ptr 0
		.amdhsa_user_sgpr_queue_ptr 0
		.amdhsa_user_sgpr_kernarg_segment_ptr 1
		.amdhsa_user_sgpr_dispatch_id 0
		.amdhsa_user_sgpr_flat_scratch_init 0
		.amdhsa_user_sgpr_private_segment_size 0
		.amdhsa_uses_dynamic_stack 0
		.amdhsa_system_sgpr_private_segment_wavefront_offset 0
		.amdhsa_system_sgpr_workgroup_id_x 1
		.amdhsa_system_sgpr_workgroup_id_y 0
		.amdhsa_system_sgpr_workgroup_id_z 0
		.amdhsa_system_sgpr_workgroup_info 0
		.amdhsa_system_vgpr_workitem_id 0
		.amdhsa_next_free_vgpr 16
		.amdhsa_next_free_sgpr 7
		.amdhsa_reserve_vcc 1
		.amdhsa_reserve_flat_scratch 0
		.amdhsa_float_round_mode_32 0
		.amdhsa_float_round_mode_16_64 0
		.amdhsa_float_denorm_mode_32 3
		.amdhsa_float_denorm_mode_16_64 3
		.amdhsa_dx10_clamp 1
		.amdhsa_ieee_mode 1
		.amdhsa_fp16_overflow 0
		.amdhsa_exception_fp_ieee_invalid_op 0
		.amdhsa_exception_fp_denorm_src 0
		.amdhsa_exception_fp_ieee_div_zero 0
		.amdhsa_exception_fp_ieee_overflow 0
		.amdhsa_exception_fp_ieee_underflow 0
		.amdhsa_exception_fp_ieee_inexact 0
		.amdhsa_exception_int_div_zero 0
	.end_amdhsa_kernel
	.section	.text._ZN7rocprim17ROCPRIM_304000_NS6detail45device_block_merge_mergepath_partition_kernelINS1_37wrapped_merge_sort_block_merge_configINS0_14default_configEfN2at4cuda3cub6detail10OpaqueTypeILi8EEEEEPfjNS1_19radix_merge_compareILb0ELb0EfNS0_19identity_decomposerEEEEEvT0_T1_jPSH_T2_SH_,"axG",@progbits,_ZN7rocprim17ROCPRIM_304000_NS6detail45device_block_merge_mergepath_partition_kernelINS1_37wrapped_merge_sort_block_merge_configINS0_14default_configEfN2at4cuda3cub6detail10OpaqueTypeILi8EEEEEPfjNS1_19radix_merge_compareILb0ELb0EfNS0_19identity_decomposerEEEEEvT0_T1_jPSH_T2_SH_,comdat
.Lfunc_end134:
	.size	_ZN7rocprim17ROCPRIM_304000_NS6detail45device_block_merge_mergepath_partition_kernelINS1_37wrapped_merge_sort_block_merge_configINS0_14default_configEfN2at4cuda3cub6detail10OpaqueTypeILi8EEEEEPfjNS1_19radix_merge_compareILb0ELb0EfNS0_19identity_decomposerEEEEEvT0_T1_jPSH_T2_SH_, .Lfunc_end134-_ZN7rocprim17ROCPRIM_304000_NS6detail45device_block_merge_mergepath_partition_kernelINS1_37wrapped_merge_sort_block_merge_configINS0_14default_configEfN2at4cuda3cub6detail10OpaqueTypeILi8EEEEEPfjNS1_19radix_merge_compareILb0ELb0EfNS0_19identity_decomposerEEEEEvT0_T1_jPSH_T2_SH_
                                        ; -- End function
	.set _ZN7rocprim17ROCPRIM_304000_NS6detail45device_block_merge_mergepath_partition_kernelINS1_37wrapped_merge_sort_block_merge_configINS0_14default_configEfN2at4cuda3cub6detail10OpaqueTypeILi8EEEEEPfjNS1_19radix_merge_compareILb0ELb0EfNS0_19identity_decomposerEEEEEvT0_T1_jPSH_T2_SH_.num_vgpr, 16
	.set _ZN7rocprim17ROCPRIM_304000_NS6detail45device_block_merge_mergepath_partition_kernelINS1_37wrapped_merge_sort_block_merge_configINS0_14default_configEfN2at4cuda3cub6detail10OpaqueTypeILi8EEEEEPfjNS1_19radix_merge_compareILb0ELb0EfNS0_19identity_decomposerEEEEEvT0_T1_jPSH_T2_SH_.num_agpr, 0
	.set _ZN7rocprim17ROCPRIM_304000_NS6detail45device_block_merge_mergepath_partition_kernelINS1_37wrapped_merge_sort_block_merge_configINS0_14default_configEfN2at4cuda3cub6detail10OpaqueTypeILi8EEEEEPfjNS1_19radix_merge_compareILb0ELb0EfNS0_19identity_decomposerEEEEEvT0_T1_jPSH_T2_SH_.numbered_sgpr, 7
	.set _ZN7rocprim17ROCPRIM_304000_NS6detail45device_block_merge_mergepath_partition_kernelINS1_37wrapped_merge_sort_block_merge_configINS0_14default_configEfN2at4cuda3cub6detail10OpaqueTypeILi8EEEEEPfjNS1_19radix_merge_compareILb0ELb0EfNS0_19identity_decomposerEEEEEvT0_T1_jPSH_T2_SH_.num_named_barrier, 0
	.set _ZN7rocprim17ROCPRIM_304000_NS6detail45device_block_merge_mergepath_partition_kernelINS1_37wrapped_merge_sort_block_merge_configINS0_14default_configEfN2at4cuda3cub6detail10OpaqueTypeILi8EEEEEPfjNS1_19radix_merge_compareILb0ELb0EfNS0_19identity_decomposerEEEEEvT0_T1_jPSH_T2_SH_.private_seg_size, 0
	.set _ZN7rocprim17ROCPRIM_304000_NS6detail45device_block_merge_mergepath_partition_kernelINS1_37wrapped_merge_sort_block_merge_configINS0_14default_configEfN2at4cuda3cub6detail10OpaqueTypeILi8EEEEEPfjNS1_19radix_merge_compareILb0ELb0EfNS0_19identity_decomposerEEEEEvT0_T1_jPSH_T2_SH_.uses_vcc, 1
	.set _ZN7rocprim17ROCPRIM_304000_NS6detail45device_block_merge_mergepath_partition_kernelINS1_37wrapped_merge_sort_block_merge_configINS0_14default_configEfN2at4cuda3cub6detail10OpaqueTypeILi8EEEEEPfjNS1_19radix_merge_compareILb0ELb0EfNS0_19identity_decomposerEEEEEvT0_T1_jPSH_T2_SH_.uses_flat_scratch, 0
	.set _ZN7rocprim17ROCPRIM_304000_NS6detail45device_block_merge_mergepath_partition_kernelINS1_37wrapped_merge_sort_block_merge_configINS0_14default_configEfN2at4cuda3cub6detail10OpaqueTypeILi8EEEEEPfjNS1_19radix_merge_compareILb0ELb0EfNS0_19identity_decomposerEEEEEvT0_T1_jPSH_T2_SH_.has_dyn_sized_stack, 0
	.set _ZN7rocprim17ROCPRIM_304000_NS6detail45device_block_merge_mergepath_partition_kernelINS1_37wrapped_merge_sort_block_merge_configINS0_14default_configEfN2at4cuda3cub6detail10OpaqueTypeILi8EEEEEPfjNS1_19radix_merge_compareILb0ELb0EfNS0_19identity_decomposerEEEEEvT0_T1_jPSH_T2_SH_.has_recursion, 0
	.set _ZN7rocprim17ROCPRIM_304000_NS6detail45device_block_merge_mergepath_partition_kernelINS1_37wrapped_merge_sort_block_merge_configINS0_14default_configEfN2at4cuda3cub6detail10OpaqueTypeILi8EEEEEPfjNS1_19radix_merge_compareILb0ELb0EfNS0_19identity_decomposerEEEEEvT0_T1_jPSH_T2_SH_.has_indirect_call, 0
	.section	.AMDGPU.csdata,"",@progbits
; Kernel info:
; codeLenInByte = 416
; TotalNumSgprs: 11
; NumVgprs: 16
; ScratchSize: 0
; MemoryBound: 0
; FloatMode: 240
; IeeeMode: 1
; LDSByteSize: 0 bytes/workgroup (compile time only)
; SGPRBlocks: 1
; VGPRBlocks: 3
; NumSGPRsForWavesPerEU: 11
; NumVGPRsForWavesPerEU: 16
; Occupancy: 10
; WaveLimiterHint : 0
; COMPUTE_PGM_RSRC2:SCRATCH_EN: 0
; COMPUTE_PGM_RSRC2:USER_SGPR: 6
; COMPUTE_PGM_RSRC2:TRAP_HANDLER: 0
; COMPUTE_PGM_RSRC2:TGID_X_EN: 1
; COMPUTE_PGM_RSRC2:TGID_Y_EN: 0
; COMPUTE_PGM_RSRC2:TGID_Z_EN: 0
; COMPUTE_PGM_RSRC2:TIDIG_COMP_CNT: 0
	.section	.text._ZN7rocprim17ROCPRIM_304000_NS6detail35device_block_merge_mergepath_kernelINS1_37wrapped_merge_sort_block_merge_configINS0_14default_configEfN2at4cuda3cub6detail10OpaqueTypeILi8EEEEEPfSC_PSA_SD_jNS1_19radix_merge_compareILb0ELb0EfNS0_19identity_decomposerEEEEEvT0_T1_T2_T3_T4_SL_jT5_PKSL_NS1_7vsmem_tE,"axG",@progbits,_ZN7rocprim17ROCPRIM_304000_NS6detail35device_block_merge_mergepath_kernelINS1_37wrapped_merge_sort_block_merge_configINS0_14default_configEfN2at4cuda3cub6detail10OpaqueTypeILi8EEEEEPfSC_PSA_SD_jNS1_19radix_merge_compareILb0ELb0EfNS0_19identity_decomposerEEEEEvT0_T1_T2_T3_T4_SL_jT5_PKSL_NS1_7vsmem_tE,comdat
	.protected	_ZN7rocprim17ROCPRIM_304000_NS6detail35device_block_merge_mergepath_kernelINS1_37wrapped_merge_sort_block_merge_configINS0_14default_configEfN2at4cuda3cub6detail10OpaqueTypeILi8EEEEEPfSC_PSA_SD_jNS1_19radix_merge_compareILb0ELb0EfNS0_19identity_decomposerEEEEEvT0_T1_T2_T3_T4_SL_jT5_PKSL_NS1_7vsmem_tE ; -- Begin function _ZN7rocprim17ROCPRIM_304000_NS6detail35device_block_merge_mergepath_kernelINS1_37wrapped_merge_sort_block_merge_configINS0_14default_configEfN2at4cuda3cub6detail10OpaqueTypeILi8EEEEEPfSC_PSA_SD_jNS1_19radix_merge_compareILb0ELb0EfNS0_19identity_decomposerEEEEEvT0_T1_T2_T3_T4_SL_jT5_PKSL_NS1_7vsmem_tE
	.globl	_ZN7rocprim17ROCPRIM_304000_NS6detail35device_block_merge_mergepath_kernelINS1_37wrapped_merge_sort_block_merge_configINS0_14default_configEfN2at4cuda3cub6detail10OpaqueTypeILi8EEEEEPfSC_PSA_SD_jNS1_19radix_merge_compareILb0ELb0EfNS0_19identity_decomposerEEEEEvT0_T1_T2_T3_T4_SL_jT5_PKSL_NS1_7vsmem_tE
	.p2align	8
	.type	_ZN7rocprim17ROCPRIM_304000_NS6detail35device_block_merge_mergepath_kernelINS1_37wrapped_merge_sort_block_merge_configINS0_14default_configEfN2at4cuda3cub6detail10OpaqueTypeILi8EEEEEPfSC_PSA_SD_jNS1_19radix_merge_compareILb0ELb0EfNS0_19identity_decomposerEEEEEvT0_T1_T2_T3_T4_SL_jT5_PKSL_NS1_7vsmem_tE,@function
_ZN7rocprim17ROCPRIM_304000_NS6detail35device_block_merge_mergepath_kernelINS1_37wrapped_merge_sort_block_merge_configINS0_14default_configEfN2at4cuda3cub6detail10OpaqueTypeILi8EEEEEPfSC_PSA_SD_jNS1_19radix_merge_compareILb0ELb0EfNS0_19identity_decomposerEEEEEvT0_T1_T2_T3_T4_SL_jT5_PKSL_NS1_7vsmem_tE: ; @_ZN7rocprim17ROCPRIM_304000_NS6detail35device_block_merge_mergepath_kernelINS1_37wrapped_merge_sort_block_merge_configINS0_14default_configEfN2at4cuda3cub6detail10OpaqueTypeILi8EEEEEPfSC_PSA_SD_jNS1_19radix_merge_compareILb0ELb0EfNS0_19identity_decomposerEEEEEvT0_T1_T2_T3_T4_SL_jT5_PKSL_NS1_7vsmem_tE
; %bb.0:
	s_load_dwordx2 s[26:27], s[4:5], 0x40
	s_load_dwordx4 s[16:19], s[4:5], 0x20
	s_add_u32 s2, s4, 64
	s_addc_u32 s3, s5, 0
	s_waitcnt lgkmcnt(0)
	s_mul_i32 s0, s27, s8
	s_add_i32 s0, s0, s7
	s_mul_i32 s0, s0, s26
	s_add_i32 s0, s0, s6
	s_cmp_ge_u32 s0, s18
	s_cbranch_scc1 .LBB135_135
; %bb.1:
	s_load_dwordx8 s[8:15], s[4:5], 0x0
	s_load_dwordx2 s[18:19], s[4:5], 0x30
	s_lshr_b32 s27, s16, 10
	s_cmp_lg_u32 s0, s27
	s_mov_b32 s1, 0
	s_cselect_b64 s[20:21], -1, 0
	s_lshl_b64 s[4:5], s[0:1], 2
	s_waitcnt lgkmcnt(0)
	s_add_u32 s4, s18, s4
	s_addc_u32 s5, s19, s5
	s_load_dwordx2 s[22:23], s[4:5], 0x0
	s_lshr_b32 s4, s17, 9
	s_and_b32 s4, s4, 0x7ffffe
	s_sub_i32 s4, 0, s4
	s_and_b32 s5, s0, s4
	s_lshl_b32 s7, s5, 10
	s_lshl_b32 s18, s0, 10
	s_lshl_b32 s5, s5, 11
	s_sub_i32 s19, s18, s7
	s_add_i32 s5, s5, s17
	s_add_i32 s19, s5, s19
	s_waitcnt lgkmcnt(0)
	s_sub_i32 s24, s19, s22
	s_sub_i32 s19, s19, s23
	;; [unrolled: 1-line block ×3, first 2 shown]
	s_min_u32 s24, s16, s24
	s_addk_i32 s19, 0x400
	s_or_b32 s4, s0, s4
	s_min_u32 s7, s16, s5
	s_add_i32 s5, s5, s17
	s_cmp_eq_u32 s4, -1
	s_cselect_b32 s4, s5, s19
	s_cselect_b32 s5, s7, s23
	s_min_u32 s4, s4, s16
	s_mov_b32 s23, s1
	s_sub_i32 s19, s5, s22
	s_sub_i32 s33, s4, s24
	s_lshl_b64 s[28:29], s[22:23], 2
	s_add_u32 s5, s8, s28
	s_mov_b32 s25, s1
	s_addc_u32 s7, s9, s29
	s_lshl_b64 s[28:29], s[24:25], 2
	s_add_u32 s4, s8, s28
	v_mov_b32_e32 v10, 0
	global_load_dword v1, v10, s[2:3] offset:14
	s_addc_u32 s8, s9, s29
	s_cmp_lt_u32 s6, s26
	s_cselect_b32 s1, 12, 18
	s_add_u32 s2, s2, s1
	s_addc_u32 s3, s3, 0
	global_load_ushort v2, v10, s[2:3]
	s_cmp_eq_u32 s0, s27
	v_cmp_gt_u32_e32 vcc, s19, v0
	v_lshlrev_b32_e32 v13, 2, v0
	s_waitcnt vmcnt(1)
	v_lshrrev_b32_e32 v3, 16, v1
	v_and_b32_e32 v1, 0xffff, v1
	v_mul_lo_u32 v1, v1, v3
	s_waitcnt vmcnt(0)
	v_mul_lo_u32 v11, v1, v2
	v_add_u32_e32 v9, v11, v0
	s_cbranch_scc1 .LBB135_3
; %bb.2:
	v_mov_b32_e32 v1, s7
	v_add_co_u32_e64 v3, s[0:1], s5, v13
	v_subrev_u32_e32 v2, s19, v0
	v_addc_co_u32_e64 v1, s[0:1], 0, v1, s[0:1]
	v_lshlrev_b32_e32 v2, 2, v2
	v_mov_b32_e32 v4, s8
	v_add_co_u32_e64 v5, s[0:1], s4, v2
	v_addc_co_u32_e64 v2, s[0:1], 0, v4, s[0:1]
	v_cndmask_b32_e32 v2, v2, v1, vcc
	v_cndmask_b32_e32 v1, v5, v3, vcc
	global_load_dword v1, v[1:2], off
	v_lshlrev_b64 v[2:3], 2, v[9:10]
	v_mov_b32_e32 v4, s7
	v_add_co_u32_e32 v5, vcc, s5, v2
	v_addc_co_u32_e32 v4, vcc, v4, v3, vcc
	v_subrev_co_u32_e32 v2, vcc, s19, v9
	v_mov_b32_e32 v3, v10
	v_lshlrev_b64 v[2:3], 2, v[2:3]
	v_mov_b32_e32 v6, s8
	v_add_co_u32_e64 v2, s[0:1], s4, v2
	v_addc_co_u32_e64 v3, s[0:1], v6, v3, s[0:1]
	v_cndmask_b32_e32 v3, v3, v4, vcc
	v_cndmask_b32_e32 v2, v2, v5, vcc
	v_add_u32_e32 v4, v9, v11
	v_mov_b32_e32 v5, v10
	v_lshlrev_b64 v[5:6], 2, v[4:5]
	global_load_dword v2, v[2:3], off
	v_mov_b32_e32 v3, s7
	v_add_co_u32_e32 v7, vcc, s5, v5
	v_addc_co_u32_e32 v3, vcc, v3, v6, vcc
	v_subrev_co_u32_e32 v5, vcc, s19, v4
	v_mov_b32_e32 v6, v10
	v_lshlrev_b64 v[5:6], 2, v[5:6]
	v_mov_b32_e32 v8, s8
	v_add_co_u32_e64 v5, s[0:1], s4, v5
	v_addc_co_u32_e64 v6, s[0:1], v8, v6, s[0:1]
	v_cndmask_b32_e32 v6, v6, v3, vcc
	v_cndmask_b32_e32 v5, v5, v7, vcc
	global_load_dword v3, v[5:6], off
	v_add_u32_e32 v5, v4, v11
	v_mov_b32_e32 v6, v10
	v_lshlrev_b64 v[6:7], 2, v[5:6]
	v_mov_b32_e32 v4, s7
	v_add_co_u32_e32 v8, vcc, s5, v6
	v_addc_co_u32_e32 v4, vcc, v4, v7, vcc
	v_subrev_co_u32_e32 v6, vcc, s19, v5
	v_mov_b32_e32 v7, v10
	v_lshlrev_b64 v[6:7], 2, v[6:7]
	v_mov_b32_e32 v12, s8
	v_add_co_u32_e64 v6, s[0:1], s4, v6
	v_addc_co_u32_e64 v7, s[0:1], v12, v7, s[0:1]
	v_cndmask_b32_e32 v7, v7, v4, vcc
	v_cndmask_b32_e32 v6, v6, v8, vcc
	global_load_dword v4, v[6:7], off
	v_add_u32_e32 v6, v5, v11
	v_mov_b32_e32 v7, v10
	v_lshlrev_b64 v[7:8], 2, v[6:7]
	;; [unrolled: 15-line block ×4, first 2 shown]
	v_mov_b32_e32 v12, s7
	v_add_co_u32_e32 v15, vcc, s5, v7
	v_addc_co_u32_e32 v12, vcc, v12, v8, vcc
	v_subrev_co_u32_e32 v7, vcc, s19, v14
	v_mov_b32_e32 v8, v10
	v_lshlrev_b64 v[7:8], 2, v[7:8]
	v_mov_b32_e32 v16, s8
	v_add_co_u32_e64 v7, s[0:1], s4, v7
	v_cndmask_b32_e32 v7, v7, v15, vcc
	v_add_u32_e32 v14, v14, v11
	v_mov_b32_e32 v15, v10
	v_addc_co_u32_e64 v8, s[0:1], v16, v8, s[0:1]
	v_lshlrev_b64 v[15:16], 2, v[14:15]
	v_cndmask_b32_e32 v8, v8, v12, vcc
	global_load_dword v7, v[7:8], off
	v_mov_b32_e32 v8, s7
	v_add_co_u32_e32 v12, vcc, s5, v15
	v_addc_co_u32_e32 v8, vcc, v8, v16, vcc
	v_subrev_co_u32_e32 v14, vcc, s19, v14
	v_mov_b32_e32 v15, v10
	v_lshlrev_b64 v[14:15], 2, v[14:15]
	v_mov_b32_e32 v10, s8
	v_add_co_u32_e64 v14, s[0:1], s4, v14
	v_addc_co_u32_e64 v10, s[0:1], v10, v15, s[0:1]
	v_cndmask_b32_e32 v15, v10, v8, vcc
	v_cndmask_b32_e32 v14, v14, v12, vcc
	global_load_dword v8, v[14:15], off
	s_add_i32 s17, s33, s19
	s_cbranch_execz .LBB135_4
	s_branch .LBB135_21
.LBB135_3:
                                        ; implicit-def: $vgpr1_vgpr2_vgpr3_vgpr4_vgpr5_vgpr6_vgpr7_vgpr8
                                        ; implicit-def: $sgpr17
.LBB135_4:
	s_add_i32 s17, s33, s19
	s_waitcnt vmcnt(7)
	v_mov_b32_e32 v1, 0
	v_cmp_gt_u32_e32 vcc, s17, v0
	s_waitcnt vmcnt(6)
	v_mov_b32_e32 v2, v1
	s_waitcnt vmcnt(5)
	v_mov_b32_e32 v3, v1
	;; [unrolled: 2-line block ×7, first 2 shown]
	s_and_saveexec_b64 s[0:1], vcc
	s_cbranch_execz .LBB135_6
; %bb.5:
	v_mov_b32_e32 v2, s7
	v_add_co_u32_e32 v4, vcc, s5, v13
	v_subrev_u32_e32 v3, s19, v0
	v_addc_co_u32_e32 v2, vcc, 0, v2, vcc
	v_lshlrev_b32_e32 v3, 2, v3
	v_mov_b32_e32 v5, s8
	v_add_co_u32_e32 v6, vcc, s4, v3
	v_addc_co_u32_e32 v3, vcc, 0, v5, vcc
	v_cmp_gt_u32_e32 vcc, s19, v0
	v_cndmask_b32_e32 v3, v3, v2, vcc
	v_cndmask_b32_e32 v2, v6, v4, vcc
	global_load_dword v14, v[2:3], off
	v_mov_b32_e32 v15, v1
	v_mov_b32_e32 v16, v1
	;; [unrolled: 1-line block ×7, first 2 shown]
	s_waitcnt vmcnt(0)
	v_mov_b32_e32 v1, v14
	v_mov_b32_e32 v2, v15
	;; [unrolled: 1-line block ×8, first 2 shown]
.LBB135_6:
	s_or_b64 exec, exec, s[0:1]
	v_cmp_gt_u32_e32 vcc, s17, v9
	s_and_saveexec_b64 s[2:3], vcc
	s_cbranch_execz .LBB135_8
; %bb.7:
	v_mov_b32_e32 v10, 0
	v_lshlrev_b64 v[14:15], 2, v[9:10]
	v_mov_b32_e32 v2, s7
	v_add_co_u32_e32 v12, vcc, s5, v14
	v_addc_co_u32_e32 v2, vcc, v2, v15, vcc
	v_subrev_co_u32_e32 v14, vcc, s19, v9
	v_mov_b32_e32 v15, v10
	v_lshlrev_b64 v[14:15], 2, v[14:15]
	v_mov_b32_e32 v10, s8
	v_add_co_u32_e64 v14, s[0:1], s4, v14
	v_addc_co_u32_e64 v10, s[0:1], v10, v15, s[0:1]
	v_cndmask_b32_e32 v15, v10, v2, vcc
	v_cndmask_b32_e32 v14, v14, v12, vcc
	global_load_dword v2, v[14:15], off
.LBB135_8:
	s_or_b64 exec, exec, s[2:3]
	v_add_u32_e32 v9, v9, v11
	v_cmp_gt_u32_e32 vcc, s17, v9
	s_and_saveexec_b64 s[2:3], vcc
	s_cbranch_execz .LBB135_10
; %bb.9:
	v_mov_b32_e32 v10, 0
	v_lshlrev_b64 v[14:15], 2, v[9:10]
	v_mov_b32_e32 v3, s7
	v_add_co_u32_e32 v12, vcc, s5, v14
	v_addc_co_u32_e32 v3, vcc, v3, v15, vcc
	v_subrev_co_u32_e32 v14, vcc, s19, v9
	v_mov_b32_e32 v15, v10
	v_lshlrev_b64 v[14:15], 2, v[14:15]
	v_mov_b32_e32 v10, s8
	v_add_co_u32_e64 v14, s[0:1], s4, v14
	v_addc_co_u32_e64 v10, s[0:1], v10, v15, s[0:1]
	v_cndmask_b32_e32 v15, v10, v3, vcc
	v_cndmask_b32_e32 v14, v14, v12, vcc
	global_load_dword v3, v[14:15], off
.LBB135_10:
	s_or_b64 exec, exec, s[2:3]
	v_add_u32_e32 v9, v9, v11
	;; [unrolled: 21-line block ×6, first 2 shown]
	v_cmp_gt_u32_e32 vcc, s17, v9
	s_and_saveexec_b64 s[2:3], vcc
	s_cbranch_execz .LBB135_20
; %bb.19:
	v_mov_b32_e32 v10, 0
	v_lshlrev_b64 v[11:12], 2, v[9:10]
	v_mov_b32_e32 v8, s7
	v_add_co_u32_e32 v11, vcc, s5, v11
	v_addc_co_u32_e32 v12, vcc, v8, v12, vcc
	v_subrev_co_u32_e32 v9, vcc, s19, v9
	v_lshlrev_b64 v[8:9], 2, v[9:10]
	v_mov_b32_e32 v10, s8
	v_add_co_u32_e64 v8, s[0:1], s4, v8
	v_addc_co_u32_e64 v9, s[0:1], v10, v9, s[0:1]
	v_cndmask_b32_e32 v9, v9, v12, vcc
	v_cndmask_b32_e32 v8, v8, v11, vcc
	global_load_dword v8, v[8:9], off
.LBB135_20:
	s_or_b64 exec, exec, s[2:3]
.LBB135_21:
	v_lshlrev_b32_e32 v14, 3, v0
	v_min_u32_e32 v10, s17, v14
	v_sub_u32_e64 v9, v10, s33 clamp
	v_min_u32_e32 v11, s19, v10
	v_cmp_lt_u32_e32 vcc, v9, v11
	s_waitcnt vmcnt(0)
	ds_write2st64_b32 v13, v1, v2 offset1:2
	ds_write2st64_b32 v13, v3, v4 offset0:4 offset1:6
	ds_write2st64_b32 v13, v5, v6 offset0:8 offset1:10
	;; [unrolled: 1-line block ×3, first 2 shown]
	s_waitcnt lgkmcnt(0)
	s_barrier
	s_and_saveexec_b64 s[0:1], vcc
	s_cbranch_execz .LBB135_25
; %bb.22:
	v_lshlrev_b32_e32 v12, 2, v10
	v_lshl_add_u32 v12, s19, 2, v12
	s_mov_b64 s[2:3], 0
	s_brev_b32 s4, 1
	v_bfrev_b32_e32 v15, 1
.LBB135_23:                             ; =>This Inner Loop Header: Depth=1
	v_add_u32_e32 v16, v11, v9
	v_lshrrev_b32_e32 v16, 1, v16
	v_not_b32_e32 v17, v16
	v_lshlrev_b32_e32 v18, 2, v16
	ds_read_b32 v18, v18
	v_lshl_add_u32 v17, v17, 2, v12
	ds_read_b32 v17, v17
	v_add_u32_e32 v19, 1, v16
	s_waitcnt lgkmcnt(1)
	v_cmp_ne_u32_e32 vcc, s4, v18
	v_cndmask_b32_e32 v18, 0, v18, vcc
	s_waitcnt lgkmcnt(0)
	v_cmp_ne_u32_e32 vcc, s4, v17
	v_cndmask_b32_e32 v17, 0, v17, vcc
	v_cmp_lt_i32_e32 vcc, -1, v18
	v_cndmask_b32_e32 v20, -1, v15, vcc
	v_cmp_lt_i32_e32 vcc, -1, v17
	v_xor_b32_e32 v18, v20, v18
	v_cndmask_b32_e32 v20, -1, v15, vcc
	v_xor_b32_e32 v17, v20, v17
	v_cmp_gt_u32_e32 vcc, v18, v17
	v_cndmask_b32_e32 v11, v11, v16, vcc
	v_cndmask_b32_e32 v9, v19, v9, vcc
	v_cmp_ge_u32_e32 vcc, v9, v11
	s_or_b64 s[2:3], vcc, s[2:3]
	s_andn2_b64 exec, exec, s[2:3]
	s_cbranch_execnz .LBB135_23
; %bb.24:
	s_or_b64 exec, exec, s[2:3]
.LBB135_25:
	s_or_b64 exec, exec, s[0:1]
	v_sub_u32_e32 v10, v10, v9
	v_add_u32_e32 v10, s19, v10
	v_cmp_ge_u32_e32 vcc, s19, v9
	v_cmp_ge_u32_e64 s[0:1], s17, v10
	s_or_b64 s[0:1], vcc, s[0:1]
	v_mov_b32_e32 v22, 0
	v_mov_b32_e32 v21, 0
	;; [unrolled: 1-line block ×8, first 2 shown]
	s_and_saveexec_b64 s[2:3], s[0:1]
	s_cbranch_execz .LBB135_61
; %bb.26:
	v_cmp_le_u32_e32 vcc, s19, v9
	v_cmp_gt_u32_e64 s[0:1], s19, v9
                                        ; implicit-def: $vgpr1
	s_and_saveexec_b64 s[4:5], s[0:1]
; %bb.27:
	v_lshlrev_b32_e32 v1, 2, v9
	ds_read_b32 v1, v1
; %bb.28:
	s_or_b64 exec, exec, s[4:5]
	v_cmp_le_u32_e64 s[4:5], s17, v10
	v_cmp_gt_u32_e64 s[0:1], s17, v10
                                        ; implicit-def: $vgpr2
	s_and_saveexec_b64 s[6:7], s[0:1]
; %bb.29:
	v_lshlrev_b32_e32 v2, 2, v10
	ds_read_b32 v2, v2
; %bb.30:
	s_or_b64 exec, exec, s[6:7]
	s_nor_b64 s[6:7], vcc, s[4:5]
	s_and_saveexec_b64 s[0:1], s[6:7]
	s_cbranch_execz .LBB135_32
; %bb.31:
	s_brev_b32 s6, 1
	s_waitcnt lgkmcnt(0)
	v_cmp_ne_u32_e32 vcc, s6, v1
	v_cndmask_b32_e32 v3, 0, v1, vcc
	v_cmp_ne_u32_e32 vcc, s6, v2
	v_cndmask_b32_e32 v4, 0, v2, vcc
	v_bfrev_b32_e32 v5, 1
	v_cmp_lt_i32_e32 vcc, -1, v3
	v_cndmask_b32_e32 v6, -1, v5, vcc
	v_cmp_lt_i32_e32 vcc, -1, v4
	v_cndmask_b32_e32 v5, -1, v5, vcc
	v_xor_b32_e32 v3, v6, v3
	v_xor_b32_e32 v4, v5, v4
	v_cmp_le_u32_e32 vcc, v3, v4
	s_andn2_b64 s[4:5], s[4:5], exec
	s_and_b64 s[6:7], vcc, exec
	s_or_b64 s[4:5], s[4:5], s[6:7]
.LBB135_32:
	s_or_b64 exec, exec, s[0:1]
	v_mov_b32_e32 v3, s17
	v_mov_b32_e32 v4, s19
	v_cndmask_b32_e64 v15, v10, v9, s[4:5]
	v_cndmask_b32_e64 v3, v3, v4, s[4:5]
	v_add_u32_e32 v5, 1, v15
	v_add_u32_e32 v3, -1, v3
	v_min_u32_e32 v3, v5, v3
	v_lshlrev_b32_e32 v3, 2, v3
	ds_read_b32 v4, v3
	v_cndmask_b32_e64 v7, v5, v10, s[4:5]
	v_cndmask_b32_e64 v8, v9, v5, s[4:5]
	v_cmp_gt_u32_e32 vcc, s17, v7
	s_mov_b64 s[0:1], -1
	s_waitcnt lgkmcnt(0)
	v_cndmask_b32_e64 v3, v4, v2, s[4:5]
	v_cndmask_b32_e64 v4, v1, v4, s[4:5]
	s_mov_b64 s[6:7], -1
	s_and_saveexec_b64 s[8:9], vcc
	s_cbranch_execz .LBB135_36
; %bb.33:
	v_cmp_gt_u32_e32 vcc, s19, v8
	s_mov_b64 s[26:27], 0
	s_and_saveexec_b64 s[6:7], vcc
	s_cbranch_execz .LBB135_35
; %bb.34:
	s_brev_b32 s26, 1
	v_cmp_ne_u32_e32 vcc, s26, v4
	v_cndmask_b32_e32 v5, 0, v4, vcc
	v_cmp_ne_u32_e32 vcc, s26, v3
	v_cndmask_b32_e32 v6, 0, v3, vcc
	v_bfrev_b32_e32 v9, 1
	v_cmp_lt_i32_e32 vcc, -1, v5
	v_cndmask_b32_e32 v10, -1, v9, vcc
	v_cmp_lt_i32_e32 vcc, -1, v6
	v_cndmask_b32_e32 v9, -1, v9, vcc
	v_xor_b32_e32 v5, v10, v5
	v_xor_b32_e32 v6, v9, v6
	v_cmp_le_u32_e32 vcc, v5, v6
	s_and_b64 s[26:27], vcc, exec
.LBB135_35:
	s_or_b64 exec, exec, s[6:7]
	s_orn2_b64 s[6:7], s[26:27], exec
.LBB135_36:
	s_or_b64 exec, exec, s[8:9]
	v_mov_b32_e32 v5, s17
	v_mov_b32_e32 v6, s19
	v_cndmask_b32_e64 v16, v7, v8, s[6:7]
	v_cndmask_b32_e64 v5, v5, v6, s[6:7]
	v_add_u32_e32 v10, 1, v16
	v_add_u32_e32 v5, -1, v5
	v_min_u32_e32 v5, v10, v5
	v_lshlrev_b32_e32 v5, 2, v5
	ds_read_b32 v6, v5
	v_cndmask_b32_e64 v9, v10, v7, s[6:7]
	v_cndmask_b32_e64 v10, v8, v10, s[6:7]
	v_cmp_gt_u32_e32 vcc, s17, v9
	s_waitcnt lgkmcnt(0)
	v_cndmask_b32_e64 v5, v6, v3, s[6:7]
	v_cndmask_b32_e64 v6, v4, v6, s[6:7]
	s_and_saveexec_b64 s[8:9], vcc
	s_cbranch_execz .LBB135_40
; %bb.37:
	v_cmp_gt_u32_e32 vcc, s19, v10
	s_mov_b64 s[26:27], 0
	s_and_saveexec_b64 s[0:1], vcc
	s_cbranch_execz .LBB135_39
; %bb.38:
	s_brev_b32 s26, 1
	v_cmp_ne_u32_e32 vcc, s26, v6
	v_cndmask_b32_e32 v7, 0, v6, vcc
	v_cmp_ne_u32_e32 vcc, s26, v5
	v_cndmask_b32_e32 v8, 0, v5, vcc
	v_bfrev_b32_e32 v11, 1
	v_cmp_lt_i32_e32 vcc, -1, v7
	v_cndmask_b32_e32 v12, -1, v11, vcc
	v_cmp_lt_i32_e32 vcc, -1, v8
	v_cndmask_b32_e32 v11, -1, v11, vcc
	v_xor_b32_e32 v7, v12, v7
	v_xor_b32_e32 v8, v11, v8
	v_cmp_le_u32_e32 vcc, v7, v8
	s_and_b64 s[26:27], vcc, exec
.LBB135_39:
	s_or_b64 exec, exec, s[0:1]
	s_orn2_b64 s[0:1], s[26:27], exec
.LBB135_40:
	s_or_b64 exec, exec, s[8:9]
	v_mov_b32_e32 v7, s17
	v_mov_b32_e32 v8, s19
	v_cndmask_b32_e64 v17, v9, v10, s[0:1]
	v_cndmask_b32_e64 v7, v7, v8, s[0:1]
	v_add_u32_e32 v12, 1, v17
	v_add_u32_e32 v7, -1, v7
	v_min_u32_e32 v7, v12, v7
	v_lshlrev_b32_e32 v7, 2, v7
	ds_read_b32 v8, v7
	v_cndmask_b32_e64 v11, v12, v9, s[0:1]
	v_cndmask_b32_e64 v12, v10, v12, s[0:1]
	v_cmp_gt_u32_e32 vcc, s17, v11
	s_mov_b64 s[8:9], -1
	s_waitcnt lgkmcnt(0)
	v_cndmask_b32_e64 v7, v8, v5, s[0:1]
	v_cndmask_b32_e64 v8, v6, v8, s[0:1]
	s_mov_b64 s[26:27], -1
	s_and_saveexec_b64 s[28:29], vcc
	s_cbranch_execz .LBB135_44
; %bb.41:
	v_cmp_gt_u32_e32 vcc, s19, v12
	s_mov_b64 s[30:31], 0
	s_and_saveexec_b64 s[26:27], vcc
	s_cbranch_execz .LBB135_43
; %bb.42:
	s_brev_b32 s30, 1
	v_cmp_ne_u32_e32 vcc, s30, v8
	v_cndmask_b32_e32 v9, 0, v8, vcc
	v_cmp_ne_u32_e32 vcc, s30, v7
	v_cndmask_b32_e32 v10, 0, v7, vcc
	v_bfrev_b32_e32 v18, 1
	v_cmp_lt_i32_e32 vcc, -1, v9
	v_cndmask_b32_e32 v19, -1, v18, vcc
	v_cmp_lt_i32_e32 vcc, -1, v10
	v_cndmask_b32_e32 v18, -1, v18, vcc
	v_xor_b32_e32 v9, v19, v9
	v_xor_b32_e32 v10, v18, v10
	v_cmp_le_u32_e32 vcc, v9, v10
	s_and_b64 s[30:31], vcc, exec
.LBB135_43:
	s_or_b64 exec, exec, s[26:27]
	s_orn2_b64 s[26:27], s[30:31], exec
.LBB135_44:
	s_or_b64 exec, exec, s[28:29]
	v_mov_b32_e32 v9, s17
	v_mov_b32_e32 v10, s19
	v_cndmask_b32_e64 v18, v11, v12, s[26:27]
	v_cndmask_b32_e64 v9, v9, v10, s[26:27]
	v_add_u32_e32 v19, 1, v18
	v_add_u32_e32 v9, -1, v9
	v_min_u32_e32 v9, v19, v9
	v_lshlrev_b32_e32 v9, 2, v9
	ds_read_b32 v10, v9
	v_cndmask_b32_e64 v20, v19, v11, s[26:27]
	v_cndmask_b32_e64 v22, v12, v19, s[26:27]
	v_cmp_gt_u32_e32 vcc, s17, v20
	s_waitcnt lgkmcnt(0)
	v_cndmask_b32_e64 v9, v10, v7, s[26:27]
	v_cndmask_b32_e64 v10, v8, v10, s[26:27]
	s_and_saveexec_b64 s[28:29], vcc
	s_cbranch_execz .LBB135_48
; %bb.45:
	v_cmp_gt_u32_e32 vcc, s19, v22
	s_mov_b64 s[30:31], 0
	s_and_saveexec_b64 s[8:9], vcc
	s_cbranch_execz .LBB135_47
; %bb.46:
	s_brev_b32 s30, 1
	v_cmp_ne_u32_e32 vcc, s30, v10
	v_cndmask_b32_e32 v11, 0, v10, vcc
	v_cmp_ne_u32_e32 vcc, s30, v9
	v_cndmask_b32_e32 v12, 0, v9, vcc
	v_bfrev_b32_e32 v19, 1
	v_cmp_lt_i32_e32 vcc, -1, v11
	v_cndmask_b32_e32 v21, -1, v19, vcc
	v_cmp_lt_i32_e32 vcc, -1, v12
	v_cndmask_b32_e32 v19, -1, v19, vcc
	v_xor_b32_e32 v11, v21, v11
	v_xor_b32_e32 v12, v19, v12
	v_cmp_le_u32_e32 vcc, v11, v12
	s_and_b64 s[30:31], vcc, exec
.LBB135_47:
	s_or_b64 exec, exec, s[8:9]
	s_orn2_b64 s[8:9], s[30:31], exec
.LBB135_48:
	s_or_b64 exec, exec, s[28:29]
	v_mov_b32_e32 v11, s17
	v_mov_b32_e32 v12, s19
	v_cndmask_b32_e64 v19, v20, v22, s[8:9]
	v_cndmask_b32_e64 v11, v11, v12, s[8:9]
	v_add_u32_e32 v23, 1, v19
	v_add_u32_e32 v11, -1, v11
	v_min_u32_e32 v11, v23, v11
	v_lshlrev_b32_e32 v11, 2, v11
	ds_read_b32 v12, v11
	v_cndmask_b32_e64 v21, v23, v20, s[8:9]
	v_cndmask_b32_e64 v24, v22, v23, s[8:9]
	v_cmp_gt_u32_e32 vcc, s17, v21
	s_mov_b64 s[28:29], -1
	s_waitcnt lgkmcnt(0)
	v_cndmask_b32_e64 v11, v12, v9, s[8:9]
	v_cndmask_b32_e64 v12, v10, v12, s[8:9]
	s_mov_b64 s[30:31], -1
	s_and_saveexec_b64 s[34:35], vcc
	s_cbranch_execz .LBB135_52
; %bb.49:
	v_cmp_gt_u32_e32 vcc, s19, v24
	s_mov_b64 s[36:37], 0
	s_and_saveexec_b64 s[30:31], vcc
	s_cbranch_execz .LBB135_51
; %bb.50:
	s_brev_b32 s36, 1
	v_cmp_ne_u32_e32 vcc, s36, v12
	v_cndmask_b32_e32 v20, 0, v12, vcc
	v_cmp_ne_u32_e32 vcc, s36, v11
	v_cndmask_b32_e32 v22, 0, v11, vcc
	v_bfrev_b32_e32 v23, 1
	v_cmp_lt_i32_e32 vcc, -1, v20
	v_cndmask_b32_e32 v25, -1, v23, vcc
	v_cmp_lt_i32_e32 vcc, -1, v22
	v_cndmask_b32_e32 v23, -1, v23, vcc
	v_xor_b32_e32 v20, v25, v20
	v_xor_b32_e32 v22, v23, v22
	v_cmp_le_u32_e32 vcc, v20, v22
	s_and_b64 s[36:37], vcc, exec
.LBB135_51:
	s_or_b64 exec, exec, s[30:31]
	s_orn2_b64 s[30:31], s[36:37], exec
.LBB135_52:
	s_or_b64 exec, exec, s[34:35]
	v_mov_b32_e32 v22, s17
	v_mov_b32_e32 v23, s19
	v_cndmask_b32_e64 v20, v21, v24, s[30:31]
	v_cndmask_b32_e64 v22, v22, v23, s[30:31]
	v_add_u32_e32 v26, 1, v20
	v_add_u32_e32 v22, -1, v22
	v_min_u32_e32 v22, v26, v22
	v_lshlrev_b32_e32 v22, 2, v22
	ds_read_b32 v23, v22
	v_cndmask_b32_e64 v25, v26, v21, s[30:31]
	v_cndmask_b32_e64 v24, v24, v26, s[30:31]
	v_cmp_gt_u32_e32 vcc, s17, v25
	s_waitcnt lgkmcnt(0)
	v_cndmask_b32_e64 v22, v23, v11, s[30:31]
	v_cndmask_b32_e64 v23, v12, v23, s[30:31]
	s_and_saveexec_b64 s[34:35], vcc
	s_cbranch_execz .LBB135_56
; %bb.53:
	v_cmp_gt_u32_e32 vcc, s19, v24
	s_mov_b64 s[36:37], 0
	s_and_saveexec_b64 s[28:29], vcc
	s_cbranch_execz .LBB135_55
; %bb.54:
	s_brev_b32 s36, 1
	v_cmp_ne_u32_e32 vcc, s36, v23
	v_cndmask_b32_e32 v21, 0, v23, vcc
	v_cmp_ne_u32_e32 vcc, s36, v22
	v_cndmask_b32_e32 v26, 0, v22, vcc
	v_bfrev_b32_e32 v27, 1
	v_cmp_lt_i32_e32 vcc, -1, v21
	v_cndmask_b32_e32 v28, -1, v27, vcc
	v_cmp_lt_i32_e32 vcc, -1, v26
	v_cndmask_b32_e32 v27, -1, v27, vcc
	v_xor_b32_e32 v21, v28, v21
	v_xor_b32_e32 v26, v27, v26
	v_cmp_le_u32_e32 vcc, v21, v26
	s_and_b64 s[36:37], vcc, exec
.LBB135_55:
	s_or_b64 exec, exec, s[28:29]
	s_orn2_b64 s[28:29], s[36:37], exec
.LBB135_56:
	s_or_b64 exec, exec, s[34:35]
	v_mov_b32_e32 v26, s17
	v_mov_b32_e32 v27, s19
	v_cndmask_b32_e64 v21, v25, v24, s[28:29]
	v_cndmask_b32_e64 v26, v26, v27, s[28:29]
	v_add_u32_e32 v28, 1, v21
	v_add_u32_e32 v26, -1, v26
	v_min_u32_e32 v26, v28, v26
	v_lshlrev_b32_e32 v26, 2, v26
	ds_read_b32 v27, v26
	v_cndmask_b32_e64 v25, v28, v25, s[28:29]
	v_cndmask_b32_e64 v24, v24, v28, s[28:29]
	v_cmp_gt_u32_e32 vcc, s17, v25
	s_mov_b64 s[36:37], -1
	s_waitcnt lgkmcnt(0)
	v_cndmask_b32_e64 v26, v27, v22, s[28:29]
	v_cndmask_b32_e64 v27, v23, v27, s[28:29]
	s_and_saveexec_b64 s[34:35], vcc
	s_cbranch_execz .LBB135_60
; %bb.57:
	v_cmp_gt_u32_e32 vcc, s19, v24
	s_mov_b64 s[38:39], 0
	s_and_saveexec_b64 s[36:37], vcc
	s_cbranch_execz .LBB135_59
; %bb.58:
	s_brev_b32 s38, 1
	v_cmp_ne_u32_e32 vcc, s38, v27
	v_cndmask_b32_e32 v28, 0, v27, vcc
	v_cmp_ne_u32_e32 vcc, s38, v26
	v_cndmask_b32_e32 v29, 0, v26, vcc
	v_bfrev_b32_e32 v30, 1
	v_cmp_lt_i32_e32 vcc, -1, v28
	v_cndmask_b32_e32 v31, -1, v30, vcc
	v_cmp_lt_i32_e32 vcc, -1, v29
	v_cndmask_b32_e32 v30, -1, v30, vcc
	v_xor_b32_e32 v28, v31, v28
	v_xor_b32_e32 v29, v30, v29
	v_cmp_le_u32_e32 vcc, v28, v29
	s_and_b64 s[38:39], vcc, exec
.LBB135_59:
	s_or_b64 exec, exec, s[36:37]
	s_orn2_b64 s[36:37], s[38:39], exec
.LBB135_60:
	s_or_b64 exec, exec, s[34:35]
	v_cndmask_b32_e64 v1, v2, v1, s[4:5]
	v_cndmask_b32_e64 v2, v3, v4, s[6:7]
	;; [unrolled: 1-line block ×9, first 2 shown]
.LBB135_61:
	s_or_b64 exec, exec, s[2:3]
	s_lshl_b64 s[0:1], s[22:23], 3
	s_add_u32 s8, s12, s0
	s_addc_u32 s9, s13, s1
	s_lshl_b64 s[0:1], s[24:25], 3
	s_add_u32 s6, s12, s0
	v_cndmask_b32_e64 v9, 0, 1, s[20:21]
	s_addc_u32 s7, s13, s1
	v_cmp_gt_u32_e64 s[4:5], s19, v0
	v_cmp_ne_u32_e64 s[0:1], 1, v9
	s_andn2_b64 vcc, exec, s[20:21]
	v_cmp_le_u32_e64 s[2:3], s19, v0
	s_barrier
	s_cbranch_vccnz .LBB135_63
; %bb.62:
	v_mov_b32_e32 v9, s9
	v_add_co_u32_e32 v11, vcc, s8, v14
	v_subrev_u32_e32 v10, s19, v0
	v_addc_co_u32_e32 v9, vcc, 0, v9, vcc
	v_lshlrev_b32_e32 v10, 3, v10
	v_mov_b32_e32 v12, s7
	v_add_co_u32_e32 v23, vcc, s6, v10
	v_addc_co_u32_e32 v10, vcc, 0, v12, vcc
	v_cndmask_b32_e64 v10, v10, v9, s[4:5]
	v_cndmask_b32_e64 v9, v23, v11, s[4:5]
	v_or_b32_e32 v11, 0x80, v0
	v_subrev_u32_e32 v12, s19, v11
	v_min_u32_e32 v12, v11, v12
	v_cmp_gt_u32_e32 vcc, s19, v11
	v_mov_b32_e32 v35, s6
	v_mov_b32_e32 v36, s8
	;; [unrolled: 1-line block ×4, first 2 shown]
	v_cndmask_b32_e32 v11, v35, v36, vcc
	v_lshlrev_b32_e32 v12, 3, v12
	v_cndmask_b32_e32 v23, v33, v34, vcc
	v_add_co_u32_e32 v11, vcc, v11, v12
	v_addc_co_u32_e32 v12, vcc, 0, v23, vcc
	v_or_b32_e32 v23, 0x100, v0
	v_subrev_u32_e32 v24, s19, v23
	v_min_u32_e32 v24, v23, v24
	v_cmp_gt_u32_e32 vcc, s19, v23
	v_cndmask_b32_e32 v23, v35, v36, vcc
	v_lshlrev_b32_e32 v24, 3, v24
	v_cndmask_b32_e32 v25, v33, v34, vcc
	v_add_co_u32_e32 v23, vcc, v23, v24
	v_addc_co_u32_e32 v24, vcc, 0, v25, vcc
	v_or_b32_e32 v25, 0x180, v0
	v_subrev_u32_e32 v26, s19, v25
	v_min_u32_e32 v26, v25, v26
	v_cmp_gt_u32_e32 vcc, s19, v25
	;; [unrolled: 9-line block ×5, first 2 shown]
	global_load_dwordx2 v[9:10], v[9:10], off
	v_cndmask_b32_e32 v31, v35, v36, vcc
	global_load_dwordx2 v[11:12], v[11:12], off
	v_lshlrev_b32_e32 v32, 3, v32
	global_load_dwordx2 v[23:24], v[23:24], off
	v_cndmask_b32_e32 v37, v33, v34, vcc
	global_load_dwordx2 v[25:26], v[25:26], off
	v_add_co_u32_e32 v31, vcc, v31, v32
	global_load_dwordx2 v[27:28], v[27:28], off
	v_addc_co_u32_e32 v32, vcc, 0, v37, vcc
	global_load_dwordx2 v[29:30], v[29:30], off
	s_nop 0
	global_load_dwordx2 v[31:32], v[31:32], off
	s_mov_b64 s[4:5], -1
	s_waitcnt vmcnt(5)
	ds_write2st64_b64 v14, v[9:10], v[11:12] offset1:2
	s_waitcnt vmcnt(3)
	ds_write2st64_b64 v14, v[23:24], v[25:26] offset0:4 offset1:6
	s_waitcnt vmcnt(1)
	ds_write2st64_b64 v14, v[27:28], v[29:30] offset0:8 offset1:10
	s_waitcnt vmcnt(0)
	ds_write_b64 v14, v[31:32] offset:6144
	v_or_b32_e32 v23, 0x380, v0
	v_subrev_u32_e32 v9, s19, v23
	v_cmp_gt_u32_e32 vcc, s19, v23
	v_min_u32_e32 v11, v23, v9
	v_cndmask_b32_e32 v10, v33, v34, vcc
	v_cndmask_b32_e32 v9, v35, v36, vcc
	s_cbranch_execz .LBB135_64
	s_branch .LBB135_97
.LBB135_63:
	s_mov_b64 s[4:5], 0
                                        ; implicit-def: $vgpr23
                                        ; implicit-def: $vgpr9_vgpr10
                                        ; implicit-def: $vgpr11
.LBB135_64:
	s_and_saveexec_b64 s[4:5], s[2:3]
	s_xor_b64 s[2:3], exec, s[4:5]
	s_cbranch_execz .LBB135_68
; %bb.65:
	v_subrev_u32_e32 v9, s19, v0
	v_cmp_gt_u32_e32 vcc, s33, v9
	s_and_saveexec_b64 s[4:5], vcc
	s_cbranch_execz .LBB135_67
; %bb.66:
	v_lshlrev_b32_e32 v9, 3, v9
	global_load_dwordx2 v[9:10], v9, s[6:7]
	s_waitcnt vmcnt(0)
	ds_write_b64 v14, v[9:10]
.LBB135_67:
	s_or_b64 exec, exec, s[4:5]
.LBB135_68:
	s_or_saveexec_b64 s[2:3], s[2:3]
	v_lshl_add_u32 v11, v0, 2, v13
	s_xor_b64 exec, exec, s[2:3]
	s_cbranch_execz .LBB135_70
; %bb.69:
	global_load_dwordx2 v[9:10], v14, s[8:9]
	s_waitcnt vmcnt(0)
	ds_write_b64 v11, v[9:10]
.LBB135_70:
	s_or_b64 exec, exec, s[2:3]
	v_or_b32_e32 v12, 0x80, v0
	v_mov_b32_e32 v9, s22
	v_cmp_le_u32_e32 vcc, s19, v12
	s_mov_b64 s[2:3], -1
	v_mov_b32_e32 v10, s23
	s_and_saveexec_b64 s[4:5], vcc
; %bb.71:
	v_subrev_u32_e32 v12, s19, v12
	v_cmp_gt_u32_e32 vcc, s33, v12
	v_mov_b32_e32 v9, s24
	v_mov_b32_e32 v10, s25
	s_orn2_b64 s[2:3], vcc, exec
; %bb.72:
	s_or_b64 exec, exec, s[4:5]
	s_and_saveexec_b64 s[4:5], s[2:3]
	s_cbranch_execz .LBB135_74
; %bb.73:
	v_lshlrev_b64 v[9:10], 3, v[9:10]
	v_mov_b32_e32 v23, s13
	v_add_co_u32_e32 v9, vcc, s12, v9
	v_addc_co_u32_e32 v10, vcc, v23, v10, vcc
	v_lshlrev_b32_e32 v12, 3, v12
	v_add_co_u32_e32 v9, vcc, v9, v12
	v_addc_co_u32_e32 v10, vcc, 0, v10, vcc
	global_load_dwordx2 v[9:10], v[9:10], off
	s_waitcnt vmcnt(0)
	ds_write_b64 v11, v[9:10] offset:1024
.LBB135_74:
	s_or_b64 exec, exec, s[4:5]
	v_or_b32_e32 v12, 0x100, v0
	v_mov_b32_e32 v9, s22
	v_cmp_le_u32_e32 vcc, s19, v12
	s_mov_b64 s[2:3], -1
	v_mov_b32_e32 v10, s23
	s_and_saveexec_b64 s[4:5], vcc
; %bb.75:
	v_subrev_u32_e32 v12, s19, v12
	v_cmp_gt_u32_e32 vcc, s33, v12
	v_mov_b32_e32 v9, s24
	v_mov_b32_e32 v10, s25
	s_orn2_b64 s[2:3], vcc, exec
; %bb.76:
	s_or_b64 exec, exec, s[4:5]
	s_and_saveexec_b64 s[4:5], s[2:3]
	s_cbranch_execz .LBB135_78
; %bb.77:
	v_lshlrev_b64 v[9:10], 3, v[9:10]
	v_mov_b32_e32 v23, s13
	v_add_co_u32_e32 v9, vcc, s12, v9
	v_addc_co_u32_e32 v10, vcc, v23, v10, vcc
	v_lshlrev_b32_e32 v12, 3, v12
	v_add_co_u32_e32 v9, vcc, v9, v12
	v_addc_co_u32_e32 v10, vcc, 0, v10, vcc
	global_load_dwordx2 v[9:10], v[9:10], off
	s_waitcnt vmcnt(0)
	ds_write_b64 v11, v[9:10] offset:2048
.LBB135_78:
	;; [unrolled: 29-line block ×6, first 2 shown]
	s_or_b64 exec, exec, s[4:5]
	v_or_b32_e32 v23, 0x380, v0
	v_mov_b32_e32 v10, s9
	v_cmp_le_u32_e32 vcc, s19, v23
	s_mov_b64 s[4:5], -1
	v_mov_b32_e32 v9, s8
	v_mov_b32_e32 v11, v23
	s_and_saveexec_b64 s[2:3], vcc
; %bb.95:
	v_subrev_u32_e32 v11, s19, v23
	v_cmp_gt_u32_e32 vcc, s33, v11
	v_mov_b32_e32 v10, s7
	v_mov_b32_e32 v9, s6
	s_orn2_b64 s[4:5], vcc, exec
; %bb.96:
	s_or_b64 exec, exec, s[2:3]
.LBB135_97:
	s_and_saveexec_b64 s[2:3], s[4:5]
	s_cbranch_execz .LBB135_99
; %bb.98:
	v_mov_b32_e32 v12, 0
	v_lshlrev_b64 v[11:12], 3, v[11:12]
	v_add_co_u32_e32 v9, vcc, v9, v11
	v_addc_co_u32_e32 v10, vcc, v10, v12, vcc
	global_load_dwordx2 v[9:10], v[9:10], off
	v_lshlrev_b32_e32 v11, 3, v23
	s_waitcnt vmcnt(0)
	ds_write_b64 v11, v[9:10]
.LBB135_99:
	s_or_b64 exec, exec, s[2:3]
	s_and_b64 vcc, exec, s[0:1]
	v_add_u32_e32 v9, s18, v14
	s_waitcnt lgkmcnt(0)
	s_barrier
	s_cbranch_vccnz .LBB135_101
; %bb.100:
	v_lshlrev_b32_e32 v23, 3, v15
	v_lshlrev_b32_e32 v25, 3, v16
	;; [unrolled: 1-line block ×7, first 2 shown]
	v_mov_b32_e32 v10, 0
	ds_read_b64 v[23:24], v23
	ds_read_b64 v[25:26], v25
	;; [unrolled: 1-line block ×7, first 2 shown]
	v_lshlrev_b64 v[11:12], 3, v[9:10]
	v_mov_b32_e32 v37, s15
	v_add_co_u32_e32 v11, vcc, s14, v11
	v_addc_co_u32_e32 v12, vcc, v37, v12, vcc
	s_mov_b64 s[0:1], -1
	s_waitcnt lgkmcnt(5)
	global_store_dwordx4 v[11:12], v[23:26], off
	s_waitcnt lgkmcnt(3)
	global_store_dwordx4 v[11:12], v[27:30], off offset:16
	s_waitcnt lgkmcnt(1)
	global_store_dwordx4 v[11:12], v[31:34], off offset:32
	s_waitcnt lgkmcnt(0)
	global_store_dwordx2 v[11:12], v[35:36], off offset:48
	s_cbranch_execz .LBB135_102
	s_branch .LBB135_119
.LBB135_101:
	s_mov_b64 s[0:1], 0
.LBB135_102:
	v_cmp_gt_u32_e32 vcc, s17, v14
	s_and_saveexec_b64 s[2:3], vcc
	s_cbranch_execz .LBB135_104
; %bb.103:
	v_lshlrev_b32_e32 v12, 3, v15
	v_mov_b32_e32 v10, 0
	ds_read_b64 v[23:24], v12
	v_lshlrev_b64 v[10:11], 3, v[9:10]
	v_mov_b32_e32 v15, s15
	v_add_co_u32_e32 v10, vcc, s14, v10
	v_addc_co_u32_e32 v11, vcc, v15, v11, vcc
	s_waitcnt lgkmcnt(0)
	global_store_dwordx2 v[10:11], v[23:24], off
.LBB135_104:
	s_or_b64 exec, exec, s[2:3]
	v_or_b32_e32 v10, 1, v14
	v_cmp_gt_u32_e32 vcc, s17, v10
	s_and_saveexec_b64 s[2:3], vcc
	s_cbranch_execz .LBB135_106
; %bb.105:
	v_lshlrev_b32_e32 v12, 3, v16
	v_mov_b32_e32 v10, 0
	ds_read_b64 v[15:16], v12
	v_lshlrev_b64 v[10:11], 3, v[9:10]
	v_mov_b32_e32 v23, s15
	v_add_co_u32_e32 v10, vcc, s14, v10
	v_addc_co_u32_e32 v11, vcc, v23, v11, vcc
	s_waitcnt lgkmcnt(0)
	global_store_dwordx2 v[10:11], v[15:16], off offset:8
.LBB135_106:
	s_or_b64 exec, exec, s[2:3]
	v_or_b32_e32 v10, 2, v14
	v_cmp_gt_u32_e32 vcc, s17, v10
	s_and_saveexec_b64 s[2:3], vcc
	s_cbranch_execz .LBB135_108
; %bb.107:
	v_lshlrev_b32_e32 v12, 3, v17
	v_mov_b32_e32 v10, 0
	ds_read_b64 v[15:16], v12
	v_lshlrev_b64 v[10:11], 3, v[9:10]
	v_mov_b32_e32 v17, s15
	v_add_co_u32_e32 v10, vcc, s14, v10
	v_addc_co_u32_e32 v11, vcc, v17, v11, vcc
	s_waitcnt lgkmcnt(0)
	global_store_dwordx2 v[10:11], v[15:16], off offset:16
.LBB135_108:
	;; [unrolled: 16-line block ×6, first 2 shown]
	s_or_b64 exec, exec, s[2:3]
	v_or_b32_e32 v10, 7, v14
	v_cmp_gt_u32_e32 vcc, s17, v10
	s_and_saveexec_b64 s[2:3], vcc
; %bb.117:
	v_mov_b32_e32 v10, 0
	s_or_b64 s[0:1], s[0:1], exec
; %bb.118:
	s_or_b64 exec, exec, s[2:3]
.LBB135_119:
	s_and_saveexec_b64 s[2:3], s[0:1]
	s_cbranch_execz .LBB135_121
; %bb.120:
	v_lshlrev_b32_e32 v11, 3, v22
	ds_read_b64 v[11:12], v11
	v_lshlrev_b64 v[9:10], 3, v[9:10]
	v_mov_b32_e32 v15, s15
	v_add_co_u32_e32 v9, vcc, s14, v9
	v_addc_co_u32_e32 v10, vcc, v15, v10, vcc
	s_waitcnt lgkmcnt(0)
	global_store_dwordx2 v[9:10], v[11:12], off offset:56
.LBB135_121:
	s_or_b64 exec, exec, s[2:3]
	v_and_b32_e32 v9, 0x7c, v0
	v_lshl_add_u32 v9, v14, 2, v9
	s_waitcnt vmcnt(0)
	s_barrier
	s_barrier
	ds_write2_b32 v9, v1, v2 offset1:1
	ds_write2_b32 v9, v3, v4 offset0:2 offset1:3
	ds_write2_b32 v9, v5, v6 offset0:4 offset1:5
	;; [unrolled: 1-line block ×3, first 2 shown]
	v_lshrrev_b32_e32 v1, 3, v0
	v_and_b32_e32 v1, 12, v1
	v_or_b32_e32 v10, 0x80, v0
	v_add_u32_e32 v11, v1, v13
	v_lshrrev_b32_e32 v1, 3, v10
	v_and_b32_e32 v1, 28, v1
	v_or_b32_e32 v9, 0x100, v0
	v_add_u32_e32 v12, v1, v13
	;; [unrolled: 4-line block ×5, first 2 shown]
	v_lshrrev_b32_e32 v1, 3, v5
	v_and_b32_e32 v1, 0x5c, v1
	v_or_b32_e32 v4, 0x300, v0
	s_mov_b32 s19, 0
	v_add_u32_e32 v17, v1, v13
	v_lshrrev_b32_e32 v1, 3, v4
	s_lshl_b64 s[0:1], s[18:19], 2
	v_and_b32_e32 v1, 0x6c, v1
	v_or_b32_e32 v3, 0x380, v0
	s_add_u32 s0, s10, s0
	v_add_u32_e32 v18, v1, v13
	v_lshrrev_b32_e32 v1, 3, v3
	s_addc_u32 s1, s11, s1
	v_and_b32_e32 v1, 0x7c, v1
	v_add_u32_e32 v19, v1, v13
	v_mov_b32_e32 v2, s1
	v_add_co_u32_e32 v1, vcc, s0, v13
	v_addc_co_u32_e32 v2, vcc, 0, v2, vcc
	s_and_b64 vcc, exec, s[20:21]
	s_waitcnt lgkmcnt(0)
	s_cbranch_vccz .LBB135_123
; %bb.122:
	s_barrier
	ds_read_b32 v13, v11
	ds_read_b32 v20, v12 offset:512
	ds_read_b32 v21, v14 offset:1024
	;; [unrolled: 1-line block ×7, first 2 shown]
	s_waitcnt lgkmcnt(7)
	global_store_dword v[1:2], v13, off
	s_waitcnt lgkmcnt(6)
	global_store_dword v[1:2], v20, off offset:512
	s_waitcnt lgkmcnt(5)
	global_store_dword v[1:2], v21, off offset:1024
	;; [unrolled: 2-line block ×6, first 2 shown]
	s_mov_b64 s[0:1], -1
	s_cbranch_execz .LBB135_124
	s_branch .LBB135_133
.LBB135_123:
	s_mov_b64 s[0:1], 0
                                        ; implicit-def: $vgpr7
.LBB135_124:
	s_waitcnt vmcnt(0) lgkmcnt(0)
	s_barrier
	ds_read_b32 v21, v12 offset:512
	ds_read_b32 v20, v14 offset:1024
	;; [unrolled: 1-line block ×7, first 2 shown]
	s_sub_i32 s2, s16, s18
	v_cmp_gt_u32_e32 vcc, s2, v0
	s_and_saveexec_b64 s[0:1], vcc
	s_cbranch_execnz .LBB135_136
; %bb.125:
	s_or_b64 exec, exec, s[0:1]
	v_cmp_gt_u32_e32 vcc, s2, v10
	s_and_saveexec_b64 s[0:1], vcc
	s_cbranch_execnz .LBB135_137
.LBB135_126:
	s_or_b64 exec, exec, s[0:1]
	v_cmp_gt_u32_e32 vcc, s2, v9
	s_and_saveexec_b64 s[0:1], vcc
	s_cbranch_execnz .LBB135_138
.LBB135_127:
	s_or_b64 exec, exec, s[0:1]
	v_cmp_gt_u32_e32 vcc, s2, v8
	s_and_saveexec_b64 s[0:1], vcc
	s_cbranch_execnz .LBB135_139
.LBB135_128:
	s_or_b64 exec, exec, s[0:1]
	v_cmp_gt_u32_e32 vcc, s2, v6
	s_and_saveexec_b64 s[0:1], vcc
	s_cbranch_execnz .LBB135_140
.LBB135_129:
	s_or_b64 exec, exec, s[0:1]
	v_cmp_gt_u32_e32 vcc, s2, v5
	s_and_saveexec_b64 s[0:1], vcc
	s_cbranch_execnz .LBB135_141
.LBB135_130:
	s_or_b64 exec, exec, s[0:1]
	v_cmp_gt_u32_e32 vcc, s2, v4
	s_and_saveexec_b64 s[0:1], vcc
	s_cbranch_execz .LBB135_132
.LBB135_131:
	s_waitcnt lgkmcnt(1)
	global_store_dword v[1:2], v12, off offset:3072
.LBB135_132:
	s_or_b64 exec, exec, s[0:1]
	v_cmp_gt_u32_e64 s[0:1], s2, v3
.LBB135_133:
	s_and_saveexec_b64 s[2:3], s[0:1]
	s_cbranch_execz .LBB135_135
; %bb.134:
	s_waitcnt lgkmcnt(0)
	global_store_dword v[1:2], v7, off offset:3584
.LBB135_135:
	s_endpgm
.LBB135_136:
	ds_read_b32 v0, v11
	s_waitcnt lgkmcnt(0)
	global_store_dword v[1:2], v0, off
	s_or_b64 exec, exec, s[0:1]
	v_cmp_gt_u32_e32 vcc, s2, v10
	s_and_saveexec_b64 s[0:1], vcc
	s_cbranch_execz .LBB135_126
.LBB135_137:
	s_waitcnt lgkmcnt(6)
	global_store_dword v[1:2], v21, off offset:512
	s_or_b64 exec, exec, s[0:1]
	v_cmp_gt_u32_e32 vcc, s2, v9
	s_and_saveexec_b64 s[0:1], vcc
	s_cbranch_execz .LBB135_127
.LBB135_138:
	s_waitcnt lgkmcnt(5)
	global_store_dword v[1:2], v20, off offset:1024
	s_or_b64 exec, exec, s[0:1]
	v_cmp_gt_u32_e32 vcc, s2, v8
	s_and_saveexec_b64 s[0:1], vcc
	s_cbranch_execz .LBB135_128
.LBB135_139:
	s_waitcnt lgkmcnt(4)
	global_store_dword v[1:2], v15, off offset:1536
	s_or_b64 exec, exec, s[0:1]
	v_cmp_gt_u32_e32 vcc, s2, v6
	s_and_saveexec_b64 s[0:1], vcc
	s_cbranch_execz .LBB135_129
.LBB135_140:
	s_waitcnt lgkmcnt(3)
	global_store_dword v[1:2], v14, off offset:2048
	s_or_b64 exec, exec, s[0:1]
	v_cmp_gt_u32_e32 vcc, s2, v5
	s_and_saveexec_b64 s[0:1], vcc
	s_cbranch_execz .LBB135_130
.LBB135_141:
	s_waitcnt lgkmcnt(2)
	global_store_dword v[1:2], v13, off offset:2560
	s_or_b64 exec, exec, s[0:1]
	v_cmp_gt_u32_e32 vcc, s2, v4
	s_and_saveexec_b64 s[0:1], vcc
	s_cbranch_execnz .LBB135_131
	s_branch .LBB135_132
	.section	.rodata,"a",@progbits
	.p2align	6, 0x0
	.amdhsa_kernel _ZN7rocprim17ROCPRIM_304000_NS6detail35device_block_merge_mergepath_kernelINS1_37wrapped_merge_sort_block_merge_configINS0_14default_configEfN2at4cuda3cub6detail10OpaqueTypeILi8EEEEEPfSC_PSA_SD_jNS1_19radix_merge_compareILb0ELb0EfNS0_19identity_decomposerEEEEEvT0_T1_T2_T3_T4_SL_jT5_PKSL_NS1_7vsmem_tE
		.amdhsa_group_segment_fixed_size 8208
		.amdhsa_private_segment_fixed_size 0
		.amdhsa_kernarg_size 320
		.amdhsa_user_sgpr_count 6
		.amdhsa_user_sgpr_private_segment_buffer 1
		.amdhsa_user_sgpr_dispatch_ptr 0
		.amdhsa_user_sgpr_queue_ptr 0
		.amdhsa_user_sgpr_kernarg_segment_ptr 1
		.amdhsa_user_sgpr_dispatch_id 0
		.amdhsa_user_sgpr_flat_scratch_init 0
		.amdhsa_user_sgpr_private_segment_size 0
		.amdhsa_uses_dynamic_stack 0
		.amdhsa_system_sgpr_private_segment_wavefront_offset 0
		.amdhsa_system_sgpr_workgroup_id_x 1
		.amdhsa_system_sgpr_workgroup_id_y 1
		.amdhsa_system_sgpr_workgroup_id_z 1
		.amdhsa_system_sgpr_workgroup_info 0
		.amdhsa_system_vgpr_workitem_id 0
		.amdhsa_next_free_vgpr 49
		.amdhsa_next_free_sgpr 98
		.amdhsa_reserve_vcc 1
		.amdhsa_reserve_flat_scratch 0
		.amdhsa_float_round_mode_32 0
		.amdhsa_float_round_mode_16_64 0
		.amdhsa_float_denorm_mode_32 3
		.amdhsa_float_denorm_mode_16_64 3
		.amdhsa_dx10_clamp 1
		.amdhsa_ieee_mode 1
		.amdhsa_fp16_overflow 0
		.amdhsa_exception_fp_ieee_invalid_op 0
		.amdhsa_exception_fp_denorm_src 0
		.amdhsa_exception_fp_ieee_div_zero 0
		.amdhsa_exception_fp_ieee_overflow 0
		.amdhsa_exception_fp_ieee_underflow 0
		.amdhsa_exception_fp_ieee_inexact 0
		.amdhsa_exception_int_div_zero 0
	.end_amdhsa_kernel
	.section	.text._ZN7rocprim17ROCPRIM_304000_NS6detail35device_block_merge_mergepath_kernelINS1_37wrapped_merge_sort_block_merge_configINS0_14default_configEfN2at4cuda3cub6detail10OpaqueTypeILi8EEEEEPfSC_PSA_SD_jNS1_19radix_merge_compareILb0ELb0EfNS0_19identity_decomposerEEEEEvT0_T1_T2_T3_T4_SL_jT5_PKSL_NS1_7vsmem_tE,"axG",@progbits,_ZN7rocprim17ROCPRIM_304000_NS6detail35device_block_merge_mergepath_kernelINS1_37wrapped_merge_sort_block_merge_configINS0_14default_configEfN2at4cuda3cub6detail10OpaqueTypeILi8EEEEEPfSC_PSA_SD_jNS1_19radix_merge_compareILb0ELb0EfNS0_19identity_decomposerEEEEEvT0_T1_T2_T3_T4_SL_jT5_PKSL_NS1_7vsmem_tE,comdat
.Lfunc_end135:
	.size	_ZN7rocprim17ROCPRIM_304000_NS6detail35device_block_merge_mergepath_kernelINS1_37wrapped_merge_sort_block_merge_configINS0_14default_configEfN2at4cuda3cub6detail10OpaqueTypeILi8EEEEEPfSC_PSA_SD_jNS1_19radix_merge_compareILb0ELb0EfNS0_19identity_decomposerEEEEEvT0_T1_T2_T3_T4_SL_jT5_PKSL_NS1_7vsmem_tE, .Lfunc_end135-_ZN7rocprim17ROCPRIM_304000_NS6detail35device_block_merge_mergepath_kernelINS1_37wrapped_merge_sort_block_merge_configINS0_14default_configEfN2at4cuda3cub6detail10OpaqueTypeILi8EEEEEPfSC_PSA_SD_jNS1_19radix_merge_compareILb0ELb0EfNS0_19identity_decomposerEEEEEvT0_T1_T2_T3_T4_SL_jT5_PKSL_NS1_7vsmem_tE
                                        ; -- End function
	.set _ZN7rocprim17ROCPRIM_304000_NS6detail35device_block_merge_mergepath_kernelINS1_37wrapped_merge_sort_block_merge_configINS0_14default_configEfN2at4cuda3cub6detail10OpaqueTypeILi8EEEEEPfSC_PSA_SD_jNS1_19radix_merge_compareILb0ELb0EfNS0_19identity_decomposerEEEEEvT0_T1_T2_T3_T4_SL_jT5_PKSL_NS1_7vsmem_tE.num_vgpr, 38
	.set _ZN7rocprim17ROCPRIM_304000_NS6detail35device_block_merge_mergepath_kernelINS1_37wrapped_merge_sort_block_merge_configINS0_14default_configEfN2at4cuda3cub6detail10OpaqueTypeILi8EEEEEPfSC_PSA_SD_jNS1_19radix_merge_compareILb0ELb0EfNS0_19identity_decomposerEEEEEvT0_T1_T2_T3_T4_SL_jT5_PKSL_NS1_7vsmem_tE.num_agpr, 0
	.set _ZN7rocprim17ROCPRIM_304000_NS6detail35device_block_merge_mergepath_kernelINS1_37wrapped_merge_sort_block_merge_configINS0_14default_configEfN2at4cuda3cub6detail10OpaqueTypeILi8EEEEEPfSC_PSA_SD_jNS1_19radix_merge_compareILb0ELb0EfNS0_19identity_decomposerEEEEEvT0_T1_T2_T3_T4_SL_jT5_PKSL_NS1_7vsmem_tE.numbered_sgpr, 40
	.set _ZN7rocprim17ROCPRIM_304000_NS6detail35device_block_merge_mergepath_kernelINS1_37wrapped_merge_sort_block_merge_configINS0_14default_configEfN2at4cuda3cub6detail10OpaqueTypeILi8EEEEEPfSC_PSA_SD_jNS1_19radix_merge_compareILb0ELb0EfNS0_19identity_decomposerEEEEEvT0_T1_T2_T3_T4_SL_jT5_PKSL_NS1_7vsmem_tE.num_named_barrier, 0
	.set _ZN7rocprim17ROCPRIM_304000_NS6detail35device_block_merge_mergepath_kernelINS1_37wrapped_merge_sort_block_merge_configINS0_14default_configEfN2at4cuda3cub6detail10OpaqueTypeILi8EEEEEPfSC_PSA_SD_jNS1_19radix_merge_compareILb0ELb0EfNS0_19identity_decomposerEEEEEvT0_T1_T2_T3_T4_SL_jT5_PKSL_NS1_7vsmem_tE.private_seg_size, 0
	.set _ZN7rocprim17ROCPRIM_304000_NS6detail35device_block_merge_mergepath_kernelINS1_37wrapped_merge_sort_block_merge_configINS0_14default_configEfN2at4cuda3cub6detail10OpaqueTypeILi8EEEEEPfSC_PSA_SD_jNS1_19radix_merge_compareILb0ELb0EfNS0_19identity_decomposerEEEEEvT0_T1_T2_T3_T4_SL_jT5_PKSL_NS1_7vsmem_tE.uses_vcc, 1
	.set _ZN7rocprim17ROCPRIM_304000_NS6detail35device_block_merge_mergepath_kernelINS1_37wrapped_merge_sort_block_merge_configINS0_14default_configEfN2at4cuda3cub6detail10OpaqueTypeILi8EEEEEPfSC_PSA_SD_jNS1_19radix_merge_compareILb0ELb0EfNS0_19identity_decomposerEEEEEvT0_T1_T2_T3_T4_SL_jT5_PKSL_NS1_7vsmem_tE.uses_flat_scratch, 0
	.set _ZN7rocprim17ROCPRIM_304000_NS6detail35device_block_merge_mergepath_kernelINS1_37wrapped_merge_sort_block_merge_configINS0_14default_configEfN2at4cuda3cub6detail10OpaqueTypeILi8EEEEEPfSC_PSA_SD_jNS1_19radix_merge_compareILb0ELb0EfNS0_19identity_decomposerEEEEEvT0_T1_T2_T3_T4_SL_jT5_PKSL_NS1_7vsmem_tE.has_dyn_sized_stack, 0
	.set _ZN7rocprim17ROCPRIM_304000_NS6detail35device_block_merge_mergepath_kernelINS1_37wrapped_merge_sort_block_merge_configINS0_14default_configEfN2at4cuda3cub6detail10OpaqueTypeILi8EEEEEPfSC_PSA_SD_jNS1_19radix_merge_compareILb0ELb0EfNS0_19identity_decomposerEEEEEvT0_T1_T2_T3_T4_SL_jT5_PKSL_NS1_7vsmem_tE.has_recursion, 0
	.set _ZN7rocprim17ROCPRIM_304000_NS6detail35device_block_merge_mergepath_kernelINS1_37wrapped_merge_sort_block_merge_configINS0_14default_configEfN2at4cuda3cub6detail10OpaqueTypeILi8EEEEEPfSC_PSA_SD_jNS1_19radix_merge_compareILb0ELb0EfNS0_19identity_decomposerEEEEEvT0_T1_T2_T3_T4_SL_jT5_PKSL_NS1_7vsmem_tE.has_indirect_call, 0
	.section	.AMDGPU.csdata,"",@progbits
; Kernel info:
; codeLenInByte = 6652
; TotalNumSgprs: 44
; NumVgprs: 38
; ScratchSize: 0
; MemoryBound: 0
; FloatMode: 240
; IeeeMode: 1
; LDSByteSize: 8208 bytes/workgroup (compile time only)
; SGPRBlocks: 12
; VGPRBlocks: 12
; NumSGPRsForWavesPerEU: 102
; NumVGPRsForWavesPerEU: 49
; Occupancy: 4
; WaveLimiterHint : 1
; COMPUTE_PGM_RSRC2:SCRATCH_EN: 0
; COMPUTE_PGM_RSRC2:USER_SGPR: 6
; COMPUTE_PGM_RSRC2:TRAP_HANDLER: 0
; COMPUTE_PGM_RSRC2:TGID_X_EN: 1
; COMPUTE_PGM_RSRC2:TGID_Y_EN: 1
; COMPUTE_PGM_RSRC2:TGID_Z_EN: 1
; COMPUTE_PGM_RSRC2:TIDIG_COMP_CNT: 0
	.section	.text._ZN7rocprim17ROCPRIM_304000_NS6detail33device_block_merge_oddeven_kernelINS1_37wrapped_merge_sort_block_merge_configINS0_14default_configEfN2at4cuda3cub6detail10OpaqueTypeILi8EEEEEPfSC_PSA_SD_jNS1_19radix_merge_compareILb0ELb0EfNS0_19identity_decomposerEEEEEvT0_T1_T2_T3_T4_SL_T5_,"axG",@progbits,_ZN7rocprim17ROCPRIM_304000_NS6detail33device_block_merge_oddeven_kernelINS1_37wrapped_merge_sort_block_merge_configINS0_14default_configEfN2at4cuda3cub6detail10OpaqueTypeILi8EEEEEPfSC_PSA_SD_jNS1_19radix_merge_compareILb0ELb0EfNS0_19identity_decomposerEEEEEvT0_T1_T2_T3_T4_SL_T5_,comdat
	.protected	_ZN7rocprim17ROCPRIM_304000_NS6detail33device_block_merge_oddeven_kernelINS1_37wrapped_merge_sort_block_merge_configINS0_14default_configEfN2at4cuda3cub6detail10OpaqueTypeILi8EEEEEPfSC_PSA_SD_jNS1_19radix_merge_compareILb0ELb0EfNS0_19identity_decomposerEEEEEvT0_T1_T2_T3_T4_SL_T5_ ; -- Begin function _ZN7rocprim17ROCPRIM_304000_NS6detail33device_block_merge_oddeven_kernelINS1_37wrapped_merge_sort_block_merge_configINS0_14default_configEfN2at4cuda3cub6detail10OpaqueTypeILi8EEEEEPfSC_PSA_SD_jNS1_19radix_merge_compareILb0ELb0EfNS0_19identity_decomposerEEEEEvT0_T1_T2_T3_T4_SL_T5_
	.globl	_ZN7rocprim17ROCPRIM_304000_NS6detail33device_block_merge_oddeven_kernelINS1_37wrapped_merge_sort_block_merge_configINS0_14default_configEfN2at4cuda3cub6detail10OpaqueTypeILi8EEEEEPfSC_PSA_SD_jNS1_19radix_merge_compareILb0ELb0EfNS0_19identity_decomposerEEEEEvT0_T1_T2_T3_T4_SL_T5_
	.p2align	8
	.type	_ZN7rocprim17ROCPRIM_304000_NS6detail33device_block_merge_oddeven_kernelINS1_37wrapped_merge_sort_block_merge_configINS0_14default_configEfN2at4cuda3cub6detail10OpaqueTypeILi8EEEEEPfSC_PSA_SD_jNS1_19radix_merge_compareILb0ELb0EfNS0_19identity_decomposerEEEEEvT0_T1_T2_T3_T4_SL_T5_,@function
_ZN7rocprim17ROCPRIM_304000_NS6detail33device_block_merge_oddeven_kernelINS1_37wrapped_merge_sort_block_merge_configINS0_14default_configEfN2at4cuda3cub6detail10OpaqueTypeILi8EEEEEPfSC_PSA_SD_jNS1_19radix_merge_compareILb0ELb0EfNS0_19identity_decomposerEEEEEvT0_T1_T2_T3_T4_SL_T5_: ; @_ZN7rocprim17ROCPRIM_304000_NS6detail33device_block_merge_oddeven_kernelINS1_37wrapped_merge_sort_block_merge_configINS0_14default_configEfN2at4cuda3cub6detail10OpaqueTypeILi8EEEEEPfSC_PSA_SD_jNS1_19radix_merge_compareILb0ELb0EfNS0_19identity_decomposerEEEEEvT0_T1_T2_T3_T4_SL_T5_
; %bb.0:
	s_load_dwordx2 s[18:19], s[4:5], 0x20
	s_waitcnt lgkmcnt(0)
	s_lshr_b32 s0, s18, 8
	s_cmp_eq_u32 s6, s0
	s_cselect_b64 s[16:17], -1, 0
	s_cmp_lg_u32 s6, s0
	s_cselect_b64 s[0:1], -1, 0
	s_lshl_b32 s20, s6, 8
	s_sub_i32 s2, s18, s20
	v_cmp_gt_u32_e64 s[2:3], s2, v0
	s_or_b64 s[0:1], s[0:1], s[2:3]
	s_and_saveexec_b64 s[8:9], s[0:1]
	s_cbranch_execz .LBB136_24
; %bb.1:
	s_load_dwordx8 s[8:15], s[4:5], 0x0
	s_mov_b32 s21, 0
	s_lshl_b64 s[0:1], s[20:21], 2
	v_lshlrev_b32_e32 v4, 3, v0
	v_lshlrev_b32_e32 v3, 2, v0
	s_waitcnt lgkmcnt(0)
	s_add_u32 s0, s8, s0
	s_addc_u32 s1, s9, s1
	s_lshl_b64 s[4:5], s[20:21], 3
	s_add_u32 s4, s12, s4
	s_addc_u32 s5, s13, s5
	global_load_dwordx2 v[1:2], v4, s[4:5]
	global_load_dword v5, v3, s[0:1]
	s_lshr_b32 s0, s19, 8
	s_sub_i32 s1, 0, s0
	s_and_b32 s1, s6, s1
	s_and_b32 s0, s1, s0
	s_lshl_b32 s13, s1, 8
	s_sub_i32 s6, 0, s19
	s_cmp_eq_u32 s0, 0
	s_cselect_b64 s[0:1], -1, 0
	s_and_b64 s[4:5], s[0:1], exec
	s_cselect_b32 s6, s19, s6
	s_add_i32 s6, s6, s13
	s_mov_b64 s[4:5], -1
	s_cmp_gt_u32 s18, s6
	v_add_u32_e32 v3, s20, v0
	s_cbranch_scc1 .LBB136_9
; %bb.2:
	s_and_b64 vcc, exec, s[16:17]
	s_cbranch_vccz .LBB136_6
; %bb.3:
	v_cmp_gt_u32_e32 vcc, s18, v3
	s_and_saveexec_b64 s[4:5], vcc
	s_cbranch_execz .LBB136_5
; %bb.4:
	v_mov_b32_e32 v4, 0
	v_lshlrev_b64 v[6:7], 3, v[3:4]
	v_mov_b32_e32 v0, s15
	v_add_co_u32_e32 v6, vcc, s14, v6
	v_lshlrev_b64 v[8:9], 2, v[3:4]
	v_addc_co_u32_e32 v7, vcc, v0, v7, vcc
	v_mov_b32_e32 v0, s11
	v_add_co_u32_e32 v8, vcc, s10, v8
	v_addc_co_u32_e32 v9, vcc, v0, v9, vcc
	s_waitcnt vmcnt(0)
	global_store_dword v[8:9], v5, off
	global_store_dwordx2 v[6:7], v[1:2], off
.LBB136_5:
	s_or_b64 exec, exec, s[4:5]
	s_mov_b64 s[4:5], 0
.LBB136_6:
	s_andn2_b64 vcc, exec, s[4:5]
	s_cbranch_vccnz .LBB136_8
; %bb.7:
	v_mov_b32_e32 v4, 0
	v_lshlrev_b64 v[6:7], 2, v[3:4]
	v_mov_b32_e32 v0, s11
	v_add_co_u32_e32 v6, vcc, s10, v6
	v_lshlrev_b64 v[8:9], 3, v[3:4]
	v_addc_co_u32_e32 v7, vcc, v0, v7, vcc
	v_mov_b32_e32 v0, s15
	v_add_co_u32_e32 v8, vcc, s14, v8
	v_addc_co_u32_e32 v9, vcc, v0, v9, vcc
	s_waitcnt vmcnt(0)
	global_store_dword v[6:7], v5, off
	global_store_dwordx2 v[8:9], v[1:2], off
.LBB136_8:
	s_mov_b64 s[4:5], 0
.LBB136_9:
	s_andn2_b64 vcc, exec, s[4:5]
	s_cbranch_vccnz .LBB136_24
; %bb.10:
	s_min_u32 s7, s6, s18
	s_add_i32 s4, s7, s19
	s_min_u32 s12, s4, s18
	s_min_u32 s4, s13, s7
	s_add_i32 s13, s13, s7
	v_subrev_u32_e32 v0, s13, v3
	v_add_u32_e32 v0, s4, v0
	s_brev_b32 s4, 1
	s_waitcnt vmcnt(0)
	v_cmp_ne_u32_e32 vcc, s4, v5
	v_cndmask_b32_e32 v3, 0, v5, vcc
	v_bfrev_b32_e32 v4, 1
	v_cmp_lt_i32_e32 vcc, -1, v3
	v_cndmask_b32_e32 v4, -1, v4, vcc
	v_xor_b32_e32 v6, v4, v3
	s_mov_b64 s[4:5], -1
	s_and_b64 vcc, exec, s[16:17]
	s_cbranch_vccz .LBB136_18
; %bb.11:
	s_and_saveexec_b64 s[4:5], s[2:3]
	s_cbranch_execz .LBB136_17
; %bb.12:
	s_cmp_ge_u32 s6, s12
	v_mov_b32_e32 v7, s7
	s_cbranch_scc1 .LBB136_16
; %bb.13:
	s_mov_b64 s[2:3], 0
	v_mov_b32_e32 v8, s12
	v_mov_b32_e32 v7, s7
	;; [unrolled: 1-line block ×4, first 2 shown]
	s_brev_b32 s13, 1
	v_bfrev_b32_e32 v10, 1
.LBB136_14:                             ; =>This Inner Loop Header: Depth=1
	v_add_u32_e32 v3, v7, v8
	v_lshrrev_b32_e32 v3, 1, v3
	v_lshlrev_b64 v[11:12], 2, v[3:4]
	v_add_co_u32_e32 v11, vcc, s8, v11
	v_addc_co_u32_e32 v12, vcc, v9, v12, vcc
	global_load_dword v11, v[11:12], off
	v_add_u32_e32 v12, 1, v3
	s_waitcnt vmcnt(0)
	v_cmp_ne_u32_e32 vcc, s13, v11
	v_cndmask_b32_e32 v11, 0, v11, vcc
	v_cmp_lt_i32_e32 vcc, -1, v11
	v_cndmask_b32_e32 v13, -1, v10, vcc
	v_xor_b32_e32 v11, v13, v11
	v_cmp_gt_u32_e32 vcc, v6, v11
	v_cndmask_b32_e64 v13, 0, 1, vcc
	v_cmp_le_u32_e32 vcc, v11, v6
	v_cndmask_b32_e64 v11, 0, 1, vcc
	v_cndmask_b32_e64 v11, v11, v13, s[0:1]
	v_and_b32_e32 v11, 1, v11
	v_cmp_eq_u32_e32 vcc, 1, v11
	v_cndmask_b32_e32 v8, v3, v8, vcc
	v_cndmask_b32_e32 v7, v7, v12, vcc
	v_cmp_ge_u32_e32 vcc, v7, v8
	s_or_b64 s[2:3], vcc, s[2:3]
	s_andn2_b64 exec, exec, s[2:3]
	s_cbranch_execnz .LBB136_14
; %bb.15:
	s_or_b64 exec, exec, s[2:3]
.LBB136_16:
	v_add_u32_e32 v3, v7, v0
	v_mov_b32_e32 v4, 0
	v_lshlrev_b64 v[7:8], 2, v[3:4]
	v_mov_b32_e32 v9, s11
	v_add_co_u32_e32 v7, vcc, s10, v7
	v_lshlrev_b64 v[3:4], 3, v[3:4]
	v_addc_co_u32_e32 v8, vcc, v9, v8, vcc
	global_store_dword v[7:8], v5, off
	v_mov_b32_e32 v7, s15
	v_add_co_u32_e32 v3, vcc, s14, v3
	v_addc_co_u32_e32 v4, vcc, v7, v4, vcc
	global_store_dwordx2 v[3:4], v[1:2], off
.LBB136_17:
	s_or_b64 exec, exec, s[4:5]
	s_mov_b64 s[4:5], 0
.LBB136_18:
	s_andn2_b64 vcc, exec, s[4:5]
	s_cbranch_vccnz .LBB136_24
; %bb.19:
	s_cmp_ge_u32 s6, s12
	v_mov_b32_e32 v7, s7
	s_cbranch_scc1 .LBB136_23
; %bb.20:
	s_mov_b64 s[2:3], 0
	v_mov_b32_e32 v8, s12
	v_mov_b32_e32 v7, s7
	;; [unrolled: 1-line block ×4, first 2 shown]
	s_brev_b32 s4, 1
	v_bfrev_b32_e32 v10, 1
.LBB136_21:                             ; =>This Inner Loop Header: Depth=1
	v_add_u32_e32 v3, v7, v8
	v_lshrrev_b32_e32 v3, 1, v3
	v_lshlrev_b64 v[11:12], 2, v[3:4]
	v_add_co_u32_e32 v11, vcc, s8, v11
	v_addc_co_u32_e32 v12, vcc, v9, v12, vcc
	global_load_dword v11, v[11:12], off
	v_add_u32_e32 v12, 1, v3
	s_waitcnt vmcnt(0)
	v_cmp_ne_u32_e32 vcc, s4, v11
	v_cndmask_b32_e32 v11, 0, v11, vcc
	v_cmp_lt_i32_e32 vcc, -1, v11
	v_cndmask_b32_e32 v13, -1, v10, vcc
	v_xor_b32_e32 v11, v13, v11
	v_cmp_gt_u32_e32 vcc, v6, v11
	v_cndmask_b32_e64 v13, 0, 1, vcc
	v_cmp_le_u32_e32 vcc, v11, v6
	v_cndmask_b32_e64 v11, 0, 1, vcc
	v_cndmask_b32_e64 v11, v11, v13, s[0:1]
	v_and_b32_e32 v11, 1, v11
	v_cmp_eq_u32_e32 vcc, 1, v11
	v_cndmask_b32_e32 v8, v3, v8, vcc
	v_cndmask_b32_e32 v7, v7, v12, vcc
	v_cmp_ge_u32_e32 vcc, v7, v8
	s_or_b64 s[2:3], vcc, s[2:3]
	s_andn2_b64 exec, exec, s[2:3]
	s_cbranch_execnz .LBB136_21
; %bb.22:
	s_or_b64 exec, exec, s[2:3]
.LBB136_23:
	v_add_u32_e32 v3, v7, v0
	v_mov_b32_e32 v4, 0
	v_lshlrev_b64 v[6:7], 2, v[3:4]
	v_mov_b32_e32 v0, s11
	v_add_co_u32_e32 v6, vcc, s10, v6
	v_lshlrev_b64 v[3:4], 3, v[3:4]
	v_addc_co_u32_e32 v7, vcc, v0, v7, vcc
	v_mov_b32_e32 v0, s15
	v_add_co_u32_e32 v3, vcc, s14, v3
	v_addc_co_u32_e32 v4, vcc, v0, v4, vcc
	global_store_dword v[6:7], v5, off
	global_store_dwordx2 v[3:4], v[1:2], off
.LBB136_24:
	s_endpgm
	.section	.rodata,"a",@progbits
	.p2align	6, 0x0
	.amdhsa_kernel _ZN7rocprim17ROCPRIM_304000_NS6detail33device_block_merge_oddeven_kernelINS1_37wrapped_merge_sort_block_merge_configINS0_14default_configEfN2at4cuda3cub6detail10OpaqueTypeILi8EEEEEPfSC_PSA_SD_jNS1_19radix_merge_compareILb0ELb0EfNS0_19identity_decomposerEEEEEvT0_T1_T2_T3_T4_SL_T5_
		.amdhsa_group_segment_fixed_size 0
		.amdhsa_private_segment_fixed_size 0
		.amdhsa_kernarg_size 44
		.amdhsa_user_sgpr_count 6
		.amdhsa_user_sgpr_private_segment_buffer 1
		.amdhsa_user_sgpr_dispatch_ptr 0
		.amdhsa_user_sgpr_queue_ptr 0
		.amdhsa_user_sgpr_kernarg_segment_ptr 1
		.amdhsa_user_sgpr_dispatch_id 0
		.amdhsa_user_sgpr_flat_scratch_init 0
		.amdhsa_user_sgpr_private_segment_size 0
		.amdhsa_uses_dynamic_stack 0
		.amdhsa_system_sgpr_private_segment_wavefront_offset 0
		.amdhsa_system_sgpr_workgroup_id_x 1
		.amdhsa_system_sgpr_workgroup_id_y 0
		.amdhsa_system_sgpr_workgroup_id_z 0
		.amdhsa_system_sgpr_workgroup_info 0
		.amdhsa_system_vgpr_workitem_id 0
		.amdhsa_next_free_vgpr 14
		.amdhsa_next_free_sgpr 22
		.amdhsa_reserve_vcc 1
		.amdhsa_reserve_flat_scratch 0
		.amdhsa_float_round_mode_32 0
		.amdhsa_float_round_mode_16_64 0
		.amdhsa_float_denorm_mode_32 3
		.amdhsa_float_denorm_mode_16_64 3
		.amdhsa_dx10_clamp 1
		.amdhsa_ieee_mode 1
		.amdhsa_fp16_overflow 0
		.amdhsa_exception_fp_ieee_invalid_op 0
		.amdhsa_exception_fp_denorm_src 0
		.amdhsa_exception_fp_ieee_div_zero 0
		.amdhsa_exception_fp_ieee_overflow 0
		.amdhsa_exception_fp_ieee_underflow 0
		.amdhsa_exception_fp_ieee_inexact 0
		.amdhsa_exception_int_div_zero 0
	.end_amdhsa_kernel
	.section	.text._ZN7rocprim17ROCPRIM_304000_NS6detail33device_block_merge_oddeven_kernelINS1_37wrapped_merge_sort_block_merge_configINS0_14default_configEfN2at4cuda3cub6detail10OpaqueTypeILi8EEEEEPfSC_PSA_SD_jNS1_19radix_merge_compareILb0ELb0EfNS0_19identity_decomposerEEEEEvT0_T1_T2_T3_T4_SL_T5_,"axG",@progbits,_ZN7rocprim17ROCPRIM_304000_NS6detail33device_block_merge_oddeven_kernelINS1_37wrapped_merge_sort_block_merge_configINS0_14default_configEfN2at4cuda3cub6detail10OpaqueTypeILi8EEEEEPfSC_PSA_SD_jNS1_19radix_merge_compareILb0ELb0EfNS0_19identity_decomposerEEEEEvT0_T1_T2_T3_T4_SL_T5_,comdat
.Lfunc_end136:
	.size	_ZN7rocprim17ROCPRIM_304000_NS6detail33device_block_merge_oddeven_kernelINS1_37wrapped_merge_sort_block_merge_configINS0_14default_configEfN2at4cuda3cub6detail10OpaqueTypeILi8EEEEEPfSC_PSA_SD_jNS1_19radix_merge_compareILb0ELb0EfNS0_19identity_decomposerEEEEEvT0_T1_T2_T3_T4_SL_T5_, .Lfunc_end136-_ZN7rocprim17ROCPRIM_304000_NS6detail33device_block_merge_oddeven_kernelINS1_37wrapped_merge_sort_block_merge_configINS0_14default_configEfN2at4cuda3cub6detail10OpaqueTypeILi8EEEEEPfSC_PSA_SD_jNS1_19radix_merge_compareILb0ELb0EfNS0_19identity_decomposerEEEEEvT0_T1_T2_T3_T4_SL_T5_
                                        ; -- End function
	.set _ZN7rocprim17ROCPRIM_304000_NS6detail33device_block_merge_oddeven_kernelINS1_37wrapped_merge_sort_block_merge_configINS0_14default_configEfN2at4cuda3cub6detail10OpaqueTypeILi8EEEEEPfSC_PSA_SD_jNS1_19radix_merge_compareILb0ELb0EfNS0_19identity_decomposerEEEEEvT0_T1_T2_T3_T4_SL_T5_.num_vgpr, 14
	.set _ZN7rocprim17ROCPRIM_304000_NS6detail33device_block_merge_oddeven_kernelINS1_37wrapped_merge_sort_block_merge_configINS0_14default_configEfN2at4cuda3cub6detail10OpaqueTypeILi8EEEEEPfSC_PSA_SD_jNS1_19radix_merge_compareILb0ELb0EfNS0_19identity_decomposerEEEEEvT0_T1_T2_T3_T4_SL_T5_.num_agpr, 0
	.set _ZN7rocprim17ROCPRIM_304000_NS6detail33device_block_merge_oddeven_kernelINS1_37wrapped_merge_sort_block_merge_configINS0_14default_configEfN2at4cuda3cub6detail10OpaqueTypeILi8EEEEEPfSC_PSA_SD_jNS1_19radix_merge_compareILb0ELb0EfNS0_19identity_decomposerEEEEEvT0_T1_T2_T3_T4_SL_T5_.numbered_sgpr, 22
	.set _ZN7rocprim17ROCPRIM_304000_NS6detail33device_block_merge_oddeven_kernelINS1_37wrapped_merge_sort_block_merge_configINS0_14default_configEfN2at4cuda3cub6detail10OpaqueTypeILi8EEEEEPfSC_PSA_SD_jNS1_19radix_merge_compareILb0ELb0EfNS0_19identity_decomposerEEEEEvT0_T1_T2_T3_T4_SL_T5_.num_named_barrier, 0
	.set _ZN7rocprim17ROCPRIM_304000_NS6detail33device_block_merge_oddeven_kernelINS1_37wrapped_merge_sort_block_merge_configINS0_14default_configEfN2at4cuda3cub6detail10OpaqueTypeILi8EEEEEPfSC_PSA_SD_jNS1_19radix_merge_compareILb0ELb0EfNS0_19identity_decomposerEEEEEvT0_T1_T2_T3_T4_SL_T5_.private_seg_size, 0
	.set _ZN7rocprim17ROCPRIM_304000_NS6detail33device_block_merge_oddeven_kernelINS1_37wrapped_merge_sort_block_merge_configINS0_14default_configEfN2at4cuda3cub6detail10OpaqueTypeILi8EEEEEPfSC_PSA_SD_jNS1_19radix_merge_compareILb0ELb0EfNS0_19identity_decomposerEEEEEvT0_T1_T2_T3_T4_SL_T5_.uses_vcc, 1
	.set _ZN7rocprim17ROCPRIM_304000_NS6detail33device_block_merge_oddeven_kernelINS1_37wrapped_merge_sort_block_merge_configINS0_14default_configEfN2at4cuda3cub6detail10OpaqueTypeILi8EEEEEPfSC_PSA_SD_jNS1_19radix_merge_compareILb0ELb0EfNS0_19identity_decomposerEEEEEvT0_T1_T2_T3_T4_SL_T5_.uses_flat_scratch, 0
	.set _ZN7rocprim17ROCPRIM_304000_NS6detail33device_block_merge_oddeven_kernelINS1_37wrapped_merge_sort_block_merge_configINS0_14default_configEfN2at4cuda3cub6detail10OpaqueTypeILi8EEEEEPfSC_PSA_SD_jNS1_19radix_merge_compareILb0ELb0EfNS0_19identity_decomposerEEEEEvT0_T1_T2_T3_T4_SL_T5_.has_dyn_sized_stack, 0
	.set _ZN7rocprim17ROCPRIM_304000_NS6detail33device_block_merge_oddeven_kernelINS1_37wrapped_merge_sort_block_merge_configINS0_14default_configEfN2at4cuda3cub6detail10OpaqueTypeILi8EEEEEPfSC_PSA_SD_jNS1_19radix_merge_compareILb0ELb0EfNS0_19identity_decomposerEEEEEvT0_T1_T2_T3_T4_SL_T5_.has_recursion, 0
	.set _ZN7rocprim17ROCPRIM_304000_NS6detail33device_block_merge_oddeven_kernelINS1_37wrapped_merge_sort_block_merge_configINS0_14default_configEfN2at4cuda3cub6detail10OpaqueTypeILi8EEEEEPfSC_PSA_SD_jNS1_19radix_merge_compareILb0ELb0EfNS0_19identity_decomposerEEEEEvT0_T1_T2_T3_T4_SL_T5_.has_indirect_call, 0
	.section	.AMDGPU.csdata,"",@progbits
; Kernel info:
; codeLenInByte = 924
; TotalNumSgprs: 26
; NumVgprs: 14
; ScratchSize: 0
; MemoryBound: 0
; FloatMode: 240
; IeeeMode: 1
; LDSByteSize: 0 bytes/workgroup (compile time only)
; SGPRBlocks: 3
; VGPRBlocks: 3
; NumSGPRsForWavesPerEU: 26
; NumVGPRsForWavesPerEU: 14
; Occupancy: 10
; WaveLimiterHint : 0
; COMPUTE_PGM_RSRC2:SCRATCH_EN: 0
; COMPUTE_PGM_RSRC2:USER_SGPR: 6
; COMPUTE_PGM_RSRC2:TRAP_HANDLER: 0
; COMPUTE_PGM_RSRC2:TGID_X_EN: 1
; COMPUTE_PGM_RSRC2:TGID_Y_EN: 0
; COMPUTE_PGM_RSRC2:TGID_Z_EN: 0
; COMPUTE_PGM_RSRC2:TIDIG_COMP_CNT: 0
	.section	.text._ZN7rocprim17ROCPRIM_304000_NS6detail26onesweep_histograms_kernelINS1_34wrapped_radix_sort_onesweep_configINS0_14default_configEfN2at4cuda3cub6detail10OpaqueTypeILi8EEEEELb0EPKfmNS0_19identity_decomposerEEEvT1_PT2_SG_SG_T3_jj,"axG",@progbits,_ZN7rocprim17ROCPRIM_304000_NS6detail26onesweep_histograms_kernelINS1_34wrapped_radix_sort_onesweep_configINS0_14default_configEfN2at4cuda3cub6detail10OpaqueTypeILi8EEEEELb0EPKfmNS0_19identity_decomposerEEEvT1_PT2_SG_SG_T3_jj,comdat
	.protected	_ZN7rocprim17ROCPRIM_304000_NS6detail26onesweep_histograms_kernelINS1_34wrapped_radix_sort_onesweep_configINS0_14default_configEfN2at4cuda3cub6detail10OpaqueTypeILi8EEEEELb0EPKfmNS0_19identity_decomposerEEEvT1_PT2_SG_SG_T3_jj ; -- Begin function _ZN7rocprim17ROCPRIM_304000_NS6detail26onesweep_histograms_kernelINS1_34wrapped_radix_sort_onesweep_configINS0_14default_configEfN2at4cuda3cub6detail10OpaqueTypeILi8EEEEELb0EPKfmNS0_19identity_decomposerEEEvT1_PT2_SG_SG_T3_jj
	.globl	_ZN7rocprim17ROCPRIM_304000_NS6detail26onesweep_histograms_kernelINS1_34wrapped_radix_sort_onesweep_configINS0_14default_configEfN2at4cuda3cub6detail10OpaqueTypeILi8EEEEELb0EPKfmNS0_19identity_decomposerEEEvT1_PT2_SG_SG_T3_jj
	.p2align	8
	.type	_ZN7rocprim17ROCPRIM_304000_NS6detail26onesweep_histograms_kernelINS1_34wrapped_radix_sort_onesweep_configINS0_14default_configEfN2at4cuda3cub6detail10OpaqueTypeILi8EEEEELb0EPKfmNS0_19identity_decomposerEEEvT1_PT2_SG_SG_T3_jj,@function
_ZN7rocprim17ROCPRIM_304000_NS6detail26onesweep_histograms_kernelINS1_34wrapped_radix_sort_onesweep_configINS0_14default_configEfN2at4cuda3cub6detail10OpaqueTypeILi8EEEEELb0EPKfmNS0_19identity_decomposerEEEvT1_PT2_SG_SG_T3_jj: ; @_ZN7rocprim17ROCPRIM_304000_NS6detail26onesweep_histograms_kernelINS1_34wrapped_radix_sort_onesweep_configINS0_14default_configEfN2at4cuda3cub6detail10OpaqueTypeILi8EEEEELb0EPKfmNS0_19identity_decomposerEEEvT1_PT2_SG_SG_T3_jj
; %bb.0:
	s_load_dwordx8 s[24:31], s[4:5], 0x0
	s_load_dwordx2 s[34:35], s[4:5], 0x24
	v_mov_b32_e32 v1, s6
	v_mov_b32_e32 v2, 0
	s_mul_hi_u32 s0, s6, 0x3000
	s_waitcnt lgkmcnt(0)
	v_cmp_le_u64_e32 vcc, s[30:31], v[1:2]
	s_mulk_i32 s6, 0x3000
	s_add_u32 s24, s24, s6
	s_addc_u32 s25, s25, s0
	s_mov_b64 s[0:1], -1
	v_lshlrev_b32_e32 v3, 2, v0
	s_cbranch_vccz .LBB137_82
; %bb.1:
	s_mul_i32 s0, s30, 0xfffff400
	v_lshlrev_b32_e32 v16, 2, v0
	s_add_i32 s28, s0, s28
	v_mov_b32_e32 v2, s25
	v_add_co_u32_e32 v1, vcc, s24, v16
	v_addc_co_u32_e32 v2, vcc, 0, v2, vcc
	v_cmp_gt_u32_e64 s[22:23], s28, v0
                                        ; implicit-def: $vgpr15
	s_and_saveexec_b64 s[0:1], s[22:23]
	s_cbranch_execz .LBB137_3
; %bb.2:
	global_load_dword v15, v[1:2], off
.LBB137_3:
	s_or_b64 exec, exec, s[0:1]
	v_or_b32_e32 v4, 0x100, v0
	v_cmp_gt_u32_e64 s[20:21], s28, v4
                                        ; implicit-def: $vgpr14
	s_and_saveexec_b64 s[0:1], s[20:21]
	s_cbranch_execz .LBB137_5
; %bb.4:
	global_load_dword v14, v[1:2], off offset:1024
.LBB137_5:
	s_or_b64 exec, exec, s[0:1]
	v_or_b32_e32 v4, 0x200, v0
	v_cmp_gt_u32_e64 s[18:19], s28, v4
                                        ; implicit-def: $vgpr13
	s_and_saveexec_b64 s[0:1], s[18:19]
	s_cbranch_execz .LBB137_7
; %bb.6:
	global_load_dword v13, v[1:2], off offset:2048
.LBB137_7:
	s_or_b64 exec, exec, s[0:1]
	v_or_b32_e32 v4, 0x300, v0
	v_cmp_gt_u32_e64 s[16:17], s28, v4
                                        ; implicit-def: $vgpr12
	s_and_saveexec_b64 s[0:1], s[16:17]
	s_cbranch_execz .LBB137_9
; %bb.8:
	global_load_dword v12, v[1:2], off offset:3072
.LBB137_9:
	s_or_b64 exec, exec, s[0:1]
	v_or_b32_e32 v4, 0x400, v0
	v_cmp_gt_u32_e64 s[14:15], s28, v4
                                        ; implicit-def: $vgpr11
	s_and_saveexec_b64 s[0:1], s[14:15]
	s_cbranch_execz .LBB137_11
; %bb.10:
	v_add_co_u32_e32 v4, vcc, 0x1000, v1
	v_addc_co_u32_e32 v5, vcc, 0, v2, vcc
	global_load_dword v11, v[4:5], off
.LBB137_11:
	s_or_b64 exec, exec, s[0:1]
	v_or_b32_e32 v4, 0x500, v0
	v_cmp_gt_u32_e64 s[12:13], s28, v4
                                        ; implicit-def: $vgpr10
	s_and_saveexec_b64 s[0:1], s[12:13]
	s_cbranch_execz .LBB137_13
; %bb.12:
	v_add_co_u32_e32 v4, vcc, 0x1000, v1
	v_addc_co_u32_e32 v5, vcc, 0, v2, vcc
	global_load_dword v10, v[4:5], off offset:1024
.LBB137_13:
	s_or_b64 exec, exec, s[0:1]
	v_or_b32_e32 v4, 0x600, v0
	v_cmp_gt_u32_e64 s[10:11], s28, v4
                                        ; implicit-def: $vgpr9
	s_and_saveexec_b64 s[0:1], s[10:11]
	s_cbranch_execz .LBB137_15
; %bb.14:
	v_add_co_u32_e32 v4, vcc, 0x1000, v1
	v_addc_co_u32_e32 v5, vcc, 0, v2, vcc
	global_load_dword v9, v[4:5], off offset:2048
.LBB137_15:
	s_or_b64 exec, exec, s[0:1]
	v_or_b32_e32 v4, 0x700, v0
	v_cmp_gt_u32_e64 s[8:9], s28, v4
                                        ; implicit-def: $vgpr8
	s_and_saveexec_b64 s[0:1], s[8:9]
	s_cbranch_execz .LBB137_17
; %bb.16:
	v_add_co_u32_e32 v4, vcc, 0x1000, v1
	v_addc_co_u32_e32 v5, vcc, 0, v2, vcc
	global_load_dword v8, v[4:5], off offset:3072
.LBB137_17:
	s_or_b64 exec, exec, s[0:1]
	v_or_b32_e32 v4, 0x800, v0
	v_cmp_gt_u32_e64 s[6:7], s28, v4
                                        ; implicit-def: $vgpr7
	s_and_saveexec_b64 s[0:1], s[6:7]
	s_cbranch_execz .LBB137_19
; %bb.18:
	v_add_co_u32_e32 v4, vcc, 0x2000, v1
	v_addc_co_u32_e32 v5, vcc, 0, v2, vcc
	global_load_dword v7, v[4:5], off
.LBB137_19:
	s_or_b64 exec, exec, s[0:1]
	v_or_b32_e32 v4, 0x900, v0
	v_cmp_gt_u32_e64 s[4:5], s28, v4
                                        ; implicit-def: $vgpr6
	s_and_saveexec_b64 s[0:1], s[4:5]
	s_cbranch_execz .LBB137_21
; %bb.20:
	v_add_co_u32_e32 v4, vcc, 0x2000, v1
	v_addc_co_u32_e32 v5, vcc, 0, v2, vcc
	global_load_dword v6, v[4:5], off offset:1024
.LBB137_21:
	s_or_b64 exec, exec, s[0:1]
	v_or_b32_e32 v4, 0xa00, v0
	v_cmp_gt_u32_e64 s[2:3], s28, v4
                                        ; implicit-def: $vgpr5
	s_and_saveexec_b64 s[0:1], s[2:3]
	s_cbranch_execz .LBB137_23
; %bb.22:
	v_add_co_u32_e32 v4, vcc, 0x2000, v1
	v_addc_co_u32_e32 v5, vcc, 0, v2, vcc
	global_load_dword v5, v[4:5], off offset:2048
.LBB137_23:
	s_or_b64 exec, exec, s[0:1]
	v_or_b32_e32 v4, 0xb00, v0
	v_cmp_gt_u32_e64 s[0:1], s28, v4
                                        ; implicit-def: $vgpr4
	s_and_saveexec_b64 s[28:29], s[0:1]
	s_cbranch_execz .LBB137_25
; %bb.24:
	v_add_co_u32_e32 v1, vcc, 0x2000, v1
	v_addc_co_u32_e32 v2, vcc, 0, v2, vcc
	global_load_dword v4, v[1:2], off offset:3072
.LBB137_25:
	s_or_b64 exec, exec, s[28:29]
	v_or_b32_e32 v1, 0xffffff00, v0
	s_mov_b64 s[28:29], 0
	v_mov_b32_e32 v2, 0
	s_movk_i32 s30, 0xeff
.LBB137_26:                             ; =>This Inner Loop Header: Depth=1
	v_add_u32_e32 v1, 0x100, v1
	v_cmp_lt_u32_e32 vcc, s30, v1
	ds_write_b32 v16, v2
	s_or_b64 s[28:29], vcc, s[28:29]
	v_add_u32_e32 v16, 0x400, v16
	s_andn2_b64 exec, exec, s[28:29]
	s_cbranch_execnz .LBB137_26
; %bb.27:
	s_or_b64 exec, exec, s[28:29]
	s_cmp_gt_u32 s35, s34
	s_cselect_b64 s[28:29], -1, 0
	s_cmp_le_u32 s35, s34
	s_waitcnt vmcnt(0) lgkmcnt(0)
	s_barrier
	s_cbranch_scc1 .LBB137_76
; %bb.28:
	v_bfrev_b32_e32 v2, 1
	v_cmp_lt_i32_e32 vcc, -1, v15
	v_cndmask_b32_e32 v16, -1, v2, vcc
	v_and_b32_e32 v1, 3, v0
	v_xor_b32_e32 v15, v16, v15
	s_brev_b32 s30, -2
	v_cmp_ne_u32_e32 vcc, s30, v15
	v_lshlrev_b32_e32 v1, 2, v1
	s_sub_i32 s33, s35, s34
	v_cndmask_b32_e32 v2, v2, v15, vcc
	v_mov_b32_e32 v15, 1
	s_mov_b32 s36, s33
	v_mov_b32_e32 v16, v1
	s_mov_b32 s37, s34
	s_branch .LBB137_30
.LBB137_29:                             ;   in Loop: Header=BB137_30 Depth=1
	s_or_b64 exec, exec, s[30:31]
	s_add_i32 s37, s37, 8
	s_add_i32 s36, s36, -8
	s_cmp_ge_u32 s37, s35
	v_add_u32_e32 v16, 0x1000, v16
	s_cbranch_scc1 .LBB137_32
.LBB137_30:                             ; =>This Inner Loop Header: Depth=1
	s_and_saveexec_b64 s[30:31], s[22:23]
	s_cbranch_execz .LBB137_29
; %bb.31:                               ;   in Loop: Header=BB137_30 Depth=1
	s_min_u32 s38, s36, 8
	v_lshrrev_b32_e32 v17, s37, v2
	v_bfe_u32 v17, v17, 0, s38
	v_lshl_add_u32 v17, v17, 4, v16
	ds_add_u32 v17, v15
	s_branch .LBB137_29
.LBB137_32:
	v_bfrev_b32_e32 v2, 1
	v_cmp_lt_i32_e32 vcc, -1, v14
	v_cndmask_b32_e32 v15, -1, v2, vcc
	v_xor_b32_e32 v14, v15, v14
	s_brev_b32 s22, -2
	v_cmp_ne_u32_e32 vcc, s22, v14
	v_cndmask_b32_e32 v2, v2, v14, vcc
	v_mov_b32_e32 v14, 1
	s_mov_b32 s30, s33
	v_mov_b32_e32 v15, v1
	s_mov_b32 s31, s34
	s_branch .LBB137_34
.LBB137_33:                             ;   in Loop: Header=BB137_34 Depth=1
	s_or_b64 exec, exec, s[22:23]
	s_add_i32 s31, s31, 8
	s_add_i32 s30, s30, -8
	s_cmp_lt_u32 s31, s35
	v_add_u32_e32 v15, 0x1000, v15
	s_cbranch_scc0 .LBB137_36
.LBB137_34:                             ; =>This Inner Loop Header: Depth=1
	s_and_saveexec_b64 s[22:23], s[20:21]
	s_cbranch_execz .LBB137_33
; %bb.35:                               ;   in Loop: Header=BB137_34 Depth=1
	s_min_u32 s36, s30, 8
	v_lshrrev_b32_e32 v16, s31, v2
	v_bfe_u32 v16, v16, 0, s36
	v_lshl_add_u32 v16, v16, 4, v15
	ds_add_u32 v16, v14
	s_branch .LBB137_33
.LBB137_36:
	v_bfrev_b32_e32 v2, 1
	v_cmp_lt_i32_e32 vcc, -1, v13
	v_cndmask_b32_e32 v14, -1, v2, vcc
	v_xor_b32_e32 v13, v14, v13
	s_brev_b32 s20, -2
	v_cmp_ne_u32_e32 vcc, s20, v13
	v_cndmask_b32_e32 v2, v2, v13, vcc
	v_mov_b32_e32 v13, 1
	s_mov_b32 s22, s33
	v_mov_b32_e32 v14, v1
	s_mov_b32 s23, s34
	s_branch .LBB137_38
.LBB137_37:                             ;   in Loop: Header=BB137_38 Depth=1
	s_or_b64 exec, exec, s[20:21]
	s_add_i32 s23, s23, 8
	s_add_i32 s22, s22, -8
	s_cmp_lt_u32 s23, s35
	v_add_u32_e32 v14, 0x1000, v14
	s_cbranch_scc0 .LBB137_40
.LBB137_38:                             ; =>This Inner Loop Header: Depth=1
	s_and_saveexec_b64 s[20:21], s[18:19]
	s_cbranch_execz .LBB137_37
; %bb.39:                               ;   in Loop: Header=BB137_38 Depth=1
	s_min_u32 s30, s22, 8
	v_lshrrev_b32_e32 v15, s23, v2
	v_bfe_u32 v15, v15, 0, s30
	v_lshl_add_u32 v15, v15, 4, v14
	ds_add_u32 v15, v13
	s_branch .LBB137_37
.LBB137_40:
	;; [unrolled: 30-line block ×10, first 2 shown]
	v_bfrev_b32_e32 v2, 1
	v_cmp_lt_i32_e32 vcc, -1, v4
	v_cndmask_b32_e32 v5, -1, v2, vcc
	v_xor_b32_e32 v4, v5, v4
	s_brev_b32 s2, -2
	v_cmp_ne_u32_e32 vcc, s2, v4
	v_cndmask_b32_e32 v2, v2, v4, vcc
	v_mov_b32_e32 v4, 1
	s_mov_b32 s4, s34
	s_branch .LBB137_74
.LBB137_73:                             ;   in Loop: Header=BB137_74 Depth=1
	s_or_b64 exec, exec, s[2:3]
	s_add_i32 s4, s4, 8
	s_add_i32 s33, s33, -8
	s_cmp_lt_u32 s4, s35
	v_add_u32_e32 v1, 0x1000, v1
	s_cbranch_scc0 .LBB137_76
.LBB137_74:                             ; =>This Inner Loop Header: Depth=1
	s_and_saveexec_b64 s[2:3], s[0:1]
	s_cbranch_execz .LBB137_73
; %bb.75:                               ;   in Loop: Header=BB137_74 Depth=1
	s_min_u32 s5, s33, 8
	v_lshrrev_b32_e32 v5, s4, v2
	v_bfe_u32 v5, v5, 0, s5
	v_lshl_add_u32 v5, v5, 4, v1
	ds_add_u32 v5, v4
	s_branch .LBB137_73
.LBB137_76:
	s_and_b64 vcc, exec, s[28:29]
	s_waitcnt lgkmcnt(0)
	s_barrier
	s_cbranch_vccz .LBB137_81
; %bb.77:
	s_movk_i32 s0, 0x100
	v_cmp_gt_u32_e32 vcc, s0, v0
	v_lshlrev_b32_e32 v4, 4, v0
	v_mov_b32_e32 v2, 0
	v_mov_b32_e32 v1, v0
	s_mov_b32 s4, s34
	s_branch .LBB137_79
.LBB137_78:                             ;   in Loop: Header=BB137_79 Depth=1
	s_or_b64 exec, exec, s[2:3]
	s_add_i32 s4, s4, 8
	v_add_u32_e32 v1, 0x100, v1
	s_cmp_lt_u32 s4, s35
	v_add_u32_e32 v4, 0x1000, v4
	s_cbranch_scc0 .LBB137_81
.LBB137_79:                             ; =>This Inner Loop Header: Depth=1
	s_and_saveexec_b64 s[2:3], vcc
	s_cbranch_execz .LBB137_78
; %bb.80:                               ;   in Loop: Header=BB137_79 Depth=1
	ds_read2_b32 v[5:6], v4 offset1:1
	ds_read2_b32 v[7:8], v4 offset0:2 offset1:3
	v_lshlrev_b64 v[9:10], 3, v[1:2]
	v_mov_b32_e32 v11, s27
	s_waitcnt lgkmcnt(1)
	v_add_u32_e32 v5, v6, v5
	s_waitcnt lgkmcnt(0)
	v_add3_u32 v5, v5, v7, v8
	v_add_co_u32_e64 v7, s[0:1], s26, v9
	v_addc_co_u32_e64 v8, s[0:1], v11, v10, s[0:1]
	v_mov_b32_e32 v6, v2
	global_atomic_add_x2 v[7:8], v[5:6], off
	s_branch .LBB137_78
.LBB137_81:
	s_mov_b64 s[0:1], 0
.LBB137_82:
	s_and_b64 vcc, exec, s[0:1]
	s_cbranch_vccz .LBB137_122
; %bb.83:
	v_mov_b32_e32 v1, s25
	v_add_co_u32_e32 v4, vcc, s24, v3
	v_addc_co_u32_e32 v6, vcc, 0, v1, vcc
	v_add_co_u32_e32 v1, vcc, 0x1000, v4
	v_addc_co_u32_e32 v2, vcc, 0, v6, vcc
	v_add_co_u32_e32 v16, vcc, 0x2000, v4
	global_load_dword v12, v3, s[24:25]
	global_load_dword v9, v3, s[24:25] offset:1024
	global_load_dword v7, v3, s[24:25] offset:2048
	;; [unrolled: 1-line block ×3, first 2 shown]
	v_addc_co_u32_e32 v17, vcc, 0, v6, vcc
	global_load_dword v15, v[1:2], off
	global_load_dword v14, v[1:2], off offset:1024
	global_load_dword v13, v[1:2], off offset:2048
	;; [unrolled: 1-line block ×3, first 2 shown]
	global_load_dword v11, v[16:17], off
	global_load_dword v8, v[16:17], off offset:1024
	global_load_dword v6, v[16:17], off offset:2048
	;; [unrolled: 1-line block ×3, first 2 shown]
	s_cmp_eq_u32 s34, 0
	s_cselect_b64 s[0:1], -1, 0
	s_cmp_eq_u32 s35, 32
	s_cselect_b64 s[2:3], -1, 0
	s_and_b64 s[2:3], s[0:1], s[2:3]
	v_mov_b32_e32 v1, 0
	s_mov_b64 s[0:1], -1
	s_and_b64 vcc, exec, s[2:3]
	s_cbranch_vccnz .LBB137_117
; %bb.84:
	v_or_b32_e32 v2, 0xffffff00, v0
	s_mov_b64 s[0:1], 0
	s_movk_i32 s2, 0xeff
.LBB137_85:                             ; =>This Inner Loop Header: Depth=1
	v_add_u32_e32 v2, 0x100, v2
	v_cmp_lt_u32_e32 vcc, s2, v2
	ds_write_b32 v3, v1
	s_or_b64 s[0:1], vcc, s[0:1]
	v_add_u32_e32 v3, 0x400, v3
	s_andn2_b64 exec, exec, s[0:1]
	s_cbranch_execnz .LBB137_85
; %bb.86:
	s_or_b64 exec, exec, s[0:1]
	s_cmp_gt_u32 s35, s34
	s_cselect_b64 s[0:1], -1, 0
	s_cmp_le_u32 s35, s34
	s_waitcnt vmcnt(0) lgkmcnt(0)
	s_barrier
	s_cbranch_scc1 .LBB137_111
; %bb.87:
	v_bfrev_b32_e32 v2, 1
	v_cmp_lt_i32_e32 vcc, -1, v12
	v_cndmask_b32_e32 v3, -1, v2, vcc
	v_and_b32_e32 v1, 3, v0
	v_xor_b32_e32 v3, v3, v12
	s_brev_b32 s2, -2
	v_cmp_ne_u32_e32 vcc, s2, v3
	v_lshlrev_b32_e32 v1, 2, v1
	s_sub_i32 s2, s35, s34
	v_cndmask_b32_e32 v2, v2, v3, vcc
	v_mov_b32_e32 v3, 1
	s_mov_b32 s3, s2
	v_mov_b32_e32 v16, v1
	s_mov_b32 s4, s34
.LBB137_88:                             ; =>This Inner Loop Header: Depth=1
	s_min_u32 s5, s3, 8
	v_lshrrev_b32_e32 v17, s4, v2
	v_bfe_u32 v17, v17, 0, s5
	v_lshl_add_u32 v17, v17, 4, v16
	ds_add_u32 v17, v3
	s_add_i32 s4, s4, 8
	s_add_i32 s3, s3, -8
	s_cmp_ge_u32 s4, s35
	v_add_u32_e32 v16, 0x1000, v16
	s_cbranch_scc0 .LBB137_88
; %bb.89:
	v_bfrev_b32_e32 v2, 1
	v_cmp_lt_i32_e32 vcc, -1, v9
	v_cndmask_b32_e32 v3, -1, v2, vcc
	v_xor_b32_e32 v3, v3, v9
	s_brev_b32 s3, -2
	v_cmp_ne_u32_e32 vcc, s3, v3
	v_cndmask_b32_e32 v2, v2, v3, vcc
	v_mov_b32_e32 v3, 1
	s_mov_b32 s3, s2
	v_mov_b32_e32 v16, v1
	s_mov_b32 s4, s34
.LBB137_90:                             ; =>This Inner Loop Header: Depth=1
	s_min_u32 s5, s3, 8
	v_lshrrev_b32_e32 v17, s4, v2
	v_bfe_u32 v17, v17, 0, s5
	v_lshl_add_u32 v17, v17, 4, v16
	ds_add_u32 v17, v3
	s_add_i32 s4, s4, 8
	s_add_i32 s3, s3, -8
	s_cmp_lt_u32 s4, s35
	v_add_u32_e32 v16, 0x1000, v16
	s_cbranch_scc1 .LBB137_90
; %bb.91:
	v_bfrev_b32_e32 v2, 1
	v_cmp_lt_i32_e32 vcc, -1, v7
	v_cndmask_b32_e32 v3, -1, v2, vcc
	v_xor_b32_e32 v3, v3, v7
	s_brev_b32 s3, -2
	v_cmp_ne_u32_e32 vcc, s3, v3
	v_cndmask_b32_e32 v2, v2, v3, vcc
	v_mov_b32_e32 v3, 1
	s_mov_b32 s3, s2
	v_mov_b32_e32 v16, v1
	s_mov_b32 s4, s34
.LBB137_92:                             ; =>This Inner Loop Header: Depth=1
	s_min_u32 s5, s3, 8
	v_lshrrev_b32_e32 v17, s4, v2
	v_bfe_u32 v17, v17, 0, s5
	v_lshl_add_u32 v17, v17, 4, v16
	ds_add_u32 v17, v3
	s_add_i32 s4, s4, 8
	s_add_i32 s3, s3, -8
	s_cmp_lt_u32 s4, s35
	v_add_u32_e32 v16, 0x1000, v16
	s_cbranch_scc1 .LBB137_92
	;; [unrolled: 23-line block ×5, first 2 shown]
; %bb.99:
	v_bfrev_b32_e32 v2, 1
	v_cmp_lt_i32_e32 vcc, -1, v13
	v_cndmask_b32_e32 v3, -1, v2, vcc
	v_xor_b32_e32 v3, v3, v13
	s_brev_b32 s3, -2
	v_cmp_ne_u32_e32 vcc, s3, v3
	v_cndmask_b32_e32 v2, v2, v3, vcc
	v_mov_b32_e32 v3, 1
	s_mov_b32 s3, s2
	v_mov_b32_e32 v16, v1
	s_mov_b32 s4, s34
.LBB137_100:                            ; =>This Inner Loop Header: Depth=1
	s_min_u32 s5, s3, 8
	v_lshrrev_b32_e32 v17, s4, v2
	v_bfe_u32 v17, v17, 0, s5
	v_lshl_add_u32 v17, v17, 4, v16
	ds_add_u32 v17, v3
	s_add_i32 s4, s4, 8
	s_add_i32 s3, s3, -8
	s_cmp_lt_u32 s4, s35
	v_add_u32_e32 v16, 0x1000, v16
	s_cbranch_scc1 .LBB137_100
; %bb.101:
	v_bfrev_b32_e32 v2, 1
	v_cmp_lt_i32_e32 vcc, -1, v10
	v_cndmask_b32_e32 v3, -1, v2, vcc
	v_xor_b32_e32 v3, v3, v10
	s_brev_b32 s3, -2
	v_cmp_ne_u32_e32 vcc, s3, v3
	v_cndmask_b32_e32 v2, v2, v3, vcc
	v_mov_b32_e32 v3, 1
	s_mov_b32 s3, s2
	v_mov_b32_e32 v16, v1
	s_mov_b32 s4, s34
.LBB137_102:                            ; =>This Inner Loop Header: Depth=1
	s_min_u32 s5, s3, 8
	v_lshrrev_b32_e32 v17, s4, v2
	v_bfe_u32 v17, v17, 0, s5
	v_lshl_add_u32 v17, v17, 4, v16
	ds_add_u32 v17, v3
	s_add_i32 s4, s4, 8
	s_add_i32 s3, s3, -8
	s_cmp_lt_u32 s4, s35
	v_add_u32_e32 v16, 0x1000, v16
	s_cbranch_scc1 .LBB137_102
; %bb.103:
	v_bfrev_b32_e32 v2, 1
	v_cmp_lt_i32_e32 vcc, -1, v11
	v_cndmask_b32_e32 v3, -1, v2, vcc
	v_xor_b32_e32 v3, v3, v11
	s_brev_b32 s3, -2
	v_cmp_ne_u32_e32 vcc, s3, v3
	v_cndmask_b32_e32 v2, v2, v3, vcc
	v_mov_b32_e32 v3, 1
	s_mov_b32 s3, s2
	v_mov_b32_e32 v16, v1
	s_mov_b32 s4, s34
.LBB137_104:                            ; =>This Inner Loop Header: Depth=1
	s_min_u32 s5, s3, 8
	v_lshrrev_b32_e32 v17, s4, v2
	v_bfe_u32 v17, v17, 0, s5
	v_lshl_add_u32 v17, v17, 4, v16
	ds_add_u32 v17, v3
	s_add_i32 s4, s4, 8
	s_add_i32 s3, s3, -8
	s_cmp_lt_u32 s4, s35
	v_add_u32_e32 v16, 0x1000, v16
	s_cbranch_scc1 .LBB137_104
; %bb.105:
	v_bfrev_b32_e32 v2, 1
	v_cmp_lt_i32_e32 vcc, -1, v8
	v_cndmask_b32_e32 v3, -1, v2, vcc
	v_xor_b32_e32 v3, v3, v8
	s_brev_b32 s3, -2
	v_cmp_ne_u32_e32 vcc, s3, v3
	v_cndmask_b32_e32 v2, v2, v3, vcc
	v_mov_b32_e32 v3, 1
	s_mov_b32 s3, s2
	v_mov_b32_e32 v16, v1
	s_mov_b32 s4, s34
.LBB137_106:                            ; =>This Inner Loop Header: Depth=1
	s_min_u32 s5, s3, 8
	v_lshrrev_b32_e32 v17, s4, v2
	v_bfe_u32 v17, v17, 0, s5
	v_lshl_add_u32 v17, v17, 4, v16
	ds_add_u32 v17, v3
	s_add_i32 s4, s4, 8
	s_add_i32 s3, s3, -8
	s_cmp_lt_u32 s4, s35
	v_add_u32_e32 v16, 0x1000, v16
	s_cbranch_scc1 .LBB137_106
; %bb.107:
	v_bfrev_b32_e32 v2, 1
	v_cmp_lt_i32_e32 vcc, -1, v6
	v_cndmask_b32_e32 v3, -1, v2, vcc
	v_xor_b32_e32 v3, v3, v6
	s_brev_b32 s3, -2
	v_cmp_ne_u32_e32 vcc, s3, v3
	v_cndmask_b32_e32 v2, v2, v3, vcc
	v_mov_b32_e32 v3, 1
	s_mov_b32 s3, s2
	v_mov_b32_e32 v16, v1
	s_mov_b32 s4, s34
.LBB137_108:                            ; =>This Inner Loop Header: Depth=1
	s_min_u32 s5, s3, 8
	v_lshrrev_b32_e32 v17, s4, v2
	v_bfe_u32 v17, v17, 0, s5
	v_lshl_add_u32 v17, v17, 4, v16
	ds_add_u32 v17, v3
	s_add_i32 s4, s4, 8
	s_add_i32 s3, s3, -8
	s_cmp_lt_u32 s4, s35
	v_add_u32_e32 v16, 0x1000, v16
	s_cbranch_scc1 .LBB137_108
; %bb.109:
	v_bfrev_b32_e32 v2, 1
	v_cmp_lt_i32_e32 vcc, -1, v4
	v_cndmask_b32_e32 v3, -1, v2, vcc
	v_xor_b32_e32 v3, v3, v4
	s_brev_b32 s3, -2
	v_cmp_ne_u32_e32 vcc, s3, v3
	v_cndmask_b32_e32 v2, v2, v3, vcc
	v_mov_b32_e32 v3, 1
	s_mov_b32 s3, s34
.LBB137_110:                            ; =>This Inner Loop Header: Depth=1
	s_min_u32 s4, s2, 8
	v_lshrrev_b32_e32 v16, s3, v2
	v_bfe_u32 v16, v16, 0, s4
	v_lshl_add_u32 v16, v16, 4, v1
	ds_add_u32 v16, v3
	s_add_i32 s3, s3, 8
	s_add_i32 s2, s2, -8
	s_cmp_lt_u32 s3, s35
	v_add_u32_e32 v1, 0x1000, v1
	s_cbranch_scc1 .LBB137_110
.LBB137_111:
	s_and_b64 vcc, exec, s[0:1]
	s_waitcnt lgkmcnt(0)
	s_barrier
	s_cbranch_vccz .LBB137_116
; %bb.112:
	s_movk_i32 s0, 0x100
	v_cmp_gt_u32_e32 vcc, s0, v0
	v_lshlrev_b32_e32 v3, 4, v0
	v_mov_b32_e32 v2, 0
	v_mov_b32_e32 v1, v0
	s_branch .LBB137_114
.LBB137_113:                            ;   in Loop: Header=BB137_114 Depth=1
	s_or_b64 exec, exec, s[2:3]
	s_add_i32 s34, s34, 8
	v_add_u32_e32 v1, 0x100, v1
	s_cmp_ge_u32 s34, s35
	v_add_u32_e32 v3, 0x1000, v3
	s_cbranch_scc1 .LBB137_116
.LBB137_114:                            ; =>This Inner Loop Header: Depth=1
	s_and_saveexec_b64 s[2:3], vcc
	s_cbranch_execz .LBB137_113
; %bb.115:                              ;   in Loop: Header=BB137_114 Depth=1
	ds_read2_b32 v[16:17], v3 offset1:1
	ds_read2_b32 v[18:19], v3 offset0:2 offset1:3
	v_lshlrev_b64 v[20:21], 3, v[1:2]
	v_mov_b32_e32 v22, s27
	s_waitcnt lgkmcnt(1)
	v_add_u32_e32 v16, v17, v16
	s_waitcnt lgkmcnt(0)
	v_add3_u32 v16, v16, v18, v19
	v_add_co_u32_e64 v18, s[0:1], s26, v20
	v_addc_co_u32_e64 v19, s[0:1], v22, v21, s[0:1]
	v_mov_b32_e32 v17, v2
	global_atomic_add_x2 v[18:19], v[16:17], off
	s_branch .LBB137_113
.LBB137_116:
	s_mov_b64 s[0:1], 0
.LBB137_117:
	s_and_b64 vcc, exec, s[0:1]
	s_cbranch_vccz .LBB137_122
; %bb.118:
	v_or_b32_e32 v1, 0xffffff00, v0
	v_lshlrev_b32_e32 v2, 2, v0
	s_mov_b64 s[0:1], 0
	v_mov_b32_e32 v3, 0
	s_movk_i32 s2, 0xeff
.LBB137_119:                            ; =>This Inner Loop Header: Depth=1
	v_add_u32_e32 v1, 0x100, v1
	v_cmp_lt_u32_e32 vcc, s2, v1
	ds_write_b32 v2, v3
	s_or_b64 s[0:1], vcc, s[0:1]
	v_add_u32_e32 v2, 0x400, v2
	s_andn2_b64 exec, exec, s[0:1]
	s_cbranch_execnz .LBB137_119
; %bb.120:
	s_or_b64 exec, exec, s[0:1]
	v_bfrev_b32_e32 v1, 1
	s_waitcnt vmcnt(11)
	v_cmp_lt_i32_e32 vcc, -1, v12
	v_cndmask_b32_e32 v2, -1, v1, vcc
	s_waitcnt vmcnt(10)
	v_cmp_lt_i32_e32 vcc, -1, v9
	v_cndmask_b32_e32 v3, -1, v1, vcc
	s_waitcnt vmcnt(9)
	v_cmp_lt_i32_e32 vcc, -1, v7
	v_xor_b32_e32 v3, v3, v9
	v_cndmask_b32_e32 v9, -1, v1, vcc
	s_waitcnt vmcnt(8)
	v_cmp_lt_i32_e32 vcc, -1, v5
	v_xor_b32_e32 v7, v9, v7
	;; [unrolled: 4-line block ×9, first 2 shown]
	v_cndmask_b32_e32 v14, -1, v1, vcc
	s_waitcnt vmcnt(0)
	v_cmp_lt_i32_e32 vcc, -1, v4
	s_brev_b32 s0, -2
	v_xor_b32_e32 v6, v14, v6
	v_cndmask_b32_e32 v14, -1, v1, vcc
	v_cmp_ne_u32_e32 vcc, s0, v2
	v_xor_b32_e32 v4, v14, v4
	v_and_b32_e32 v14, 3, v0
	v_cndmask_b32_e32 v2, v1, v2, vcc
	v_xor_b32_e32 v9, v9, v15
	v_lshlrev_b32_e32 v15, 4, v2
	v_lshlrev_b32_e32 v14, 2, v14
	s_movk_i32 s1, 0xff0
	v_and_or_b32 v15, v15, s1, v14
	v_mov_b32_e32 v16, 1
	s_waitcnt lgkmcnt(0)
	s_barrier
	ds_add_u32 v15, v16
	v_bfe_u32 v15, v2, 8, 8
	v_lshl_or_b32 v15, v15, 4, v14
	ds_add_u32 v15, v16 offset:4096
	v_bfe_u32 v15, v2, 16, 8
	v_lshl_or_b32 v15, v15, 4, v14
	v_lshrrev_b32_e32 v2, 24, v2
	ds_add_u32 v15, v16 offset:8192
	v_lshl_or_b32 v2, v2, 4, v14
	v_cmp_ne_u32_e32 vcc, s0, v3
	ds_add_u32 v2, v16 offset:12288
	v_cndmask_b32_e32 v2, v1, v3, vcc
	v_lshlrev_b32_e32 v3, 4, v2
	v_and_or_b32 v3, v3, s1, v14
	ds_add_u32 v3, v16
	v_bfe_u32 v3, v2, 8, 8
	v_lshl_or_b32 v3, v3, 4, v14
	ds_add_u32 v3, v16 offset:4096
	v_bfe_u32 v3, v2, 16, 8
	v_lshl_or_b32 v3, v3, 4, v14
	v_lshrrev_b32_e32 v2, 24, v2
	ds_add_u32 v3, v16 offset:8192
	v_lshl_or_b32 v2, v2, 4, v14
	v_cmp_ne_u32_e32 vcc, s0, v7
	ds_add_u32 v2, v16 offset:12288
	v_cndmask_b32_e32 v2, v1, v7, vcc
	v_lshlrev_b32_e32 v3, 4, v2
	v_and_or_b32 v3, v3, s1, v14
	;; [unrolled: 14-line block ×10, first 2 shown]
	ds_add_u32 v3, v16
	v_bfe_u32 v3, v2, 8, 8
	v_lshl_or_b32 v3, v3, 4, v14
	ds_add_u32 v3, v16 offset:4096
	v_bfe_u32 v3, v2, 16, 8
	v_lshl_or_b32 v3, v3, 4, v14
	v_lshrrev_b32_e32 v2, 24, v2
	v_cmp_ne_u32_e32 vcc, s0, v4
	ds_add_u32 v3, v16 offset:8192
	v_lshl_or_b32 v2, v2, 4, v14
	v_cndmask_b32_e32 v1, v1, v4, vcc
	ds_add_u32 v2, v16 offset:12288
	v_lshlrev_b32_e32 v2, 4, v1
	v_and_or_b32 v2, v2, s1, v14
	ds_add_u32 v2, v16
	v_bfe_u32 v2, v1, 8, 8
	v_lshl_or_b32 v2, v2, 4, v14
	ds_add_u32 v2, v16 offset:4096
	v_bfe_u32 v2, v1, 16, 8
	v_lshl_or_b32 v2, v2, 4, v14
	v_lshrrev_b32_e32 v1, 24, v1
	ds_add_u32 v2, v16 offset:8192
	v_lshl_or_b32 v1, v1, 4, v14
	ds_add_u32 v1, v16 offset:12288
	s_movk_i32 s0, 0x100
	v_cmp_gt_u32_e32 vcc, s0, v0
	s_waitcnt lgkmcnt(0)
	s_barrier
	s_and_saveexec_b64 s[0:1], vcc
	s_cbranch_execz .LBB137_122
; %bb.121:
	v_lshlrev_b32_e32 v6, 4, v0
	ds_read2_b32 v[1:2], v6 offset1:1
	ds_read2_b32 v[3:4], v6 offset0:2 offset1:3
	v_lshlrev_b32_e32 v7, 3, v0
	v_mov_b32_e32 v5, 0
	v_or_b32_e32 v0, 0x1000, v6
	s_waitcnt lgkmcnt(1)
	v_add_u32_e32 v1, v2, v1
	s_waitcnt lgkmcnt(0)
	v_add3_u32 v4, v1, v3, v4
	global_atomic_add_x2 v7, v[4:5], s[26:27]
	v_or_b32_e32 v2, 0x1008, v6
	ds_read2_b32 v[0:1], v0 offset1:1
	ds_read2_b32 v[2:3], v2 offset1:1
	v_or_b32_e32 v9, 0x2000, v6
	v_mov_b32_e32 v8, s27
	s_movk_i32 s0, 0x1000
	s_waitcnt lgkmcnt(1)
	v_add_u32_e32 v0, v1, v0
	s_waitcnt lgkmcnt(0)
	v_add3_u32 v4, v0, v2, v3
	global_atomic_add_x2 v7, v[4:5], s[26:27] offset:2048
	v_or_b32_e32 v2, 0x2008, v6
	ds_read2_b32 v[0:1], v9 offset1:1
	ds_read2_b32 v[2:3], v2 offset1:1
	v_add_co_u32_e32 v7, vcc, s26, v7
	v_addc_co_u32_e32 v8, vcc, 0, v8, vcc
	s_waitcnt lgkmcnt(1)
	v_add_u32_e32 v0, v1, v0
	s_waitcnt lgkmcnt(0)
	v_add3_u32 v4, v0, v2, v3
	v_add_co_u32_e32 v0, vcc, s0, v7
	v_addc_co_u32_e32 v1, vcc, 0, v8, vcc
	global_atomic_add_x2 v[0:1], v[4:5], off
	v_or_b32_e32 v2, 0x3000, v6
	v_or_b32_e32 v4, 0x3008, v6
	ds_read2_b32 v[2:3], v2 offset1:1
	ds_read2_b32 v[6:7], v4 offset1:1
	s_waitcnt lgkmcnt(1)
	v_add_u32_e32 v2, v3, v2
	s_waitcnt lgkmcnt(0)
	v_add3_u32 v4, v2, v6, v7
	global_atomic_add_x2 v[0:1], v[4:5], off offset:2048
.LBB137_122:
	s_endpgm
	.section	.rodata,"a",@progbits
	.p2align	6, 0x0
	.amdhsa_kernel _ZN7rocprim17ROCPRIM_304000_NS6detail26onesweep_histograms_kernelINS1_34wrapped_radix_sort_onesweep_configINS0_14default_configEfN2at4cuda3cub6detail10OpaqueTypeILi8EEEEELb0EPKfmNS0_19identity_decomposerEEEvT1_PT2_SG_SG_T3_jj
		.amdhsa_group_segment_fixed_size 16384
		.amdhsa_private_segment_fixed_size 0
		.amdhsa_kernarg_size 44
		.amdhsa_user_sgpr_count 6
		.amdhsa_user_sgpr_private_segment_buffer 1
		.amdhsa_user_sgpr_dispatch_ptr 0
		.amdhsa_user_sgpr_queue_ptr 0
		.amdhsa_user_sgpr_kernarg_segment_ptr 1
		.amdhsa_user_sgpr_dispatch_id 0
		.amdhsa_user_sgpr_flat_scratch_init 0
		.amdhsa_user_sgpr_private_segment_size 0
		.amdhsa_uses_dynamic_stack 0
		.amdhsa_system_sgpr_private_segment_wavefront_offset 0
		.amdhsa_system_sgpr_workgroup_id_x 1
		.amdhsa_system_sgpr_workgroup_id_y 0
		.amdhsa_system_sgpr_workgroup_id_z 0
		.amdhsa_system_sgpr_workgroup_info 0
		.amdhsa_system_vgpr_workitem_id 0
		.amdhsa_next_free_vgpr 49
		.amdhsa_next_free_sgpr 98
		.amdhsa_reserve_vcc 1
		.amdhsa_reserve_flat_scratch 0
		.amdhsa_float_round_mode_32 0
		.amdhsa_float_round_mode_16_64 0
		.amdhsa_float_denorm_mode_32 3
		.amdhsa_float_denorm_mode_16_64 3
		.amdhsa_dx10_clamp 1
		.amdhsa_ieee_mode 1
		.amdhsa_fp16_overflow 0
		.amdhsa_exception_fp_ieee_invalid_op 0
		.amdhsa_exception_fp_denorm_src 0
		.amdhsa_exception_fp_ieee_div_zero 0
		.amdhsa_exception_fp_ieee_overflow 0
		.amdhsa_exception_fp_ieee_underflow 0
		.amdhsa_exception_fp_ieee_inexact 0
		.amdhsa_exception_int_div_zero 0
	.end_amdhsa_kernel
	.section	.text._ZN7rocprim17ROCPRIM_304000_NS6detail26onesweep_histograms_kernelINS1_34wrapped_radix_sort_onesweep_configINS0_14default_configEfN2at4cuda3cub6detail10OpaqueTypeILi8EEEEELb0EPKfmNS0_19identity_decomposerEEEvT1_PT2_SG_SG_T3_jj,"axG",@progbits,_ZN7rocprim17ROCPRIM_304000_NS6detail26onesweep_histograms_kernelINS1_34wrapped_radix_sort_onesweep_configINS0_14default_configEfN2at4cuda3cub6detail10OpaqueTypeILi8EEEEELb0EPKfmNS0_19identity_decomposerEEEvT1_PT2_SG_SG_T3_jj,comdat
.Lfunc_end137:
	.size	_ZN7rocprim17ROCPRIM_304000_NS6detail26onesweep_histograms_kernelINS1_34wrapped_radix_sort_onesweep_configINS0_14default_configEfN2at4cuda3cub6detail10OpaqueTypeILi8EEEEELb0EPKfmNS0_19identity_decomposerEEEvT1_PT2_SG_SG_T3_jj, .Lfunc_end137-_ZN7rocprim17ROCPRIM_304000_NS6detail26onesweep_histograms_kernelINS1_34wrapped_radix_sort_onesweep_configINS0_14default_configEfN2at4cuda3cub6detail10OpaqueTypeILi8EEEEELb0EPKfmNS0_19identity_decomposerEEEvT1_PT2_SG_SG_T3_jj
                                        ; -- End function
	.set _ZN7rocprim17ROCPRIM_304000_NS6detail26onesweep_histograms_kernelINS1_34wrapped_radix_sort_onesweep_configINS0_14default_configEfN2at4cuda3cub6detail10OpaqueTypeILi8EEEEELb0EPKfmNS0_19identity_decomposerEEEvT1_PT2_SG_SG_T3_jj.num_vgpr, 23
	.set _ZN7rocprim17ROCPRIM_304000_NS6detail26onesweep_histograms_kernelINS1_34wrapped_radix_sort_onesweep_configINS0_14default_configEfN2at4cuda3cub6detail10OpaqueTypeILi8EEEEELb0EPKfmNS0_19identity_decomposerEEEvT1_PT2_SG_SG_T3_jj.num_agpr, 0
	.set _ZN7rocprim17ROCPRIM_304000_NS6detail26onesweep_histograms_kernelINS1_34wrapped_radix_sort_onesweep_configINS0_14default_configEfN2at4cuda3cub6detail10OpaqueTypeILi8EEEEELb0EPKfmNS0_19identity_decomposerEEEvT1_PT2_SG_SG_T3_jj.numbered_sgpr, 39
	.set _ZN7rocprim17ROCPRIM_304000_NS6detail26onesweep_histograms_kernelINS1_34wrapped_radix_sort_onesweep_configINS0_14default_configEfN2at4cuda3cub6detail10OpaqueTypeILi8EEEEELb0EPKfmNS0_19identity_decomposerEEEvT1_PT2_SG_SG_T3_jj.num_named_barrier, 0
	.set _ZN7rocprim17ROCPRIM_304000_NS6detail26onesweep_histograms_kernelINS1_34wrapped_radix_sort_onesweep_configINS0_14default_configEfN2at4cuda3cub6detail10OpaqueTypeILi8EEEEELb0EPKfmNS0_19identity_decomposerEEEvT1_PT2_SG_SG_T3_jj.private_seg_size, 0
	.set _ZN7rocprim17ROCPRIM_304000_NS6detail26onesweep_histograms_kernelINS1_34wrapped_radix_sort_onesweep_configINS0_14default_configEfN2at4cuda3cub6detail10OpaqueTypeILi8EEEEELb0EPKfmNS0_19identity_decomposerEEEvT1_PT2_SG_SG_T3_jj.uses_vcc, 1
	.set _ZN7rocprim17ROCPRIM_304000_NS6detail26onesweep_histograms_kernelINS1_34wrapped_radix_sort_onesweep_configINS0_14default_configEfN2at4cuda3cub6detail10OpaqueTypeILi8EEEEELb0EPKfmNS0_19identity_decomposerEEEvT1_PT2_SG_SG_T3_jj.uses_flat_scratch, 0
	.set _ZN7rocprim17ROCPRIM_304000_NS6detail26onesweep_histograms_kernelINS1_34wrapped_radix_sort_onesweep_configINS0_14default_configEfN2at4cuda3cub6detail10OpaqueTypeILi8EEEEELb0EPKfmNS0_19identity_decomposerEEEvT1_PT2_SG_SG_T3_jj.has_dyn_sized_stack, 0
	.set _ZN7rocprim17ROCPRIM_304000_NS6detail26onesweep_histograms_kernelINS1_34wrapped_radix_sort_onesweep_configINS0_14default_configEfN2at4cuda3cub6detail10OpaqueTypeILi8EEEEELb0EPKfmNS0_19identity_decomposerEEEvT1_PT2_SG_SG_T3_jj.has_recursion, 0
	.set _ZN7rocprim17ROCPRIM_304000_NS6detail26onesweep_histograms_kernelINS1_34wrapped_radix_sort_onesweep_configINS0_14default_configEfN2at4cuda3cub6detail10OpaqueTypeILi8EEEEELb0EPKfmNS0_19identity_decomposerEEEvT1_PT2_SG_SG_T3_jj.has_indirect_call, 0
	.section	.AMDGPU.csdata,"",@progbits
; Kernel info:
; codeLenInByte = 5680
; TotalNumSgprs: 43
; NumVgprs: 23
; ScratchSize: 0
; MemoryBound: 0
; FloatMode: 240
; IeeeMode: 1
; LDSByteSize: 16384 bytes/workgroup (compile time only)
; SGPRBlocks: 12
; VGPRBlocks: 12
; NumSGPRsForWavesPerEU: 102
; NumVGPRsForWavesPerEU: 49
; Occupancy: 4
; WaveLimiterHint : 1
; COMPUTE_PGM_RSRC2:SCRATCH_EN: 0
; COMPUTE_PGM_RSRC2:USER_SGPR: 6
; COMPUTE_PGM_RSRC2:TRAP_HANDLER: 0
; COMPUTE_PGM_RSRC2:TGID_X_EN: 1
; COMPUTE_PGM_RSRC2:TGID_Y_EN: 0
; COMPUTE_PGM_RSRC2:TGID_Z_EN: 0
; COMPUTE_PGM_RSRC2:TIDIG_COMP_CNT: 0
	.section	.text._ZN7rocprim17ROCPRIM_304000_NS6detail25onesweep_iteration_kernelINS1_34wrapped_radix_sort_onesweep_configINS0_14default_configEfN2at4cuda3cub6detail10OpaqueTypeILi8EEEEELb0EPKfPfPKSA_PSA_mNS0_19identity_decomposerEEEvT1_T2_T3_T4_jPT5_SO_PNS1_23onesweep_lookback_stateET6_jjj,"axG",@progbits,_ZN7rocprim17ROCPRIM_304000_NS6detail25onesweep_iteration_kernelINS1_34wrapped_radix_sort_onesweep_configINS0_14default_configEfN2at4cuda3cub6detail10OpaqueTypeILi8EEEEELb0EPKfPfPKSA_PSA_mNS0_19identity_decomposerEEEvT1_T2_T3_T4_jPT5_SO_PNS1_23onesweep_lookback_stateET6_jjj,comdat
	.protected	_ZN7rocprim17ROCPRIM_304000_NS6detail25onesweep_iteration_kernelINS1_34wrapped_radix_sort_onesweep_configINS0_14default_configEfN2at4cuda3cub6detail10OpaqueTypeILi8EEEEELb0EPKfPfPKSA_PSA_mNS0_19identity_decomposerEEEvT1_T2_T3_T4_jPT5_SO_PNS1_23onesweep_lookback_stateET6_jjj ; -- Begin function _ZN7rocprim17ROCPRIM_304000_NS6detail25onesweep_iteration_kernelINS1_34wrapped_radix_sort_onesweep_configINS0_14default_configEfN2at4cuda3cub6detail10OpaqueTypeILi8EEEEELb0EPKfPfPKSA_PSA_mNS0_19identity_decomposerEEEvT1_T2_T3_T4_jPT5_SO_PNS1_23onesweep_lookback_stateET6_jjj
	.globl	_ZN7rocprim17ROCPRIM_304000_NS6detail25onesweep_iteration_kernelINS1_34wrapped_radix_sort_onesweep_configINS0_14default_configEfN2at4cuda3cub6detail10OpaqueTypeILi8EEEEELb0EPKfPfPKSA_PSA_mNS0_19identity_decomposerEEEvT1_T2_T3_T4_jPT5_SO_PNS1_23onesweep_lookback_stateET6_jjj
	.p2align	8
	.type	_ZN7rocprim17ROCPRIM_304000_NS6detail25onesweep_iteration_kernelINS1_34wrapped_radix_sort_onesweep_configINS0_14default_configEfN2at4cuda3cub6detail10OpaqueTypeILi8EEEEELb0EPKfPfPKSA_PSA_mNS0_19identity_decomposerEEEvT1_T2_T3_T4_jPT5_SO_PNS1_23onesweep_lookback_stateET6_jjj,@function
_ZN7rocprim17ROCPRIM_304000_NS6detail25onesweep_iteration_kernelINS1_34wrapped_radix_sort_onesweep_configINS0_14default_configEfN2at4cuda3cub6detail10OpaqueTypeILi8EEEEELb0EPKfPfPKSA_PSA_mNS0_19identity_decomposerEEEvT1_T2_T3_T4_jPT5_SO_PNS1_23onesweep_lookback_stateET6_jjj: ; @_ZN7rocprim17ROCPRIM_304000_NS6detail25onesweep_iteration_kernelINS1_34wrapped_radix_sort_onesweep_configINS0_14default_configEfN2at4cuda3cub6detail10OpaqueTypeILi8EEEEELb0EPKfPfPKSA_PSA_mNS0_19identity_decomposerEEEvT1_T2_T3_T4_jPT5_SO_PNS1_23onesweep_lookback_stateET6_jjj
; %bb.0:
	s_load_dwordx8 s[56:63], s[4:5], 0x0
	s_load_dwordx4 s[68:71], s[4:5], 0x44
	s_load_dwordx4 s[64:67], s[4:5], 0x28
	s_load_dwordx2 s[72:73], s[4:5], 0x38
	s_mov_b32 s7, s6
	s_mov_b64 s[0:1], -1
	s_waitcnt lgkmcnt(0)
	s_cmp_ge_u32 s6, s70
	s_mul_i32 s54, s6, 0xc00
	v_mbcnt_lo_u32_b32 v29, -1, 0
	s_cbranch_scc0 .LBB138_152
; %bb.1:
	s_load_dword s2, s[4:5], 0x20
	s_mulk_i32 s70, 0xf400
	s_mov_b32 s55, 0
	s_lshl_b64 s[0:1], s[54:55], 2
	v_mbcnt_hi_u32_b32 v9, -1, v29
	s_waitcnt lgkmcnt(0)
	s_add_i32 s70, s70, s2
	s_add_u32 s0, s56, s0
	s_addc_u32 s1, s57, s1
	v_and_b32_e32 v7, 0xc0, v0
	v_lshlrev_b32_e32 v3, 2, v9
	v_mul_u32_u24_e32 v10, 12, v7
	v_mov_b32_e32 v4, s1
	v_add_co_u32_e32 v3, vcc, s0, v3
	v_addc_co_u32_e32 v4, vcc, 0, v4, vcc
	v_lshlrev_b32_e32 v5, 2, v10
	v_add_co_u32_e32 v3, vcc, v3, v5
	v_addc_co_u32_e32 v4, vcc, 0, v4, vcc
	v_or_b32_e32 v8, v9, v10
	v_cmp_gt_u32_e32 vcc, s70, v8
	v_bfrev_b32_e32 v13, -2
	v_bfrev_b32_e32 v5, -2
	s_and_saveexec_b64 s[0:1], vcc
	s_cbranch_execz .LBB138_3
; %bb.2:
	global_load_dword v5, v[3:4], off
.LBB138_3:
	s_or_b64 exec, exec, s[0:1]
	v_add_u32_e32 v6, 64, v8
	v_cmp_gt_u32_e64 s[0:1], s70, v6
	s_and_saveexec_b64 s[2:3], s[0:1]
	s_cbranch_execz .LBB138_5
; %bb.4:
	global_load_dword v13, v[3:4], off offset:256
.LBB138_5:
	s_or_b64 exec, exec, s[2:3]
	v_add_u32_e32 v6, 0x80, v8
	v_cmp_gt_u32_e64 s[2:3], s70, v6
	v_bfrev_b32_e32 v22, -2
	v_bfrev_b32_e32 v18, -2
	s_and_saveexec_b64 s[8:9], s[2:3]
	s_cbranch_execz .LBB138_7
; %bb.6:
	global_load_dword v18, v[3:4], off offset:512
.LBB138_7:
	s_or_b64 exec, exec, s[8:9]
	v_add_u32_e32 v6, 0xc0, v8
	v_cmp_gt_u32_e64 s[50:51], s70, v6
	s_and_saveexec_b64 s[8:9], s[50:51]
	s_cbranch_execz .LBB138_9
; %bb.8:
	global_load_dword v22, v[3:4], off offset:768
.LBB138_9:
	s_or_b64 exec, exec, s[8:9]
	v_add_u32_e32 v6, 0x100, v8
	v_cmp_gt_u32_e64 s[8:9], s70, v6
	v_bfrev_b32_e32 v36, -2
	v_bfrev_b32_e32 v31, -2
	s_and_saveexec_b64 s[10:11], s[8:9]
	s_cbranch_execz .LBB138_11
; %bb.10:
	global_load_dword v31, v[3:4], off offset:1024
.LBB138_11:
	;; [unrolled: 18-line block ×5, first 2 shown]
	s_or_b64 exec, exec, s[10:11]
	v_add_u32_e32 v8, 0x2c0, v8
	v_cmp_gt_u32_e64 s[10:11], s70, v8
	s_and_saveexec_b64 s[24:25], s[10:11]
	s_cbranch_execz .LBB138_25
; %bb.24:
	global_load_dword v6, v[3:4], off offset:2816
.LBB138_25:
	s_or_b64 exec, exec, s[24:25]
	s_load_dword s24, s[4:5], 0x5c
	s_load_dword s33, s[4:5], 0x50
	s_add_u32 s25, s4, 0x50
	s_addc_u32 s26, s5, 0
	v_mov_b32_e32 v3, 0
	s_waitcnt lgkmcnt(0)
	s_lshr_b32 s27, s24, 16
	s_cmp_lt_u32 s6, s33
	s_cselect_b32 s24, 12, 18
	s_add_u32 s24, s25, s24
	s_addc_u32 s25, s26, 0
	global_load_ushort v12, v3, s[24:25]
	v_bfrev_b32_e32 v15, 1
	s_waitcnt vmcnt(1)
	v_cmp_lt_i32_e64 s[24:25], -1, v5
	v_cndmask_b32_e64 v4, -1, v15, s[24:25]
	s_brev_b32 s28, -2
	v_xor_b32_e32 v8, v4, v5
	v_cmp_ne_u32_e64 s[24:25], s28, v8
	v_cndmask_b32_e64 v4, v15, v8, s[24:25]
	s_lshl_b32 s24, -1, s69
	v_lshrrev_b32_e32 v4, s68, v4
	s_not_b32 s74, s24
	v_and_b32_e32 v14, s74, v4
	v_and_b32_e32 v17, 1, v14
	v_add_co_u32_e64 v19, s[24:25], -1, v17
	v_lshlrev_b32_e32 v4, 30, v14
	v_addc_co_u32_e64 v20, s[24:25], 0, -1, s[24:25]
	v_mad_u32_u24 v5, v2, s27, v1
	v_cmp_ne_u32_e64 s[24:25], 0, v17
	v_cmp_gt_i64_e64 s[26:27], 0, v[3:4]
	v_not_b32_e32 v17, v4
	v_lshlrev_b32_e32 v4, 29, v14
	v_xor_b32_e32 v20, s25, v20
	v_xor_b32_e32 v19, s24, v19
	v_ashrrev_i32_e32 v17, 31, v17
	v_cmp_gt_i64_e64 s[24:25], 0, v[3:4]
	v_not_b32_e32 v23, v4
	v_lshlrev_b32_e32 v4, 28, v14
	v_and_b32_e32 v20, exec_hi, v20
	v_and_b32_e32 v19, exec_lo, v19
	v_xor_b32_e32 v24, s27, v17
	v_xor_b32_e32 v17, s26, v17
	v_ashrrev_i32_e32 v23, 31, v23
	v_cmp_gt_i64_e64 s[26:27], 0, v[3:4]
	v_not_b32_e32 v25, v4
	v_lshlrev_b32_e32 v4, 27, v14
	v_and_b32_e32 v20, v20, v24
	v_and_b32_e32 v17, v19, v17
	v_xor_b32_e32 v19, s25, v23
	v_xor_b32_e32 v23, s24, v23
	v_ashrrev_i32_e32 v24, 31, v25
	v_cmp_gt_i64_e64 s[24:25], 0, v[3:4]
	v_not_b32_e32 v25, v4
	v_lshlrev_b32_e32 v4, 26, v14
	v_and_b32_e32 v19, v20, v19
	v_and_b32_e32 v17, v17, v23
	;; [unrolled: 8-line block ×3, first 2 shown]
	v_xor_b32_e32 v20, s25, v24
	v_xor_b32_e32 v23, s24, v24
	v_ashrrev_i32_e32 v24, 31, v25
	v_cmp_gt_i64_e64 s[24:25], 0, v[3:4]
	v_not_b32_e32 v25, v4
	v_lshlrev_b32_e32 v4, 24, v14
	v_mul_lo_u32 v16, v14, 20
	v_and_b32_e32 v14, v19, v20
	v_and_b32_e32 v17, v17, v23
	v_xor_b32_e32 v19, s27, v24
	v_xor_b32_e32 v20, s26, v24
	v_ashrrev_i32_e32 v23, 31, v25
	v_cmp_gt_i64_e64 s[26:27], 0, v[3:4]
	v_not_b32_e32 v25, v4
	v_and_b32_e32 v17, v17, v20
	v_and_b32_e32 v14, v14, v19
	v_xor_b32_e32 v19, s25, v23
	v_mul_u32_u24_e32 v11, 20, v0
	ds_write2_b32 v11, v3, v3 offset0:4 offset1:5
	ds_write2_b32 v11, v3, v3 offset0:6 offset1:7
	ds_write_b32 v11, v3 offset:32
	s_waitcnt vmcnt(0) lgkmcnt(0)
	s_barrier
	; wave barrier
	v_mad_u64_u32 v[4:5], s[30:31], v5, v12, v[0:1]
	v_xor_b32_e32 v5, s24, v23
	v_and_b32_e32 v17, v17, v5
	v_lshrrev_b32_e32 v24, 6, v4
	v_ashrrev_i32_e32 v4, 31, v25
	v_xor_b32_e32 v5, s27, v4
	v_xor_b32_e32 v4, s26, v4
	v_and_b32_e32 v12, v14, v19
	v_and_b32_e32 v4, v17, v4
	;; [unrolled: 1-line block ×3, first 2 shown]
	v_mbcnt_lo_u32_b32 v12, v4, 0
	v_mbcnt_hi_u32_b32 v12, v5, v12
	v_cmp_ne_u64_e64 s[24:25], 0, v[4:5]
	v_cmp_eq_u32_e64 s[26:27], 0, v12
	v_lshl_add_u32 v14, v24, 2, v16
	s_and_b64 s[26:27], s[24:25], s[26:27]
	s_and_saveexec_b64 s[24:25], s[26:27]
; %bb.26:
	v_bcnt_u32_b32 v4, v4, 0
	v_bcnt_u32_b32 v4, v5, v4
	ds_write_b32 v14, v4 offset:16
; %bb.27:
	s_or_b64 exec, exec, s[24:25]
	v_cmp_lt_i32_e64 s[24:25], -1, v13
	v_cndmask_b32_e64 v4, -1, v15, s[24:25]
	v_xor_b32_e32 v13, v4, v13
	v_cmp_ne_u32_e64 s[24:25], s28, v13
	v_cndmask_b32_e64 v4, v15, v13, s[24:25]
	v_lshrrev_b32_e32 v4, s68, v4
	v_and_b32_e32 v5, s74, v4
	v_mul_lo_u32 v4, v5, 20
	; wave barrier
	v_lshl_add_u32 v16, v24, 2, v4
	v_and_b32_e32 v4, 1, v5
	v_add_co_u32_e64 v17, s[24:25], -1, v4
	v_addc_co_u32_e64 v19, s[24:25], 0, -1, s[24:25]
	v_cmp_ne_u32_e64 s[24:25], 0, v4
	v_xor_b32_e32 v4, s25, v19
	v_and_b32_e32 v19, exec_hi, v4
	v_lshlrev_b32_e32 v4, 30, v5
	v_xor_b32_e32 v17, s24, v17
	v_cmp_gt_i64_e64 s[24:25], 0, v[3:4]
	v_not_b32_e32 v4, v4
	v_ashrrev_i32_e32 v4, 31, v4
	v_and_b32_e32 v17, exec_lo, v17
	v_xor_b32_e32 v20, s25, v4
	v_xor_b32_e32 v4, s24, v4
	v_and_b32_e32 v17, v17, v4
	v_lshlrev_b32_e32 v4, 29, v5
	v_cmp_gt_i64_e64 s[24:25], 0, v[3:4]
	v_not_b32_e32 v4, v4
	v_ashrrev_i32_e32 v4, 31, v4
	v_and_b32_e32 v19, v19, v20
	v_xor_b32_e32 v20, s25, v4
	v_xor_b32_e32 v4, s24, v4
	v_and_b32_e32 v17, v17, v4
	v_lshlrev_b32_e32 v4, 28, v5
	v_cmp_gt_i64_e64 s[24:25], 0, v[3:4]
	v_not_b32_e32 v4, v4
	v_ashrrev_i32_e32 v4, 31, v4
	v_and_b32_e32 v19, v19, v20
	;; [unrolled: 8-line block ×5, first 2 shown]
	v_xor_b32_e32 v20, s25, v4
	v_xor_b32_e32 v4, s24, v4
	v_and_b32_e32 v17, v17, v4
	v_lshlrev_b32_e32 v4, 24, v5
	v_cmp_gt_i64_e64 s[24:25], 0, v[3:4]
	v_not_b32_e32 v3, v4
	v_ashrrev_i32_e32 v3, 31, v3
	v_xor_b32_e32 v4, s25, v3
	v_xor_b32_e32 v3, s24, v3
	ds_read_b32 v15, v16 offset:16
	v_and_b32_e32 v19, v19, v20
	v_and_b32_e32 v3, v17, v3
	;; [unrolled: 1-line block ×3, first 2 shown]
	v_mbcnt_lo_u32_b32 v5, v3, 0
	v_mbcnt_hi_u32_b32 v17, v4, v5
	v_cmp_ne_u64_e64 s[24:25], 0, v[3:4]
	v_cmp_eq_u32_e64 s[26:27], 0, v17
	s_and_b64 s[26:27], s[24:25], s[26:27]
	; wave barrier
	s_and_saveexec_b64 s[24:25], s[26:27]
	s_cbranch_execz .LBB138_29
; %bb.28:
	v_bcnt_u32_b32 v3, v3, 0
	v_bcnt_u32_b32 v3, v4, v3
	s_waitcnt lgkmcnt(0)
	v_add_u32_e32 v3, v15, v3
	ds_write_b32 v16, v3 offset:16
.LBB138_29:
	s_or_b64 exec, exec, s[24:25]
	v_bfrev_b32_e32 v25, 1
	v_cmp_lt_i32_e64 s[24:25], -1, v18
	v_cndmask_b32_e64 v3, -1, v25, s[24:25]
	v_xor_b32_e32 v18, v3, v18
	v_cmp_ne_u32_e64 s[24:25], s28, v18
	v_cndmask_b32_e64 v3, v25, v18, s[24:25]
	v_lshrrev_b32_e32 v3, s68, v3
	v_and_b32_e32 v5, s74, v3
	v_and_b32_e32 v4, 1, v5
	v_mul_lo_u32 v3, v5, 20
	v_add_co_u32_e64 v23, s[24:25], -1, v4
	v_addc_co_u32_e64 v27, s[24:25], 0, -1, s[24:25]
	v_cmp_ne_u32_e64 s[24:25], 0, v4
	v_xor_b32_e32 v4, s25, v27
	v_lshl_add_u32 v20, v24, 2, v3
	v_mov_b32_e32 v3, 0
	v_and_b32_e32 v27, exec_hi, v4
	v_lshlrev_b32_e32 v4, 30, v5
	v_xor_b32_e32 v23, s24, v23
	v_cmp_gt_i64_e64 s[24:25], 0, v[3:4]
	v_not_b32_e32 v4, v4
	v_ashrrev_i32_e32 v4, 31, v4
	v_and_b32_e32 v23, exec_lo, v23
	v_xor_b32_e32 v28, s25, v4
	v_xor_b32_e32 v4, s24, v4
	v_and_b32_e32 v23, v23, v4
	v_lshlrev_b32_e32 v4, 29, v5
	v_cmp_gt_i64_e64 s[24:25], 0, v[3:4]
	v_not_b32_e32 v4, v4
	v_ashrrev_i32_e32 v4, 31, v4
	v_and_b32_e32 v27, v27, v28
	v_xor_b32_e32 v28, s25, v4
	v_xor_b32_e32 v4, s24, v4
	v_and_b32_e32 v23, v23, v4
	v_lshlrev_b32_e32 v4, 28, v5
	v_cmp_gt_i64_e64 s[24:25], 0, v[3:4]
	v_not_b32_e32 v4, v4
	v_ashrrev_i32_e32 v4, 31, v4
	v_and_b32_e32 v27, v27, v28
	;; [unrolled: 8-line block ×5, first 2 shown]
	v_xor_b32_e32 v28, s25, v4
	v_xor_b32_e32 v4, s24, v4
	v_and_b32_e32 v23, v23, v4
	v_lshlrev_b32_e32 v4, 24, v5
	v_cmp_gt_i64_e64 s[24:25], 0, v[3:4]
	v_not_b32_e32 v4, v4
	v_ashrrev_i32_e32 v4, 31, v4
	v_xor_b32_e32 v5, s25, v4
	v_xor_b32_e32 v4, s24, v4
	; wave barrier
	ds_read_b32 v19, v20 offset:16
	v_and_b32_e32 v27, v27, v28
	v_and_b32_e32 v4, v23, v4
	;; [unrolled: 1-line block ×3, first 2 shown]
	v_mbcnt_lo_u32_b32 v23, v4, 0
	v_mbcnt_hi_u32_b32 v23, v5, v23
	v_cmp_ne_u64_e64 s[24:25], 0, v[4:5]
	v_cmp_eq_u32_e64 s[26:27], 0, v23
	s_and_b64 s[26:27], s[24:25], s[26:27]
	; wave barrier
	s_and_saveexec_b64 s[24:25], s[26:27]
	s_cbranch_execz .LBB138_31
; %bb.30:
	v_bcnt_u32_b32 v4, v4, 0
	v_bcnt_u32_b32 v4, v5, v4
	s_waitcnt lgkmcnt(0)
	v_add_u32_e32 v4, v19, v4
	ds_write_b32 v20, v4 offset:16
.LBB138_31:
	s_or_b64 exec, exec, s[24:25]
	v_cmp_lt_i32_e64 s[24:25], -1, v22
	v_cndmask_b32_e64 v4, -1, v25, s[24:25]
	v_xor_b32_e32 v22, v4, v22
	v_cmp_ne_u32_e64 s[24:25], s28, v22
	v_cndmask_b32_e64 v4, v25, v22, s[24:25]
	v_lshrrev_b32_e32 v4, s68, v4
	v_and_b32_e32 v5, s74, v4
	v_mul_lo_u32 v4, v5, 20
	; wave barrier
	v_lshl_add_u32 v27, v24, 2, v4
	v_and_b32_e32 v4, 1, v5
	v_add_co_u32_e64 v28, s[24:25], -1, v4
	v_addc_co_u32_e64 v32, s[24:25], 0, -1, s[24:25]
	v_cmp_ne_u32_e64 s[24:25], 0, v4
	v_xor_b32_e32 v4, s25, v32
	v_and_b32_e32 v32, exec_hi, v4
	v_lshlrev_b32_e32 v4, 30, v5
	v_xor_b32_e32 v28, s24, v28
	v_cmp_gt_i64_e64 s[24:25], 0, v[3:4]
	v_not_b32_e32 v4, v4
	v_ashrrev_i32_e32 v4, 31, v4
	v_and_b32_e32 v28, exec_lo, v28
	v_xor_b32_e32 v33, s25, v4
	v_xor_b32_e32 v4, s24, v4
	v_and_b32_e32 v28, v28, v4
	v_lshlrev_b32_e32 v4, 29, v5
	v_cmp_gt_i64_e64 s[24:25], 0, v[3:4]
	v_not_b32_e32 v4, v4
	v_ashrrev_i32_e32 v4, 31, v4
	v_and_b32_e32 v32, v32, v33
	v_xor_b32_e32 v33, s25, v4
	v_xor_b32_e32 v4, s24, v4
	v_and_b32_e32 v28, v28, v4
	v_lshlrev_b32_e32 v4, 28, v5
	v_cmp_gt_i64_e64 s[24:25], 0, v[3:4]
	v_not_b32_e32 v4, v4
	v_ashrrev_i32_e32 v4, 31, v4
	v_and_b32_e32 v32, v32, v33
	;; [unrolled: 8-line block ×5, first 2 shown]
	v_xor_b32_e32 v33, s25, v4
	v_xor_b32_e32 v4, s24, v4
	v_and_b32_e32 v28, v28, v4
	v_lshlrev_b32_e32 v4, 24, v5
	v_cmp_gt_i64_e64 s[24:25], 0, v[3:4]
	v_not_b32_e32 v3, v4
	v_ashrrev_i32_e32 v3, 31, v3
	v_xor_b32_e32 v4, s25, v3
	v_xor_b32_e32 v3, s24, v3
	ds_read_b32 v25, v27 offset:16
	v_and_b32_e32 v32, v32, v33
	v_and_b32_e32 v3, v28, v3
	;; [unrolled: 1-line block ×3, first 2 shown]
	v_mbcnt_lo_u32_b32 v5, v3, 0
	v_mbcnt_hi_u32_b32 v28, v4, v5
	v_cmp_ne_u64_e64 s[24:25], 0, v[3:4]
	v_cmp_eq_u32_e64 s[26:27], 0, v28
	s_and_b64 s[26:27], s[24:25], s[26:27]
	; wave barrier
	s_and_saveexec_b64 s[24:25], s[26:27]
	s_cbranch_execz .LBB138_33
; %bb.32:
	v_bcnt_u32_b32 v3, v3, 0
	v_bcnt_u32_b32 v3, v4, v3
	s_waitcnt lgkmcnt(0)
	v_add_u32_e32 v3, v25, v3
	ds_write_b32 v27, v3 offset:16
.LBB138_33:
	s_or_b64 exec, exec, s[24:25]
	v_bfrev_b32_e32 v37, 1
	v_cmp_lt_i32_e64 s[24:25], -1, v31
	v_cndmask_b32_e64 v3, -1, v37, s[24:25]
	v_xor_b32_e32 v31, v3, v31
	v_cmp_ne_u32_e64 s[24:25], s28, v31
	v_cndmask_b32_e64 v3, v37, v31, s[24:25]
	v_lshrrev_b32_e32 v3, s68, v3
	v_and_b32_e32 v5, s74, v3
	v_and_b32_e32 v4, 1, v5
	v_mul_lo_u32 v3, v5, 20
	v_add_co_u32_e64 v34, s[24:25], -1, v4
	v_addc_co_u32_e64 v38, s[24:25], 0, -1, s[24:25]
	v_cmp_ne_u32_e64 s[24:25], 0, v4
	v_xor_b32_e32 v4, s25, v38
	v_lshl_add_u32 v33, v24, 2, v3
	v_mov_b32_e32 v3, 0
	v_and_b32_e32 v38, exec_hi, v4
	v_lshlrev_b32_e32 v4, 30, v5
	v_xor_b32_e32 v34, s24, v34
	v_cmp_gt_i64_e64 s[24:25], 0, v[3:4]
	v_not_b32_e32 v4, v4
	v_ashrrev_i32_e32 v4, 31, v4
	v_and_b32_e32 v34, exec_lo, v34
	v_xor_b32_e32 v40, s25, v4
	v_xor_b32_e32 v4, s24, v4
	v_and_b32_e32 v34, v34, v4
	v_lshlrev_b32_e32 v4, 29, v5
	v_cmp_gt_i64_e64 s[24:25], 0, v[3:4]
	v_not_b32_e32 v4, v4
	v_ashrrev_i32_e32 v4, 31, v4
	v_and_b32_e32 v38, v38, v40
	v_xor_b32_e32 v40, s25, v4
	v_xor_b32_e32 v4, s24, v4
	v_and_b32_e32 v34, v34, v4
	v_lshlrev_b32_e32 v4, 28, v5
	v_cmp_gt_i64_e64 s[24:25], 0, v[3:4]
	v_not_b32_e32 v4, v4
	v_ashrrev_i32_e32 v4, 31, v4
	v_and_b32_e32 v38, v38, v40
	v_xor_b32_e32 v40, s25, v4
	v_xor_b32_e32 v4, s24, v4
	v_and_b32_e32 v34, v34, v4
	v_lshlrev_b32_e32 v4, 27, v5
	v_cmp_gt_i64_e64 s[24:25], 0, v[3:4]
	v_not_b32_e32 v4, v4
	v_ashrrev_i32_e32 v4, 31, v4
	v_and_b32_e32 v38, v38, v40
	v_xor_b32_e32 v40, s25, v4
	v_xor_b32_e32 v4, s24, v4
	v_and_b32_e32 v34, v34, v4
	v_lshlrev_b32_e32 v4, 26, v5
	v_cmp_gt_i64_e64 s[24:25], 0, v[3:4]
	v_not_b32_e32 v4, v4
	v_ashrrev_i32_e32 v4, 31, v4
	v_and_b32_e32 v38, v38, v40
	v_xor_b32_e32 v40, s25, v4
	v_xor_b32_e32 v4, s24, v4
	v_and_b32_e32 v34, v34, v4
	v_lshlrev_b32_e32 v4, 25, v5
	v_cmp_gt_i64_e64 s[24:25], 0, v[3:4]
	v_not_b32_e32 v4, v4
	v_ashrrev_i32_e32 v4, 31, v4
	v_and_b32_e32 v38, v38, v40
	v_xor_b32_e32 v40, s25, v4
	v_xor_b32_e32 v4, s24, v4
	v_and_b32_e32 v34, v34, v4
	v_lshlrev_b32_e32 v4, 24, v5
	v_cmp_gt_i64_e64 s[24:25], 0, v[3:4]
	v_not_b32_e32 v4, v4
	v_ashrrev_i32_e32 v4, 31, v4
	v_xor_b32_e32 v5, s25, v4
	v_xor_b32_e32 v4, s24, v4
	; wave barrier
	ds_read_b32 v32, v33 offset:16
	v_and_b32_e32 v38, v38, v40
	v_and_b32_e32 v4, v34, v4
	;; [unrolled: 1-line block ×3, first 2 shown]
	v_mbcnt_lo_u32_b32 v34, v4, 0
	v_mbcnt_hi_u32_b32 v34, v5, v34
	v_cmp_ne_u64_e64 s[24:25], 0, v[4:5]
	v_cmp_eq_u32_e64 s[26:27], 0, v34
	s_and_b64 s[26:27], s[24:25], s[26:27]
	; wave barrier
	s_and_saveexec_b64 s[24:25], s[26:27]
	s_cbranch_execz .LBB138_35
; %bb.34:
	v_bcnt_u32_b32 v4, v4, 0
	v_bcnt_u32_b32 v4, v5, v4
	s_waitcnt lgkmcnt(0)
	v_add_u32_e32 v4, v32, v4
	ds_write_b32 v33, v4 offset:16
.LBB138_35:
	s_or_b64 exec, exec, s[24:25]
	v_cmp_lt_i32_e64 s[24:25], -1, v36
	v_cndmask_b32_e64 v4, -1, v37, s[24:25]
	v_xor_b32_e32 v45, v4, v36
	v_cmp_ne_u32_e64 s[24:25], s28, v45
	v_cndmask_b32_e64 v4, v37, v45, s[24:25]
	v_lshrrev_b32_e32 v4, s68, v4
	v_and_b32_e32 v5, s74, v4
	v_mul_lo_u32 v4, v5, 20
	; wave barrier
	v_lshl_add_u32 v37, v24, 2, v4
	v_and_b32_e32 v4, 1, v5
	v_add_co_u32_e64 v38, s[24:25], -1, v4
	v_addc_co_u32_e64 v40, s[24:25], 0, -1, s[24:25]
	v_cmp_ne_u32_e64 s[24:25], 0, v4
	v_xor_b32_e32 v4, s25, v40
	v_and_b32_e32 v40, exec_hi, v4
	v_lshlrev_b32_e32 v4, 30, v5
	v_xor_b32_e32 v38, s24, v38
	v_cmp_gt_i64_e64 s[24:25], 0, v[3:4]
	v_not_b32_e32 v4, v4
	v_ashrrev_i32_e32 v4, 31, v4
	v_and_b32_e32 v38, exec_lo, v38
	v_xor_b32_e32 v41, s25, v4
	v_xor_b32_e32 v4, s24, v4
	v_and_b32_e32 v38, v38, v4
	v_lshlrev_b32_e32 v4, 29, v5
	v_cmp_gt_i64_e64 s[24:25], 0, v[3:4]
	v_not_b32_e32 v4, v4
	v_ashrrev_i32_e32 v4, 31, v4
	v_and_b32_e32 v40, v40, v41
	v_xor_b32_e32 v41, s25, v4
	v_xor_b32_e32 v4, s24, v4
	v_and_b32_e32 v38, v38, v4
	v_lshlrev_b32_e32 v4, 28, v5
	v_cmp_gt_i64_e64 s[24:25], 0, v[3:4]
	v_not_b32_e32 v4, v4
	v_ashrrev_i32_e32 v4, 31, v4
	v_and_b32_e32 v40, v40, v41
	;; [unrolled: 8-line block ×5, first 2 shown]
	v_xor_b32_e32 v41, s25, v4
	v_xor_b32_e32 v4, s24, v4
	v_and_b32_e32 v38, v38, v4
	v_lshlrev_b32_e32 v4, 24, v5
	v_cmp_gt_i64_e64 s[24:25], 0, v[3:4]
	v_not_b32_e32 v3, v4
	v_ashrrev_i32_e32 v3, 31, v3
	v_xor_b32_e32 v4, s25, v3
	v_xor_b32_e32 v3, s24, v3
	ds_read_b32 v36, v37 offset:16
	v_and_b32_e32 v40, v40, v41
	v_and_b32_e32 v3, v38, v3
	;; [unrolled: 1-line block ×3, first 2 shown]
	v_mbcnt_lo_u32_b32 v5, v3, 0
	v_mbcnt_hi_u32_b32 v38, v4, v5
	v_cmp_ne_u64_e64 s[24:25], 0, v[3:4]
	v_cmp_eq_u32_e64 s[26:27], 0, v38
	s_and_b64 s[26:27], s[24:25], s[26:27]
	; wave barrier
	s_and_saveexec_b64 s[24:25], s[26:27]
	s_cbranch_execz .LBB138_37
; %bb.36:
	v_bcnt_u32_b32 v3, v3, 0
	v_bcnt_u32_b32 v3, v4, v3
	s_waitcnt lgkmcnt(0)
	v_add_u32_e32 v3, v36, v3
	ds_write_b32 v37, v3 offset:16
.LBB138_37:
	s_or_b64 exec, exec, s[24:25]
	v_bfrev_b32_e32 v40, 1
	v_cmp_lt_i32_e64 s[24:25], -1, v39
	v_cndmask_b32_e64 v3, -1, v40, s[24:25]
	v_xor_b32_e32 v46, v3, v39
	v_cmp_ne_u32_e64 s[24:25], s28, v46
	v_cndmask_b32_e64 v3, v40, v46, s[24:25]
	v_lshrrev_b32_e32 v3, s68, v3
	v_and_b32_e32 v5, s74, v3
	v_and_b32_e32 v4, 1, v5
	v_mul_lo_u32 v3, v5, 20
	v_add_co_u32_e64 v41, s[24:25], -1, v4
	v_addc_co_u32_e64 v42, s[24:25], 0, -1, s[24:25]
	v_cmp_ne_u32_e64 s[24:25], 0, v4
	v_xor_b32_e32 v4, s25, v42
	v_lshl_add_u32 v39, v24, 2, v3
	v_mov_b32_e32 v3, 0
	v_and_b32_e32 v42, exec_hi, v4
	v_lshlrev_b32_e32 v4, 30, v5
	v_xor_b32_e32 v41, s24, v41
	v_cmp_gt_i64_e64 s[24:25], 0, v[3:4]
	v_not_b32_e32 v4, v4
	v_ashrrev_i32_e32 v4, 31, v4
	v_and_b32_e32 v41, exec_lo, v41
	v_xor_b32_e32 v43, s25, v4
	v_xor_b32_e32 v4, s24, v4
	v_and_b32_e32 v41, v41, v4
	v_lshlrev_b32_e32 v4, 29, v5
	v_cmp_gt_i64_e64 s[24:25], 0, v[3:4]
	v_not_b32_e32 v4, v4
	v_ashrrev_i32_e32 v4, 31, v4
	v_and_b32_e32 v42, v42, v43
	v_xor_b32_e32 v43, s25, v4
	v_xor_b32_e32 v4, s24, v4
	v_and_b32_e32 v41, v41, v4
	v_lshlrev_b32_e32 v4, 28, v5
	v_cmp_gt_i64_e64 s[24:25], 0, v[3:4]
	v_not_b32_e32 v4, v4
	v_ashrrev_i32_e32 v4, 31, v4
	v_and_b32_e32 v42, v42, v43
	;; [unrolled: 8-line block ×5, first 2 shown]
	v_xor_b32_e32 v43, s25, v4
	v_xor_b32_e32 v4, s24, v4
	v_and_b32_e32 v41, v41, v4
	v_lshlrev_b32_e32 v4, 24, v5
	v_cmp_gt_i64_e64 s[24:25], 0, v[3:4]
	v_not_b32_e32 v4, v4
	v_ashrrev_i32_e32 v4, 31, v4
	v_xor_b32_e32 v5, s25, v4
	v_xor_b32_e32 v4, s24, v4
	; wave barrier
	ds_read_b32 v47, v39 offset:16
	v_and_b32_e32 v42, v42, v43
	v_and_b32_e32 v4, v41, v4
	;; [unrolled: 1-line block ×3, first 2 shown]
	v_mbcnt_lo_u32_b32 v41, v4, 0
	v_mbcnt_hi_u32_b32 v49, v5, v41
	v_cmp_ne_u64_e64 s[24:25], 0, v[4:5]
	v_cmp_eq_u32_e64 s[26:27], 0, v49
	s_and_b64 s[26:27], s[24:25], s[26:27]
	; wave barrier
	s_and_saveexec_b64 s[24:25], s[26:27]
	s_cbranch_execz .LBB138_39
; %bb.38:
	v_bcnt_u32_b32 v4, v4, 0
	v_bcnt_u32_b32 v4, v5, v4
	s_waitcnt lgkmcnt(0)
	v_add_u32_e32 v4, v47, v4
	ds_write_b32 v39, v4 offset:16
.LBB138_39:
	s_or_b64 exec, exec, s[24:25]
	v_cmp_lt_i32_e64 s[24:25], -1, v35
	v_cndmask_b32_e64 v4, -1, v40, s[24:25]
	v_xor_b32_e32 v48, v4, v35
	v_cmp_ne_u32_e64 s[24:25], s28, v48
	v_cndmask_b32_e64 v4, v40, v48, s[24:25]
	v_lshrrev_b32_e32 v4, s68, v4
	v_and_b32_e32 v5, s74, v4
	v_mul_lo_u32 v4, v5, 20
	; wave barrier
	v_lshl_add_u32 v40, v24, 2, v4
	v_and_b32_e32 v4, 1, v5
	v_add_co_u32_e64 v41, s[24:25], -1, v4
	v_addc_co_u32_e64 v42, s[24:25], 0, -1, s[24:25]
	v_cmp_ne_u32_e64 s[24:25], 0, v4
	v_xor_b32_e32 v4, s25, v42
	v_and_b32_e32 v42, exec_hi, v4
	v_lshlrev_b32_e32 v4, 30, v5
	v_xor_b32_e32 v41, s24, v41
	v_cmp_gt_i64_e64 s[24:25], 0, v[3:4]
	v_not_b32_e32 v4, v4
	v_ashrrev_i32_e32 v4, 31, v4
	v_and_b32_e32 v41, exec_lo, v41
	v_xor_b32_e32 v43, s25, v4
	v_xor_b32_e32 v4, s24, v4
	v_and_b32_e32 v41, v41, v4
	v_lshlrev_b32_e32 v4, 29, v5
	v_cmp_gt_i64_e64 s[24:25], 0, v[3:4]
	v_not_b32_e32 v4, v4
	v_ashrrev_i32_e32 v4, 31, v4
	v_and_b32_e32 v42, v42, v43
	v_xor_b32_e32 v43, s25, v4
	v_xor_b32_e32 v4, s24, v4
	v_and_b32_e32 v41, v41, v4
	v_lshlrev_b32_e32 v4, 28, v5
	v_cmp_gt_i64_e64 s[24:25], 0, v[3:4]
	v_not_b32_e32 v4, v4
	v_ashrrev_i32_e32 v4, 31, v4
	v_and_b32_e32 v42, v42, v43
	;; [unrolled: 8-line block ×5, first 2 shown]
	v_xor_b32_e32 v43, s25, v4
	v_xor_b32_e32 v4, s24, v4
	v_and_b32_e32 v41, v41, v4
	v_lshlrev_b32_e32 v4, 24, v5
	v_cmp_gt_i64_e64 s[24:25], 0, v[3:4]
	v_not_b32_e32 v3, v4
	v_ashrrev_i32_e32 v3, 31, v3
	v_xor_b32_e32 v4, s25, v3
	v_xor_b32_e32 v3, s24, v3
	ds_read_b32 v35, v40 offset:16
	v_and_b32_e32 v42, v42, v43
	v_and_b32_e32 v3, v41, v3
	;; [unrolled: 1-line block ×3, first 2 shown]
	v_mbcnt_lo_u32_b32 v5, v3, 0
	v_mbcnt_hi_u32_b32 v51, v4, v5
	v_cmp_ne_u64_e64 s[24:25], 0, v[3:4]
	v_cmp_eq_u32_e64 s[26:27], 0, v51
	s_and_b64 s[26:27], s[24:25], s[26:27]
	; wave barrier
	s_and_saveexec_b64 s[24:25], s[26:27]
	s_cbranch_execz .LBB138_41
; %bb.40:
	v_bcnt_u32_b32 v3, v3, 0
	v_bcnt_u32_b32 v3, v4, v3
	s_waitcnt lgkmcnt(0)
	v_add_u32_e32 v3, v35, v3
	ds_write_b32 v40, v3 offset:16
.LBB138_41:
	s_or_b64 exec, exec, s[24:25]
	v_bfrev_b32_e32 v41, 1
	v_cmp_lt_i32_e64 s[24:25], -1, v30
	v_cndmask_b32_e64 v3, -1, v41, s[24:25]
	v_xor_b32_e32 v50, v3, v30
	v_cmp_ne_u32_e64 s[24:25], s28, v50
	v_cndmask_b32_e64 v3, v41, v50, s[24:25]
	v_lshrrev_b32_e32 v3, s68, v3
	v_and_b32_e32 v5, s74, v3
	v_and_b32_e32 v4, 1, v5
	v_mul_lo_u32 v3, v5, 20
	v_add_co_u32_e64 v42, s[24:25], -1, v4
	v_addc_co_u32_e64 v43, s[24:25], 0, -1, s[24:25]
	v_cmp_ne_u32_e64 s[24:25], 0, v4
	v_xor_b32_e32 v4, s25, v43
	v_lshl_add_u32 v30, v24, 2, v3
	v_mov_b32_e32 v3, 0
	v_and_b32_e32 v43, exec_hi, v4
	v_lshlrev_b32_e32 v4, 30, v5
	v_xor_b32_e32 v42, s24, v42
	v_cmp_gt_i64_e64 s[24:25], 0, v[3:4]
	v_not_b32_e32 v4, v4
	v_ashrrev_i32_e32 v4, 31, v4
	v_and_b32_e32 v42, exec_lo, v42
	v_xor_b32_e32 v44, s25, v4
	v_xor_b32_e32 v4, s24, v4
	v_and_b32_e32 v42, v42, v4
	v_lshlrev_b32_e32 v4, 29, v5
	v_cmp_gt_i64_e64 s[24:25], 0, v[3:4]
	v_not_b32_e32 v4, v4
	v_ashrrev_i32_e32 v4, 31, v4
	v_and_b32_e32 v43, v43, v44
	v_xor_b32_e32 v44, s25, v4
	v_xor_b32_e32 v4, s24, v4
	v_and_b32_e32 v42, v42, v4
	v_lshlrev_b32_e32 v4, 28, v5
	v_cmp_gt_i64_e64 s[24:25], 0, v[3:4]
	v_not_b32_e32 v4, v4
	v_ashrrev_i32_e32 v4, 31, v4
	v_and_b32_e32 v43, v43, v44
	;; [unrolled: 8-line block ×5, first 2 shown]
	v_xor_b32_e32 v44, s25, v4
	v_xor_b32_e32 v4, s24, v4
	v_and_b32_e32 v42, v42, v4
	v_lshlrev_b32_e32 v4, 24, v5
	v_cmp_gt_i64_e64 s[24:25], 0, v[3:4]
	v_not_b32_e32 v4, v4
	v_ashrrev_i32_e32 v4, 31, v4
	v_xor_b32_e32 v5, s25, v4
	v_xor_b32_e32 v4, s24, v4
	; wave barrier
	ds_read_b32 v52, v30 offset:16
	v_and_b32_e32 v43, v43, v44
	v_and_b32_e32 v4, v42, v4
	;; [unrolled: 1-line block ×3, first 2 shown]
	v_mbcnt_lo_u32_b32 v42, v4, 0
	v_mbcnt_hi_u32_b32 v53, v5, v42
	v_cmp_ne_u64_e64 s[24:25], 0, v[4:5]
	v_cmp_eq_u32_e64 s[26:27], 0, v53
	s_and_b64 s[26:27], s[24:25], s[26:27]
	; wave barrier
	s_and_saveexec_b64 s[24:25], s[26:27]
	s_cbranch_execz .LBB138_43
; %bb.42:
	v_bcnt_u32_b32 v4, v4, 0
	v_bcnt_u32_b32 v4, v5, v4
	s_waitcnt lgkmcnt(0)
	v_add_u32_e32 v4, v52, v4
	ds_write_b32 v30, v4 offset:16
.LBB138_43:
	s_or_b64 exec, exec, s[24:25]
	v_cmp_lt_i32_e64 s[24:25], -1, v26
	v_cndmask_b32_e64 v4, -1, v41, s[24:25]
	v_xor_b32_e32 v26, v4, v26
	v_cmp_ne_u32_e64 s[24:25], s28, v26
	v_cndmask_b32_e64 v4, v41, v26, s[24:25]
	v_lshrrev_b32_e32 v4, s68, v4
	v_and_b32_e32 v5, s74, v4
	v_mul_lo_u32 v4, v5, 20
	; wave barrier
	v_lshl_add_u32 v41, v24, 2, v4
	v_and_b32_e32 v4, 1, v5
	v_add_co_u32_e64 v42, s[24:25], -1, v4
	v_addc_co_u32_e64 v43, s[24:25], 0, -1, s[24:25]
	v_cmp_ne_u32_e64 s[24:25], 0, v4
	v_xor_b32_e32 v4, s25, v43
	v_and_b32_e32 v43, exec_hi, v4
	v_lshlrev_b32_e32 v4, 30, v5
	v_xor_b32_e32 v42, s24, v42
	v_cmp_gt_i64_e64 s[24:25], 0, v[3:4]
	v_not_b32_e32 v4, v4
	v_ashrrev_i32_e32 v4, 31, v4
	v_and_b32_e32 v42, exec_lo, v42
	v_xor_b32_e32 v44, s25, v4
	v_xor_b32_e32 v4, s24, v4
	v_and_b32_e32 v42, v42, v4
	v_lshlrev_b32_e32 v4, 29, v5
	v_cmp_gt_i64_e64 s[24:25], 0, v[3:4]
	v_not_b32_e32 v4, v4
	v_ashrrev_i32_e32 v4, 31, v4
	v_and_b32_e32 v43, v43, v44
	v_xor_b32_e32 v44, s25, v4
	v_xor_b32_e32 v4, s24, v4
	v_and_b32_e32 v42, v42, v4
	v_lshlrev_b32_e32 v4, 28, v5
	v_cmp_gt_i64_e64 s[24:25], 0, v[3:4]
	v_not_b32_e32 v4, v4
	v_ashrrev_i32_e32 v4, 31, v4
	v_and_b32_e32 v43, v43, v44
	;; [unrolled: 8-line block ×5, first 2 shown]
	v_xor_b32_e32 v44, s25, v4
	v_xor_b32_e32 v4, s24, v4
	v_and_b32_e32 v42, v42, v4
	v_lshlrev_b32_e32 v4, 24, v5
	v_cmp_gt_i64_e64 s[24:25], 0, v[3:4]
	v_not_b32_e32 v3, v4
	v_ashrrev_i32_e32 v3, 31, v3
	v_xor_b32_e32 v4, s25, v3
	v_xor_b32_e32 v3, s24, v3
	ds_read_b32 v54, v41 offset:16
	v_and_b32_e32 v43, v43, v44
	v_and_b32_e32 v3, v42, v3
	;; [unrolled: 1-line block ×3, first 2 shown]
	v_mbcnt_lo_u32_b32 v5, v3, 0
	v_mbcnt_hi_u32_b32 v55, v4, v5
	v_cmp_ne_u64_e64 s[24:25], 0, v[3:4]
	v_cmp_eq_u32_e64 s[26:27], 0, v55
	s_and_b64 s[26:27], s[24:25], s[26:27]
	; wave barrier
	s_and_saveexec_b64 s[24:25], s[26:27]
	s_cbranch_execz .LBB138_45
; %bb.44:
	v_bcnt_u32_b32 v3, v3, 0
	v_bcnt_u32_b32 v3, v4, v3
	s_waitcnt lgkmcnt(0)
	v_add_u32_e32 v3, v54, v3
	ds_write_b32 v41, v3 offset:16
.LBB138_45:
	s_or_b64 exec, exec, s[24:25]
	v_bfrev_b32_e32 v43, 1
	v_cmp_lt_i32_e64 s[24:25], -1, v21
	v_cndmask_b32_e64 v3, -1, v43, s[24:25]
	v_xor_b32_e32 v21, v3, v21
	v_cmp_ne_u32_e64 s[24:25], s28, v21
	v_cndmask_b32_e64 v3, v43, v21, s[24:25]
	v_lshrrev_b32_e32 v3, s68, v3
	v_and_b32_e32 v5, s74, v3
	v_and_b32_e32 v4, 1, v5
	v_mul_lo_u32 v3, v5, 20
	v_add_co_u32_e64 v44, s[24:25], -1, v4
	v_addc_co_u32_e64 v57, s[24:25], 0, -1, s[24:25]
	v_cmp_ne_u32_e64 s[24:25], 0, v4
	v_xor_b32_e32 v4, s25, v57
	v_lshl_add_u32 v42, v24, 2, v3
	v_mov_b32_e32 v3, 0
	v_and_b32_e32 v57, exec_hi, v4
	v_lshlrev_b32_e32 v4, 30, v5
	v_xor_b32_e32 v44, s24, v44
	v_cmp_gt_i64_e64 s[24:25], 0, v[3:4]
	v_not_b32_e32 v4, v4
	v_ashrrev_i32_e32 v4, 31, v4
	v_and_b32_e32 v44, exec_lo, v44
	v_xor_b32_e32 v58, s25, v4
	v_xor_b32_e32 v4, s24, v4
	v_and_b32_e32 v44, v44, v4
	v_lshlrev_b32_e32 v4, 29, v5
	v_cmp_gt_i64_e64 s[24:25], 0, v[3:4]
	v_not_b32_e32 v4, v4
	v_ashrrev_i32_e32 v4, 31, v4
	v_and_b32_e32 v57, v57, v58
	v_xor_b32_e32 v58, s25, v4
	v_xor_b32_e32 v4, s24, v4
	v_and_b32_e32 v44, v44, v4
	v_lshlrev_b32_e32 v4, 28, v5
	v_cmp_gt_i64_e64 s[24:25], 0, v[3:4]
	v_not_b32_e32 v4, v4
	v_ashrrev_i32_e32 v4, 31, v4
	v_and_b32_e32 v57, v57, v58
	;; [unrolled: 8-line block ×5, first 2 shown]
	v_xor_b32_e32 v58, s25, v4
	v_xor_b32_e32 v4, s24, v4
	v_and_b32_e32 v44, v44, v4
	v_lshlrev_b32_e32 v4, 24, v5
	v_cmp_gt_i64_e64 s[24:25], 0, v[3:4]
	v_not_b32_e32 v4, v4
	v_ashrrev_i32_e32 v4, 31, v4
	v_xor_b32_e32 v5, s25, v4
	v_xor_b32_e32 v4, s24, v4
	; wave barrier
	ds_read_b32 v56, v42 offset:16
	v_and_b32_e32 v57, v57, v58
	v_and_b32_e32 v4, v44, v4
	;; [unrolled: 1-line block ×3, first 2 shown]
	v_mbcnt_lo_u32_b32 v44, v4, 0
	v_mbcnt_hi_u32_b32 v58, v5, v44
	v_cmp_ne_u64_e64 s[24:25], 0, v[4:5]
	v_cmp_eq_u32_e64 s[26:27], 0, v58
	s_and_b64 s[26:27], s[24:25], s[26:27]
	; wave barrier
	s_and_saveexec_b64 s[24:25], s[26:27]
	s_cbranch_execz .LBB138_47
; %bb.46:
	v_bcnt_u32_b32 v4, v4, 0
	v_bcnt_u32_b32 v4, v5, v4
	s_waitcnt lgkmcnt(0)
	v_add_u32_e32 v4, v56, v4
	ds_write_b32 v42, v4 offset:16
.LBB138_47:
	s_or_b64 exec, exec, s[24:25]
	v_cmp_lt_i32_e64 s[24:25], -1, v6
	v_cndmask_b32_e64 v4, -1, v43, s[24:25]
	v_xor_b32_e32 v57, v4, v6
	v_cmp_ne_u32_e64 s[24:25], s28, v57
	v_cndmask_b32_e64 v4, v43, v57, s[24:25]
	v_lshrrev_b32_e32 v4, s68, v4
	v_and_b32_e32 v5, s74, v4
	v_mul_lo_u32 v4, v5, 20
	; wave barrier
	v_lshl_add_u32 v43, v24, 2, v4
	v_and_b32_e32 v4, 1, v5
	v_add_co_u32_e64 v6, s[24:25], -1, v4
	v_addc_co_u32_e64 v44, s[24:25], 0, -1, s[24:25]
	v_cmp_ne_u32_e64 s[24:25], 0, v4
	v_xor_b32_e32 v4, s25, v44
	v_and_b32_e32 v44, exec_hi, v4
	v_lshlrev_b32_e32 v4, 30, v5
	v_xor_b32_e32 v6, s24, v6
	v_cmp_gt_i64_e64 s[24:25], 0, v[3:4]
	v_not_b32_e32 v4, v4
	v_ashrrev_i32_e32 v4, 31, v4
	v_and_b32_e32 v6, exec_lo, v6
	v_xor_b32_e32 v59, s25, v4
	v_xor_b32_e32 v4, s24, v4
	v_and_b32_e32 v6, v6, v4
	v_lshlrev_b32_e32 v4, 29, v5
	v_cmp_gt_i64_e64 s[24:25], 0, v[3:4]
	v_not_b32_e32 v4, v4
	v_ashrrev_i32_e32 v4, 31, v4
	v_and_b32_e32 v44, v44, v59
	v_xor_b32_e32 v59, s25, v4
	v_xor_b32_e32 v4, s24, v4
	v_and_b32_e32 v6, v6, v4
	v_lshlrev_b32_e32 v4, 28, v5
	v_cmp_gt_i64_e64 s[24:25], 0, v[3:4]
	v_not_b32_e32 v4, v4
	v_ashrrev_i32_e32 v4, 31, v4
	v_and_b32_e32 v44, v44, v59
	;; [unrolled: 8-line block ×5, first 2 shown]
	v_xor_b32_e32 v59, s25, v4
	v_xor_b32_e32 v4, s24, v4
	v_and_b32_e32 v6, v6, v4
	v_lshlrev_b32_e32 v4, 24, v5
	v_cmp_gt_i64_e64 s[24:25], 0, v[3:4]
	v_not_b32_e32 v3, v4
	v_ashrrev_i32_e32 v3, 31, v3
	v_xor_b32_e32 v4, s25, v3
	v_xor_b32_e32 v3, s24, v3
	ds_read_b32 v24, v43 offset:16
	v_and_b32_e32 v44, v44, v59
	v_and_b32_e32 v3, v6, v3
	;; [unrolled: 1-line block ×3, first 2 shown]
	v_mbcnt_lo_u32_b32 v5, v3, 0
	v_mbcnt_hi_u32_b32 v59, v4, v5
	v_cmp_ne_u64_e64 s[24:25], 0, v[3:4]
	v_cmp_eq_u32_e64 s[26:27], 0, v59
	s_and_b64 s[26:27], s[24:25], s[26:27]
	; wave barrier
	s_and_saveexec_b64 s[24:25], s[26:27]
	s_cbranch_execz .LBB138_49
; %bb.48:
	v_bcnt_u32_b32 v3, v3, 0
	v_bcnt_u32_b32 v3, v4, v3
	s_waitcnt lgkmcnt(0)
	v_add_u32_e32 v3, v24, v3
	ds_write_b32 v43, v3 offset:16
.LBB138_49:
	s_or_b64 exec, exec, s[24:25]
	; wave barrier
	s_waitcnt lgkmcnt(0)
	s_barrier
	ds_read2_b32 v[5:6], v11 offset0:4 offset1:5
	ds_read2_b32 v[3:4], v11 offset0:6 offset1:7
	ds_read_b32 v44, v11 offset:32
	v_min_u32_e32 v7, 0xc0, v7
	v_or_b32_e32 v7, 63, v7
	s_waitcnt lgkmcnt(1)
	v_add3_u32 v60, v6, v5, v3
	s_waitcnt lgkmcnt(0)
	v_add3_u32 v44, v60, v4, v44
	v_and_b32_e32 v60, 15, v9
	v_cmp_ne_u32_e64 s[24:25], 0, v60
	v_mov_b32_dpp v61, v44 row_shr:1 row_mask:0xf bank_mask:0xf
	v_cndmask_b32_e64 v61, 0, v61, s[24:25]
	v_add_u32_e32 v44, v61, v44
	v_cmp_lt_u32_e64 s[24:25], 1, v60
	s_nop 0
	v_mov_b32_dpp v61, v44 row_shr:2 row_mask:0xf bank_mask:0xf
	v_cndmask_b32_e64 v61, 0, v61, s[24:25]
	v_add_u32_e32 v44, v44, v61
	v_cmp_lt_u32_e64 s[24:25], 3, v60
	s_nop 0
	;; [unrolled: 5-line block ×3, first 2 shown]
	v_mov_b32_dpp v61, v44 row_shr:8 row_mask:0xf bank_mask:0xf
	v_cndmask_b32_e64 v60, 0, v61, s[24:25]
	v_add_u32_e32 v44, v44, v60
	v_bfe_i32 v61, v9, 4, 1
	v_cmp_lt_u32_e64 s[24:25], 31, v9
	v_mov_b32_dpp v60, v44 row_bcast:15 row_mask:0xf bank_mask:0xf
	v_and_b32_e32 v60, v61, v60
	v_add_u32_e32 v44, v44, v60
	s_nop 1
	v_mov_b32_dpp v60, v44 row_bcast:31 row_mask:0xf bank_mask:0xf
	v_cndmask_b32_e64 v60, 0, v60, s[24:25]
	v_add_u32_e32 v44, v44, v60
	v_lshrrev_b32_e32 v60, 6, v0
	v_cmp_eq_u32_e64 s[24:25], v0, v7
	s_and_saveexec_b64 s[26:27], s[24:25]
; %bb.50:
	v_lshlrev_b32_e32 v7, 2, v60
	ds_write_b32 v7, v44
; %bb.51:
	s_or_b64 exec, exec, s[26:27]
	v_cmp_gt_u32_e64 s[24:25], 4, v0
	s_waitcnt lgkmcnt(0)
	s_barrier
	s_and_saveexec_b64 s[26:27], s[24:25]
	s_cbranch_execz .LBB138_53
; %bb.52:
	v_lshlrev_b32_e32 v7, 2, v0
	ds_read_b32 v61, v7
	v_and_b32_e32 v62, 3, v9
	v_cmp_ne_u32_e64 s[24:25], 0, v62
	s_waitcnt lgkmcnt(0)
	v_mov_b32_dpp v63, v61 row_shr:1 row_mask:0xf bank_mask:0xf
	v_cndmask_b32_e64 v63, 0, v63, s[24:25]
	v_add_u32_e32 v61, v63, v61
	v_cmp_lt_u32_e64 s[24:25], 1, v62
	s_nop 0
	v_mov_b32_dpp v63, v61 row_shr:2 row_mask:0xf bank_mask:0xf
	v_cndmask_b32_e64 v62, 0, v63, s[24:25]
	v_add_u32_e32 v61, v61, v62
	ds_write_b32 v7, v61
.LBB138_53:
	s_or_b64 exec, exec, s[26:27]
	v_cmp_lt_u32_e64 s[24:25], 63, v0
	v_mov_b32_e32 v7, 0
	s_waitcnt lgkmcnt(0)
	s_barrier
	s_and_saveexec_b64 s[26:27], s[24:25]
; %bb.54:
	v_lshl_add_u32 v7, v60, 2, -4
	ds_read_b32 v7, v7
; %bb.55:
	s_or_b64 exec, exec, s[26:27]
	v_add_u32_e32 v60, -1, v9
	v_and_b32_e32 v61, 64, v9
	v_cmp_lt_i32_e64 s[24:25], v60, v61
	v_cndmask_b32_e64 v60, v60, v9, s[24:25]
	s_waitcnt lgkmcnt(0)
	v_add_u32_e32 v44, v7, v44
	v_lshlrev_b32_e32 v60, 2, v60
	ds_bpermute_b32 v44, v60, v44
	v_cmp_eq_u32_e64 s[24:25], 0, v9
	s_waitcnt lgkmcnt(0)
	v_cndmask_b32_e64 v7, v44, v7, s[24:25]
	v_cmp_ne_u32_e64 s[24:25], 0, v0
	v_cndmask_b32_e64 v7, 0, v7, s[24:25]
	v_add_u32_e32 v5, v7, v5
	v_add_u32_e32 v6, v5, v6
	;; [unrolled: 1-line block ×4, first 2 shown]
	ds_write2_b32 v11, v7, v5 offset0:4 offset1:5
	ds_write2_b32 v11, v6, v3 offset0:6 offset1:7
	ds_write_b32 v11, v4 offset:32
	s_waitcnt lgkmcnt(0)
	s_barrier
	ds_read_b32 v4, v40 offset:16
	ds_read_b32 v5, v30 offset:16
	;; [unrolled: 1-line block ×13, first 2 shown]
	v_add_u32_e32 v11, 1, v0
	s_movk_i32 s24, 0x100
	v_cmp_ne_u32_e64 s[24:25], s24, v11
	v_mov_b32_e32 v3, 0xc00
	s_and_saveexec_b64 s[26:27], s[24:25]
; %bb.56:
	v_mul_u32_u24_e32 v3, 20, v11
	ds_read_b32 v3, v3 offset:16
; %bb.57:
	s_or_b64 exec, exec, s[26:27]
	s_waitcnt lgkmcnt(7)
	v_add_u32_e32 v44, v14, v12
	s_waitcnt lgkmcnt(6)
	v_add3_u32 v43, v17, v15, v16
	s_waitcnt lgkmcnt(2)
	v_add3_u32 v39, v38, v36, v37
	v_add3_u32 v37, v51, v35, v4
	v_lshlrev_b32_e32 v4, 2, v44
	v_add3_u32 v42, v23, v19, v20
	s_waitcnt lgkmcnt(0)
	s_barrier
	ds_write_b32 v4, v8 offset:2048
	v_lshlrev_b32_e32 v4, 2, v43
	v_add3_u32 v41, v28, v25, v27
	ds_write_b32 v4, v13 offset:2048
	v_lshlrev_b32_e32 v4, 2, v42
	v_add3_u32 v40, v34, v32, v33
	ds_write_b32 v4, v18 offset:2048
	v_lshlrev_b32_e32 v4, 2, v41
	ds_write_b32 v4, v22 offset:2048
	v_lshlrev_b32_e32 v4, 2, v40
	v_add3_u32 v38, v49, v47, v61
	ds_write_b32 v4, v31 offset:2048
	v_lshlrev_b32_e32 v4, 2, v39
	;; [unrolled: 5-line block ×3, first 2 shown]
	v_add3_u32 v35, v55, v54, v6
	ds_write_b32 v4, v48 offset:2048
	v_lshlrev_b32_e32 v4, 2, v36
	v_add3_u32 v34, v58, v56, v7
	ds_write_b32 v4, v50 offset:2048
	v_lshlrev_b32_e32 v4, 2, v35
	;; [unrolled: 3-line block ×3, first 2 shown]
	ds_write_b32 v4, v21 offset:2048
	v_lshlrev_b32_e32 v4, 2, v33
	ds_write_b32 v4, v57 offset:2048
	v_sub_u32_e32 v31, v3, v30
	v_lshl_or_b32 v3, s6, 8, v0
	v_mov_b32_e32 v4, 0
	v_lshlrev_b64 v[5:6], 2, v[3:4]
	v_mov_b32_e32 v11, s73
	v_add_co_u32_e64 v5, s[24:25], s72, v5
	v_addc_co_u32_e64 v6, s[24:25], v11, v6, s[24:25]
	v_or_b32_e32 v3, 2.0, v31
	s_mov_b64 s[26:27], 0
	s_brev_b32 s34, -4
	s_mov_b32 s35, s7
	v_mov_b32_e32 v12, 0
	s_waitcnt lgkmcnt(0)
	s_barrier
	global_store_dword v[5:6], v3, off
                                        ; implicit-def: $sgpr24_sgpr25
	s_branch .LBB138_60
.LBB138_58:                             ;   in Loop: Header=BB138_60 Depth=1
	s_or_b64 exec, exec, s[30:31]
.LBB138_59:                             ;   in Loop: Header=BB138_60 Depth=1
	s_or_b64 exec, exec, s[28:29]
	v_and_b32_e32 v7, 0x3fffffff, v3
	v_add_u32_e32 v12, v7, v12
	v_cmp_gt_i32_e64 s[24:25], -2.0, v3
	s_and_b64 s[28:29], exec, s[24:25]
	s_or_b64 s[26:27], s[28:29], s[26:27]
	s_andn2_b64 exec, exec, s[26:27]
	s_cbranch_execz .LBB138_65
.LBB138_60:                             ; =>This Loop Header: Depth=1
                                        ;     Child Loop BB138_63 Depth 2
	s_or_b64 s[24:25], s[24:25], exec
	s_cmp_eq_u32 s35, 0
	s_cbranch_scc1 .LBB138_64
; %bb.61:                               ;   in Loop: Header=BB138_60 Depth=1
	s_add_i32 s35, s35, -1
	v_lshl_or_b32 v3, s35, 8, v0
	v_lshlrev_b64 v[7:8], 2, v[3:4]
	v_add_co_u32_e64 v7, s[24:25], s72, v7
	v_addc_co_u32_e64 v8, s[24:25], v11, v8, s[24:25]
	global_load_dword v3, v[7:8], off glc
	s_waitcnt vmcnt(0)
	v_cmp_gt_u32_e64 s[24:25], 2.0, v3
	s_and_saveexec_b64 s[28:29], s[24:25]
	s_cbranch_execz .LBB138_59
; %bb.62:                               ;   in Loop: Header=BB138_60 Depth=1
	s_mov_b64 s[30:31], 0
.LBB138_63:                             ;   Parent Loop BB138_60 Depth=1
                                        ; =>  This Inner Loop Header: Depth=2
	global_load_dword v3, v[7:8], off glc
	s_waitcnt vmcnt(0)
	v_cmp_lt_u32_e64 s[24:25], s34, v3
	s_or_b64 s[30:31], s[24:25], s[30:31]
	s_andn2_b64 exec, exec, s[30:31]
	s_cbranch_execnz .LBB138_63
	s_branch .LBB138_58
.LBB138_64:                             ;   in Loop: Header=BB138_60 Depth=1
                                        ; implicit-def: $sgpr35
	s_and_b64 s[28:29], exec, s[24:25]
	s_or_b64 s[26:27], s[28:29], s[26:27]
	s_andn2_b64 exec, exec, s[26:27]
	s_cbranch_execnz .LBB138_60
.LBB138_65:
	s_or_b64 exec, exec, s[26:27]
	v_add_u32_e32 v3, v12, v31
	v_or_b32_e32 v3, 0x80000000, v3
	v_lshlrev_b32_e32 v32, 3, v0
	global_store_dword v[5:6], v3, off
	global_load_dwordx2 v[3:4], v32, s[64:65]
	v_sub_co_u32_e64 v5, s[24:25], v12, v30
	v_subb_co_u32_e64 v6, s[24:25], 0, 0, s[24:25]
	s_waitcnt vmcnt(0)
	v_add_co_u32_e64 v3, s[24:25], v5, v3
	v_addc_co_u32_e64 v4, s[24:25], v6, v4, s[24:25]
	v_cmp_gt_u32_e64 s[24:25], s70, v0
	ds_write_b64 v32, v[3:4]
	s_waitcnt lgkmcnt(0)
	s_barrier
	s_and_saveexec_b64 s[28:29], s[24:25]
	s_cbranch_execz .LBB138_67
; %bb.66:
	v_lshlrev_b32_e32 v5, 2, v0
	v_sub_u32_e32 v3, v32, v5
	ds_read_b32 v6, v3 offset:2048
	s_brev_b32 s26, -2
	v_bfrev_b32_e32 v7, 1
	v_mov_b32_e32 v8, s59
	s_waitcnt lgkmcnt(0)
	v_cmp_ne_u32_e64 s[26:27], s26, v6
	v_cndmask_b32_e64 v3, v7, v6, s[26:27]
	v_lshrrev_b32_e32 v3, s68, v3
	v_and_b32_e32 v3, s74, v3
	v_lshlrev_b32_e32 v3, 3, v3
	ds_read_b64 v[3:4], v3
	v_cmp_lt_i32_e64 s[26:27], -1, v6
	v_cndmask_b32_e64 v7, v7, -1, s[26:27]
	v_xor_b32_e32 v6, v7, v6
	s_waitcnt lgkmcnt(0)
	v_lshlrev_b64 v[3:4], 2, v[3:4]
	v_add_co_u32_e64 v3, s[26:27], s58, v3
	v_addc_co_u32_e64 v4, s[26:27], v8, v4, s[26:27]
	v_add_co_u32_e64 v3, s[26:27], v3, v5
	v_addc_co_u32_e64 v4, s[26:27], 0, v4, s[26:27]
	global_store_dword v[3:4], v6, off
.LBB138_67:
	s_or_b64 exec, exec, s[28:29]
	v_or_b32_e32 v3, 0x100, v0
	v_cmp_gt_u32_e64 s[26:27], s70, v3
	s_and_saveexec_b64 s[30:31], s[26:27]
	s_cbranch_execz .LBB138_69
; %bb.68:
	v_lshlrev_b32_e32 v5, 2, v0
	v_sub_u32_e32 v3, v32, v5
	ds_read_b32 v6, v3 offset:3072
	s_brev_b32 s28, -2
	v_bfrev_b32_e32 v7, 1
	v_mov_b32_e32 v8, s59
	s_waitcnt lgkmcnt(0)
	v_cmp_ne_u32_e64 s[28:29], s28, v6
	v_cndmask_b32_e64 v3, v7, v6, s[28:29]
	v_lshrrev_b32_e32 v3, s68, v3
	v_and_b32_e32 v3, s74, v3
	v_lshlrev_b32_e32 v3, 3, v3
	ds_read_b64 v[3:4], v3
	v_cmp_lt_i32_e64 s[28:29], -1, v6
	v_cndmask_b32_e64 v7, v7, -1, s[28:29]
	v_xor_b32_e32 v6, v7, v6
	s_waitcnt lgkmcnt(0)
	v_lshlrev_b64 v[3:4], 2, v[3:4]
	v_add_co_u32_e64 v3, s[28:29], s58, v3
	v_addc_co_u32_e64 v4, s[28:29], v8, v4, s[28:29]
	v_add_co_u32_e64 v3, s[28:29], v3, v5
	v_addc_co_u32_e64 v4, s[28:29], 0, v4, s[28:29]
	global_store_dword v[3:4], v6, off offset:1024
.LBB138_69:
	s_or_b64 exec, exec, s[30:31]
	v_or_b32_e32 v45, 0x200, v0
	v_cmp_gt_u32_e64 s[28:29], s70, v45
	s_and_saveexec_b64 s[34:35], s[28:29]
	s_cbranch_execz .LBB138_71
; %bb.70:
	v_lshlrev_b32_e32 v5, 2, v0
	v_sub_u32_e32 v3, v32, v5
	ds_read_b32 v6, v3 offset:4096
	s_brev_b32 s30, -2
	v_bfrev_b32_e32 v7, 1
	v_mov_b32_e32 v8, s59
	s_waitcnt lgkmcnt(0)
	v_cmp_ne_u32_e64 s[30:31], s30, v6
	v_cndmask_b32_e64 v3, v7, v6, s[30:31]
	v_lshrrev_b32_e32 v3, s68, v3
	v_and_b32_e32 v3, s74, v3
	v_lshlrev_b32_e32 v3, 3, v3
	ds_read_b64 v[3:4], v3
	v_cmp_lt_i32_e64 s[30:31], -1, v6
	v_cndmask_b32_e64 v7, v7, -1, s[30:31]
	v_xor_b32_e32 v6, v7, v6
	s_waitcnt lgkmcnt(0)
	v_lshlrev_b64 v[3:4], 2, v[3:4]
	v_add_co_u32_e64 v3, s[30:31], s58, v3
	v_addc_co_u32_e64 v4, s[30:31], v8, v4, s[30:31]
	v_add_co_u32_e64 v3, s[30:31], v3, v5
	v_addc_co_u32_e64 v4, s[30:31], 0, v4, s[30:31]
	global_store_dword v[3:4], v6, off offset:2048
.LBB138_71:
	;; [unrolled: 30-line block ×3, first 2 shown]
	s_or_b64 exec, exec, s[36:37]
	v_or_b32_e32 v47, 0x400, v0
	v_cmp_gt_u32_e64 s[34:35], s70, v47
	s_and_saveexec_b64 s[38:39], s[34:35]
	s_cbranch_execz .LBB138_75
; %bb.74:
	v_lshlrev_b32_e32 v3, 2, v0
	v_sub_u32_e32 v3, v32, v3
	ds_read_b32 v5, v3 offset:6144
	s_brev_b32 s36, -2
	v_bfrev_b32_e32 v6, 1
	v_mov_b32_e32 v7, s59
	s_waitcnt lgkmcnt(0)
	v_cmp_ne_u32_e64 s[36:37], s36, v5
	v_cndmask_b32_e64 v3, v6, v5, s[36:37]
	v_lshrrev_b32_e32 v3, s68, v3
	v_and_b32_e32 v3, s74, v3
	v_lshlrev_b32_e32 v3, 3, v3
	ds_read_b64 v[3:4], v3
	v_cmp_lt_i32_e64 s[36:37], -1, v5
	v_cndmask_b32_e64 v6, v6, -1, s[36:37]
	v_xor_b32_e32 v5, v6, v5
	v_lshlrev_b32_e32 v6, 2, v47
	s_waitcnt lgkmcnt(0)
	v_lshlrev_b64 v[3:4], 2, v[3:4]
	v_add_co_u32_e64 v3, s[36:37], s58, v3
	v_addc_co_u32_e64 v4, s[36:37], v7, v4, s[36:37]
	v_add_co_u32_e64 v3, s[36:37], v3, v6
	v_addc_co_u32_e64 v4, s[36:37], 0, v4, s[36:37]
	global_store_dword v[3:4], v5, off
.LBB138_75:
	s_or_b64 exec, exec, s[38:39]
	v_or_b32_e32 v48, 0x500, v0
	v_cmp_gt_u32_e64 s[36:37], s70, v48
	s_and_saveexec_b64 s[40:41], s[36:37]
	s_cbranch_execz .LBB138_77
; %bb.76:
	v_lshlrev_b32_e32 v3, 2, v0
	v_sub_u32_e32 v3, v32, v3
	ds_read_b32 v5, v3 offset:7168
	s_brev_b32 s38, -2
	v_bfrev_b32_e32 v6, 1
	v_mov_b32_e32 v7, s59
	s_waitcnt lgkmcnt(0)
	v_cmp_ne_u32_e64 s[38:39], s38, v5
	v_cndmask_b32_e64 v3, v6, v5, s[38:39]
	v_lshrrev_b32_e32 v3, s68, v3
	v_and_b32_e32 v3, s74, v3
	v_lshlrev_b32_e32 v3, 3, v3
	ds_read_b64 v[3:4], v3
	v_cmp_lt_i32_e64 s[38:39], -1, v5
	v_cndmask_b32_e64 v6, v6, -1, s[38:39]
	v_xor_b32_e32 v5, v6, v5
	v_lshlrev_b32_e32 v6, 2, v48
	s_waitcnt lgkmcnt(0)
	v_lshlrev_b64 v[3:4], 2, v[3:4]
	v_add_co_u32_e64 v3, s[38:39], s58, v3
	v_addc_co_u32_e64 v4, s[38:39], v7, v4, s[38:39]
	v_add_co_u32_e64 v3, s[38:39], v3, v6
	v_addc_co_u32_e64 v4, s[38:39], 0, v4, s[38:39]
	global_store_dword v[3:4], v5, off
.LBB138_77:
	;; [unrolled: 31-line block ×3, first 2 shown]
	s_or_b64 exec, exec, s[42:43]
	v_or_b32_e32 v50, 0x700, v0
	v_cmp_gt_u32_e64 s[40:41], s70, v50
	s_and_saveexec_b64 s[44:45], s[40:41]
	s_cbranch_execz .LBB138_81
; %bb.80:
	v_lshlrev_b32_e32 v3, 2, v0
	ds_read_b32 v5, v3 offset:9216
	s_brev_b32 s42, -2
	v_bfrev_b32_e32 v6, 1
	v_mov_b32_e32 v7, s59
	s_waitcnt lgkmcnt(0)
	v_cmp_ne_u32_e64 s[42:43], s42, v5
	v_cndmask_b32_e64 v3, v6, v5, s[42:43]
	v_lshrrev_b32_e32 v3, s68, v3
	v_and_b32_e32 v3, s74, v3
	v_lshlrev_b32_e32 v3, 3, v3
	ds_read_b64 v[3:4], v3
	v_cmp_lt_i32_e64 s[42:43], -1, v5
	v_cndmask_b32_e64 v6, v6, -1, s[42:43]
	v_xor_b32_e32 v5, v6, v5
	v_lshlrev_b32_e32 v6, 2, v50
	s_waitcnt lgkmcnt(0)
	v_lshlrev_b64 v[3:4], 2, v[3:4]
	v_add_co_u32_e64 v3, s[42:43], s58, v3
	v_addc_co_u32_e64 v4, s[42:43], v7, v4, s[42:43]
	v_add_co_u32_e64 v3, s[42:43], v3, v6
	v_addc_co_u32_e64 v4, s[42:43], 0, v4, s[42:43]
	global_store_dword v[3:4], v5, off
.LBB138_81:
	s_or_b64 exec, exec, s[44:45]
	v_or_b32_e32 v51, 0x800, v0
	v_cmp_gt_u32_e64 s[42:43], s70, v51
	s_and_saveexec_b64 s[46:47], s[42:43]
	s_cbranch_execz .LBB138_83
; %bb.82:
	v_lshlrev_b32_e32 v3, 2, v0
	ds_read_b32 v5, v3 offset:10240
	s_brev_b32 s44, -2
	v_bfrev_b32_e32 v6, 1
	v_mov_b32_e32 v7, s59
	s_waitcnt lgkmcnt(0)
	v_cmp_ne_u32_e64 s[44:45], s44, v5
	v_cndmask_b32_e64 v3, v6, v5, s[44:45]
	v_lshrrev_b32_e32 v3, s68, v3
	v_and_b32_e32 v3, s74, v3
	v_lshlrev_b32_e32 v3, 3, v3
	ds_read_b64 v[3:4], v3
	v_cmp_lt_i32_e64 s[44:45], -1, v5
	v_cndmask_b32_e64 v6, v6, -1, s[44:45]
	v_xor_b32_e32 v5, v6, v5
	v_lshlrev_b32_e32 v6, 2, v51
	s_waitcnt lgkmcnt(0)
	v_lshlrev_b64 v[3:4], 2, v[3:4]
	v_add_co_u32_e64 v3, s[44:45], s58, v3
	v_addc_co_u32_e64 v4, s[44:45], v7, v4, s[44:45]
	v_add_co_u32_e64 v3, s[44:45], v3, v6
	v_addc_co_u32_e64 v4, s[44:45], 0, v4, s[44:45]
	global_store_dword v[3:4], v5, off
.LBB138_83:
	;; [unrolled: 30-line block ×5, first 2 shown]
	s_or_b64 exec, exec, s[70:71]
	s_lshl_b64 s[52:53], s[54:55], 3
	s_add_u32 s52, s60, s52
	s_addc_u32 s53, s61, s53
	v_lshlrev_b32_e32 v3, 3, v9
	v_mov_b32_e32 v4, s53
	v_add_co_u32_e64 v3, s[52:53], s52, v3
	v_addc_co_u32_e64 v4, s[52:53], 0, v4, s[52:53]
	v_lshlrev_b32_e32 v5, 3, v10
	v_add_co_u32_e64 v27, s[52:53], v3, v5
	v_addc_co_u32_e64 v28, s[52:53], 0, v4, s[52:53]
                                        ; implicit-def: $vgpr3_vgpr4
	s_and_saveexec_b64 s[52:53], vcc
	s_xor_b64 s[52:53], exec, s[52:53]
	s_cbranch_execz .LBB138_101
; %bb.90:
	global_load_dwordx2 v[3:4], v[27:28], off
	s_or_b64 exec, exec, s[52:53]
                                        ; implicit-def: $vgpr5_vgpr6
	s_and_saveexec_b64 s[52:53], s[0:1]
	s_cbranch_execnz .LBB138_102
.LBB138_91:
	s_or_b64 exec, exec, s[52:53]
                                        ; implicit-def: $vgpr7_vgpr8
	s_and_saveexec_b64 s[0:1], s[2:3]
	s_cbranch_execz .LBB138_103
.LBB138_92:
	global_load_dwordx2 v[7:8], v[27:28], off offset:1024
	s_or_b64 exec, exec, s[0:1]
                                        ; implicit-def: $vgpr9_vgpr10
	s_and_saveexec_b64 s[0:1], s[50:51]
	s_cbranch_execnz .LBB138_104
.LBB138_93:
	s_or_b64 exec, exec, s[0:1]
                                        ; implicit-def: $vgpr11_vgpr12
	s_and_saveexec_b64 s[0:1], s[8:9]
	s_cbranch_execz .LBB138_105
.LBB138_94:
	global_load_dwordx2 v[11:12], v[27:28], off offset:2048
	s_or_b64 exec, exec, s[0:1]
                                        ; implicit-def: $vgpr13_vgpr14
	s_and_saveexec_b64 s[0:1], s[12:13]
	s_cbranch_execnz .LBB138_106
.LBB138_95:
	s_or_b64 exec, exec, s[0:1]
                                        ; implicit-def: $vgpr15_vgpr16
	s_and_saveexec_b64 s[0:1], s[16:17]
	s_cbranch_execz .LBB138_107
.LBB138_96:
	global_load_dwordx2 v[15:16], v[27:28], off offset:3072
	s_or_b64 exec, exec, s[0:1]
                                        ; implicit-def: $vgpr17_vgpr18
	s_and_saveexec_b64 s[0:1], s[20:21]
	s_cbranch_execnz .LBB138_108
.LBB138_97:
	s_or_b64 exec, exec, s[0:1]
                                        ; implicit-def: $vgpr19_vgpr20
	s_and_saveexec_b64 s[0:1], s[22:23]
	s_cbranch_execz .LBB138_109
.LBB138_98:
	v_add_co_u32_e32 v19, vcc, 0x1000, v27
	v_addc_co_u32_e32 v20, vcc, 0, v28, vcc
	global_load_dwordx2 v[19:20], v[19:20], off
	s_or_b64 exec, exec, s[0:1]
                                        ; implicit-def: $vgpr21_vgpr22
	s_and_saveexec_b64 s[0:1], s[18:19]
	s_cbranch_execnz .LBB138_110
.LBB138_99:
	s_or_b64 exec, exec, s[0:1]
                                        ; implicit-def: $vgpr23_vgpr24
	s_and_saveexec_b64 s[0:1], s[14:15]
	s_cbranch_execz .LBB138_111
.LBB138_100:
	v_add_co_u32_e32 v23, vcc, 0x1000, v27
	v_addc_co_u32_e32 v24, vcc, 0, v28, vcc
	global_load_dwordx2 v[23:24], v[23:24], off offset:1024
	s_or_b64 exec, exec, s[0:1]
                                        ; implicit-def: $vgpr25_vgpr26
	s_and_saveexec_b64 s[0:1], s[10:11]
	s_cbranch_execnz .LBB138_112
	s_branch .LBB138_113
.LBB138_101:
	s_or_b64 exec, exec, s[52:53]
                                        ; implicit-def: $vgpr5_vgpr6
	s_and_saveexec_b64 s[52:53], s[0:1]
	s_cbranch_execz .LBB138_91
.LBB138_102:
	global_load_dwordx2 v[5:6], v[27:28], off offset:512
	s_or_b64 exec, exec, s[52:53]
                                        ; implicit-def: $vgpr7_vgpr8
	s_and_saveexec_b64 s[0:1], s[2:3]
	s_cbranch_execnz .LBB138_92
.LBB138_103:
	s_or_b64 exec, exec, s[0:1]
                                        ; implicit-def: $vgpr9_vgpr10
	s_and_saveexec_b64 s[0:1], s[50:51]
	s_cbranch_execz .LBB138_93
.LBB138_104:
	global_load_dwordx2 v[9:10], v[27:28], off offset:1536
	s_or_b64 exec, exec, s[0:1]
                                        ; implicit-def: $vgpr11_vgpr12
	s_and_saveexec_b64 s[0:1], s[8:9]
	s_cbranch_execnz .LBB138_94
.LBB138_105:
	s_or_b64 exec, exec, s[0:1]
                                        ; implicit-def: $vgpr13_vgpr14
	s_and_saveexec_b64 s[0:1], s[12:13]
	s_cbranch_execz .LBB138_95
.LBB138_106:
	global_load_dwordx2 v[13:14], v[27:28], off offset:2560
	s_or_b64 exec, exec, s[0:1]
                                        ; implicit-def: $vgpr15_vgpr16
	s_and_saveexec_b64 s[0:1], s[16:17]
	s_cbranch_execnz .LBB138_96
.LBB138_107:
	s_or_b64 exec, exec, s[0:1]
                                        ; implicit-def: $vgpr17_vgpr18
	s_and_saveexec_b64 s[0:1], s[20:21]
	s_cbranch_execz .LBB138_97
.LBB138_108:
	global_load_dwordx2 v[17:18], v[27:28], off offset:3584
	s_or_b64 exec, exec, s[0:1]
                                        ; implicit-def: $vgpr19_vgpr20
	s_and_saveexec_b64 s[0:1], s[22:23]
	s_cbranch_execnz .LBB138_98
.LBB138_109:
	s_or_b64 exec, exec, s[0:1]
                                        ; implicit-def: $vgpr21_vgpr22
	s_and_saveexec_b64 s[0:1], s[18:19]
	s_cbranch_execz .LBB138_99
.LBB138_110:
	v_add_co_u32_e32 v21, vcc, 0x1000, v27
	v_addc_co_u32_e32 v22, vcc, 0, v28, vcc
	global_load_dwordx2 v[21:22], v[21:22], off offset:512
	s_or_b64 exec, exec, s[0:1]
                                        ; implicit-def: $vgpr23_vgpr24
	s_and_saveexec_b64 s[0:1], s[14:15]
	s_cbranch_execnz .LBB138_100
.LBB138_111:
	s_or_b64 exec, exec, s[0:1]
                                        ; implicit-def: $vgpr25_vgpr26
	s_and_saveexec_b64 s[0:1], s[10:11]
	s_cbranch_execz .LBB138_113
.LBB138_112:
	v_add_co_u32_e32 v25, vcc, 0x1000, v27
	v_addc_co_u32_e32 v26, vcc, 0, v28, vcc
	global_load_dwordx2 v[25:26], v[25:26], off offset:1536
.LBB138_113:
	s_or_b64 exec, exec, s[0:1]
	v_mov_b32_e32 v60, 0
	v_mov_b32_e32 v64, 0
	s_and_saveexec_b64 s[0:1], s[24:25]
	s_cbranch_execz .LBB138_115
; %bb.114:
	v_lshlrev_b32_e32 v27, 2, v0
	ds_read_b32 v27, v27 offset:2048
	s_brev_b32 s2, -2
	v_bfrev_b32_e32 v28, 1
	s_waitcnt lgkmcnt(0)
	v_cmp_ne_u32_e32 vcc, s2, v27
	v_cndmask_b32_e32 v27, v28, v27, vcc
	v_lshrrev_b32_e32 v27, s68, v27
	v_and_b32_e32 v64, s74, v27
.LBB138_115:
	s_or_b64 exec, exec, s[0:1]
	s_and_saveexec_b64 s[0:1], s[26:27]
	s_cbranch_execz .LBB138_117
; %bb.116:
	v_lshlrev_b32_e32 v27, 2, v0
	ds_read_b32 v27, v27 offset:3072
	s_brev_b32 s2, -2
	v_bfrev_b32_e32 v28, 1
	s_waitcnt lgkmcnt(0)
	v_cmp_ne_u32_e32 vcc, s2, v27
	v_cndmask_b32_e32 v27, v28, v27, vcc
	v_lshrrev_b32_e32 v27, s68, v27
	v_and_b32_e32 v60, s74, v27
.LBB138_117:
	s_or_b64 exec, exec, s[0:1]
	v_mov_b32_e32 v58, 0
	v_mov_b32_e32 v63, 0
	s_and_saveexec_b64 s[0:1], s[28:29]
	s_cbranch_execz .LBB138_119
; %bb.118:
	v_lshlrev_b32_e32 v27, 2, v0
	ds_read_b32 v27, v27 offset:4096
	s_brev_b32 s2, -2
	v_bfrev_b32_e32 v28, 1
	s_waitcnt lgkmcnt(0)
	v_cmp_ne_u32_e32 vcc, s2, v27
	v_cndmask_b32_e32 v27, v28, v27, vcc
	v_lshrrev_b32_e32 v27, s68, v27
	v_and_b32_e32 v63, s74, v27
.LBB138_119:
	s_or_b64 exec, exec, s[0:1]
	s_and_saveexec_b64 s[0:1], s[30:31]
	s_cbranch_execz .LBB138_121
; %bb.120:
	v_lshlrev_b32_e32 v27, 2, v0
	ds_read_b32 v27, v27 offset:5120
	s_brev_b32 s2, -2
	v_bfrev_b32_e32 v28, 1
	s_waitcnt lgkmcnt(0)
	v_cmp_ne_u32_e32 vcc, s2, v27
	v_cndmask_b32_e32 v27, v28, v27, vcc
	v_lshrrev_b32_e32 v27, s68, v27
	v_and_b32_e32 v58, s74, v27
.LBB138_121:
	;; [unrolled: 30-line block ×6, first 2 shown]
	s_or_b64 exec, exec, s[0:1]
	v_lshlrev_b32_e32 v44, 3, v44
	s_waitcnt vmcnt(0)
	s_barrier
	ds_write_b64 v44, v[3:4] offset:2048
	v_lshlrev_b32_e32 v3, 3, v43
	ds_write_b64 v3, v[5:6] offset:2048
	v_lshlrev_b32_e32 v3, 3, v42
	ds_write_b64 v3, v[7:8] offset:2048
	v_lshlrev_b32_e32 v3, 3, v41
	ds_write_b64 v3, v[9:10] offset:2048
	v_lshlrev_b32_e32 v3, 3, v40
	ds_write_b64 v3, v[11:12] offset:2048
	v_lshlrev_b32_e32 v3, 3, v39
	ds_write_b64 v3, v[13:14] offset:2048
	v_lshlrev_b32_e32 v3, 3, v38
	ds_write_b64 v3, v[15:16] offset:2048
	v_lshlrev_b32_e32 v3, 3, v37
	ds_write_b64 v3, v[17:18] offset:2048
	v_lshlrev_b32_e32 v3, 3, v36
	ds_write_b64 v3, v[19:20] offset:2048
	v_lshlrev_b32_e32 v3, 3, v35
	ds_write_b64 v3, v[21:22] offset:2048
	v_lshlrev_b32_e32 v3, 3, v34
	ds_write_b64 v3, v[23:24] offset:2048
	v_lshlrev_b32_e32 v3, 3, v33
	ds_write_b64 v3, v[25:26] offset:2048
	s_waitcnt lgkmcnt(0)
	s_barrier
	s_and_saveexec_b64 s[0:1], s[24:25]
	s_cbranch_execz .LBB138_196
; %bb.138:
	v_lshlrev_b32_e32 v3, 3, v64
	ds_read_b64 v[3:4], v3
	ds_read_b64 v[5:6], v32 offset:2048
	v_mov_b32_e32 v7, s63
	s_waitcnt lgkmcnt(1)
	v_lshlrev_b64 v[3:4], 3, v[3:4]
	v_add_co_u32_e32 v3, vcc, s62, v3
	v_addc_co_u32_e32 v4, vcc, v7, v4, vcc
	v_add_co_u32_e32 v3, vcc, v3, v32
	v_addc_co_u32_e32 v4, vcc, 0, v4, vcc
	s_waitcnt lgkmcnt(0)
	global_store_dwordx2 v[3:4], v[5:6], off
	s_or_b64 exec, exec, s[0:1]
	s_and_saveexec_b64 s[0:1], s[26:27]
	s_cbranch_execnz .LBB138_197
.LBB138_139:
	s_or_b64 exec, exec, s[0:1]
	s_and_saveexec_b64 s[0:1], s[28:29]
	s_cbranch_execz .LBB138_198
.LBB138_140:
	v_lshlrev_b32_e32 v3, 3, v63
	ds_read_b64 v[3:4], v3
	ds_read_b64 v[5:6], v32 offset:6144
	v_mov_b32_e32 v7, s63
	s_waitcnt lgkmcnt(1)
	v_lshlrev_b64 v[3:4], 3, v[3:4]
	v_add_co_u32_e32 v3, vcc, s62, v3
	v_addc_co_u32_e32 v4, vcc, v7, v4, vcc
	v_lshlrev_b32_e32 v7, 3, v45
	v_add_co_u32_e32 v3, vcc, v3, v7
	v_addc_co_u32_e32 v4, vcc, 0, v4, vcc
	s_waitcnt lgkmcnt(0)
	global_store_dwordx2 v[3:4], v[5:6], off
	s_or_b64 exec, exec, s[0:1]
	s_and_saveexec_b64 s[0:1], s[30:31]
	s_cbranch_execnz .LBB138_199
.LBB138_141:
	s_or_b64 exec, exec, s[0:1]
	s_and_saveexec_b64 s[0:1], s[34:35]
	s_cbranch_execz .LBB138_200
.LBB138_142:
	v_lshlrev_b32_e32 v3, 3, v62
	ds_read_b64 v[3:4], v3
	ds_read_b64 v[5:6], v32 offset:10240
	v_mov_b32_e32 v7, s63
	s_waitcnt lgkmcnt(1)
	v_lshlrev_b64 v[3:4], 3, v[3:4]
	v_add_co_u32_e32 v3, vcc, s62, v3
	v_addc_co_u32_e32 v4, vcc, v7, v4, vcc
	v_lshlrev_b32_e32 v7, 3, v47
	v_add_co_u32_e32 v3, vcc, v3, v7
	v_addc_co_u32_e32 v4, vcc, 0, v4, vcc
	s_waitcnt lgkmcnt(0)
	global_store_dwordx2 v[3:4], v[5:6], off
	s_or_b64 exec, exec, s[0:1]
	s_and_saveexec_b64 s[0:1], s[36:37]
	s_cbranch_execnz .LBB138_201
.LBB138_143:
	s_or_b64 exec, exec, s[0:1]
	s_and_saveexec_b64 s[0:1], s[38:39]
	s_cbranch_execz .LBB138_202
.LBB138_144:
	v_lshlrev_b32_e32 v3, 3, v61
	ds_read_b64 v[3:4], v3
	ds_read_b64 v[5:6], v32 offset:14336
	v_mov_b32_e32 v7, s63
	s_waitcnt lgkmcnt(1)
	v_lshlrev_b64 v[3:4], 3, v[3:4]
	v_add_co_u32_e32 v3, vcc, s62, v3
	v_addc_co_u32_e32 v4, vcc, v7, v4, vcc
	v_lshlrev_b32_e32 v7, 3, v49
	v_add_co_u32_e32 v3, vcc, v3, v7
	v_addc_co_u32_e32 v4, vcc, 0, v4, vcc
	s_waitcnt lgkmcnt(0)
	global_store_dwordx2 v[3:4], v[5:6], off
	s_or_b64 exec, exec, s[0:1]
	s_and_saveexec_b64 s[0:1], s[40:41]
	s_cbranch_execnz .LBB138_203
.LBB138_145:
	s_or_b64 exec, exec, s[0:1]
	s_and_saveexec_b64 s[0:1], s[42:43]
	s_cbranch_execz .LBB138_204
.LBB138_146:
	v_lshlrev_b32_e32 v3, 3, v59
	ds_read_b64 v[3:4], v3
	ds_read_b64 v[5:6], v32 offset:18432
	v_mov_b32_e32 v7, s63
	s_waitcnt lgkmcnt(1)
	v_lshlrev_b64 v[3:4], 3, v[3:4]
	v_add_co_u32_e32 v3, vcc, s62, v3
	v_addc_co_u32_e32 v4, vcc, v7, v4, vcc
	v_lshlrev_b32_e32 v7, 3, v51
	v_add_co_u32_e32 v3, vcc, v3, v7
	v_addc_co_u32_e32 v4, vcc, 0, v4, vcc
	s_waitcnt lgkmcnt(0)
	global_store_dwordx2 v[3:4], v[5:6], off
	s_or_b64 exec, exec, s[0:1]
	s_and_saveexec_b64 s[0:1], s[44:45]
	s_cbranch_execnz .LBB138_205
.LBB138_147:
	s_or_b64 exec, exec, s[0:1]
	s_and_saveexec_b64 s[0:1], s[46:47]
	s_cbranch_execz .LBB138_206
.LBB138_148:
	v_lshlrev_b32_e32 v3, 3, v57
	ds_read_b64 v[3:4], v3
	ds_read_b64 v[5:6], v32 offset:22528
	v_mov_b32_e32 v7, s63
	s_waitcnt lgkmcnt(1)
	v_lshlrev_b64 v[3:4], 3, v[3:4]
	v_add_co_u32_e32 v3, vcc, s62, v3
	v_addc_co_u32_e32 v4, vcc, v7, v4, vcc
	v_lshlrev_b32_e32 v7, 3, v53
	v_add_co_u32_e32 v3, vcc, v3, v7
	v_addc_co_u32_e32 v4, vcc, 0, v4, vcc
	s_waitcnt lgkmcnt(0)
	global_store_dwordx2 v[3:4], v[5:6], off
	s_or_b64 exec, exec, s[0:1]
	s_and_saveexec_b64 s[0:1], s[48:49]
	s_cbranch_execnz .LBB138_207
.LBB138_149:
	s_or_b64 exec, exec, s[0:1]
	s_add_i32 s33, s33, -1
	s_cmp_eq_u32 s6, s33
	s_cbranch_scc0 .LBB138_151
.LBB138_150:
	ds_read_b64 v[3:4], v32
	v_add_co_u32_e32 v5, vcc, v31, v30
	v_addc_co_u32_e64 v6, s[0:1], 0, 0, vcc
	s_waitcnt lgkmcnt(0)
	v_add_co_u32_e32 v3, vcc, v5, v3
	v_addc_co_u32_e32 v4, vcc, v6, v4, vcc
	global_store_dwordx2 v32, v[3:4], s[66:67]
.LBB138_151:
	s_mov_b64 s[0:1], 0
.LBB138_152:
	s_and_b64 vcc, exec, s[0:1]
	s_cbranch_vccz .LBB138_195
; %bb.153:
	s_mov_b32 s55, 0
	s_lshl_b64 s[0:1], s[54:55], 2
	v_mbcnt_hi_u32_b32 v8, -1, v29
	s_add_u32 s0, s56, s0
	v_lshlrev_b32_e32 v4, 2, v8
	v_add_co_u32_e32 v4, vcc, s0, v4
	s_load_dword s8, s[4:5], 0x50
	s_load_dword s0, s[4:5], 0x5c
	s_addc_u32 s1, s57, s1
	v_and_b32_e32 v9, 0xc0, v0
	v_mul_u32_u24_e32 v7, 12, v9
	v_mov_b32_e32 v5, s1
	v_addc_co_u32_e32 v5, vcc, 0, v5, vcc
	v_lshlrev_b32_e32 v6, 2, v7
	v_add_co_u32_e32 v4, vcc, v4, v6
	s_add_u32 s1, s4, 0x50
	v_addc_co_u32_e32 v5, vcc, 0, v5, vcc
	s_addc_u32 s2, s5, 0
	s_waitcnt lgkmcnt(0)
	s_lshr_b32 s3, s0, 16
	global_load_dword v10, v[4:5], off
	s_cmp_lt_u32 s6, s8
	s_cselect_b32 s0, 12, 18
	s_add_u32 s0, s1, s0
	v_mov_b32_e32 v3, 0
	s_addc_u32 s1, s2, 0
	global_load_ushort v11, v3, s[0:1]
	v_mul_u32_u24_e32 v6, 20, v0
	ds_write2_b32 v6, v3, v3 offset0:4 offset1:5
	ds_write2_b32 v6, v3, v3 offset0:6 offset1:7
	ds_write_b32 v6, v3 offset:32
	global_load_dword v12, v[4:5], off offset:256
	global_load_dword v16, v[4:5], off offset:512
	;; [unrolled: 1-line block ×11, first 2 shown]
	v_bfrev_b32_e32 v13, 1
	v_mad_u32_u24 v1, v2, s3, v1
	s_brev_b32 s2, -2
	s_lshl_b32 s0, -1, s69
	s_not_b32 s9, s0
	s_waitcnt vmcnt(0) lgkmcnt(0)
	s_barrier
	; wave barrier
	v_cmp_lt_i32_e32 vcc, -1, v10
	v_cndmask_b32_e32 v2, -1, v13, vcc
	v_xor_b32_e32 v5, v2, v10
	v_cmp_ne_u32_e32 vcc, s2, v5
	v_cndmask_b32_e32 v4, v13, v5, vcc
	v_mad_u64_u32 v[1:2], s[0:1], v1, v11, v[0:1]
	v_lshrrev_b32_e32 v2, s68, v4
	v_and_b32_e32 v2, s9, v2
	v_and_b32_e32 v11, 1, v2
	v_add_co_u32_e32 v14, vcc, -1, v11
	v_lshlrev_b32_e32 v4, 30, v2
	v_addc_co_u32_e64 v15, s[0:1], 0, -1, vcc
	v_cmp_ne_u32_e32 vcc, 0, v11
	v_cmp_gt_i64_e64 s[0:1], 0, v[3:4]
	v_not_b32_e32 v11, v4
	v_lshlrev_b32_e32 v4, 29, v2
	v_lshrrev_b32_e32 v19, 6, v1
	v_xor_b32_e32 v1, vcc_hi, v15
	v_xor_b32_e32 v14, vcc_lo, v14
	v_ashrrev_i32_e32 v11, 31, v11
	v_cmp_gt_i64_e32 vcc, 0, v[3:4]
	v_not_b32_e32 v15, v4
	v_lshlrev_b32_e32 v4, 28, v2
	v_and_b32_e32 v1, exec_hi, v1
	v_and_b32_e32 v14, exec_lo, v14
	v_xor_b32_e32 v18, s1, v11
	v_xor_b32_e32 v11, s0, v11
	v_ashrrev_i32_e32 v15, 31, v15
	v_cmp_gt_i64_e64 s[0:1], 0, v[3:4]
	v_not_b32_e32 v4, v4
	v_and_b32_e32 v1, v1, v18
	v_and_b32_e32 v11, v14, v11
	v_xor_b32_e32 v14, vcc_hi, v15
	v_xor_b32_e32 v15, vcc_lo, v15
	v_ashrrev_i32_e32 v4, 31, v4
	v_and_b32_e32 v1, v1, v14
	v_and_b32_e32 v11, v11, v15
	v_xor_b32_e32 v14, s1, v4
	v_xor_b32_e32 v4, s0, v4
	v_and_b32_e32 v11, v11, v4
	v_lshlrev_b32_e32 v4, 27, v2
	v_cmp_gt_i64_e32 vcc, 0, v[3:4]
	v_not_b32_e32 v4, v4
	v_ashrrev_i32_e32 v4, 31, v4
	v_and_b32_e32 v1, v1, v14
	v_xor_b32_e32 v14, vcc_hi, v4
	v_xor_b32_e32 v4, vcc_lo, v4
	v_and_b32_e32 v11, v11, v4
	v_lshlrev_b32_e32 v4, 26, v2
	v_cmp_gt_i64_e32 vcc, 0, v[3:4]
	v_not_b32_e32 v4, v4
	v_ashrrev_i32_e32 v4, 31, v4
	v_and_b32_e32 v1, v1, v14
	v_xor_b32_e32 v14, vcc_hi, v4
	v_xor_b32_e32 v4, vcc_lo, v4
	;; [unrolled: 8-line block ×3, first 2 shown]
	v_and_b32_e32 v11, v11, v4
	v_lshlrev_b32_e32 v4, 24, v2
	v_mul_lo_u32 v10, v2, 20
	v_cmp_gt_i64_e32 vcc, 0, v[3:4]
	v_not_b32_e32 v2, v4
	v_ashrrev_i32_e32 v2, 31, v2
	v_and_b32_e32 v1, v1, v14
	v_xor_b32_e32 v4, vcc_hi, v2
	v_xor_b32_e32 v14, vcc_lo, v2
	v_and_b32_e32 v2, v1, v4
	v_and_b32_e32 v1, v11, v14
	v_mbcnt_lo_u32_b32 v4, v1, 0
	v_mbcnt_hi_u32_b32 v11, v2, v4
	v_cmp_ne_u64_e32 vcc, 0, v[1:2]
	v_cmp_eq_u32_e64 s[0:1], 0, v11
	v_lshl_add_u32 v10, v19, 2, v10
	s_and_b64 s[4:5], vcc, s[0:1]
	s_and_saveexec_b64 s[0:1], s[4:5]
; %bb.154:
	v_bcnt_u32_b32 v1, v1, 0
	v_bcnt_u32_b32 v1, v2, v1
	ds_write_b32 v10, v1 offset:16
; %bb.155:
	s_or_b64 exec, exec, s[0:1]
	v_cmp_lt_i32_e32 vcc, -1, v12
	v_cndmask_b32_e32 v1, -1, v13, vcc
	v_xor_b32_e32 v12, v1, v12
	v_cmp_ne_u32_e32 vcc, s2, v12
	v_cndmask_b32_e32 v1, v13, v12, vcc
	v_lshrrev_b32_e32 v1, s68, v1
	v_and_b32_e32 v1, s9, v1
	v_mul_lo_u32 v2, v1, 20
	; wave barrier
	v_lshl_add_u32 v14, v19, 2, v2
	v_and_b32_e32 v2, 1, v1
	v_add_co_u32_e32 v4, vcc, -1, v2
	v_addc_co_u32_e64 v15, s[0:1], 0, -1, vcc
	v_cmp_ne_u32_e32 vcc, 0, v2
	v_xor_b32_e32 v4, vcc_lo, v4
	v_xor_b32_e32 v2, vcc_hi, v15
	v_and_b32_e32 v15, exec_lo, v4
	v_lshlrev_b32_e32 v4, 30, v1
	v_cmp_gt_i64_e32 vcc, 0, v[3:4]
	v_not_b32_e32 v4, v4
	v_ashrrev_i32_e32 v4, 31, v4
	v_xor_b32_e32 v18, vcc_hi, v4
	v_xor_b32_e32 v4, vcc_lo, v4
	v_and_b32_e32 v15, v15, v4
	v_lshlrev_b32_e32 v4, 29, v1
	v_cmp_gt_i64_e32 vcc, 0, v[3:4]
	v_not_b32_e32 v4, v4
	v_and_b32_e32 v2, exec_hi, v2
	v_ashrrev_i32_e32 v4, 31, v4
	v_and_b32_e32 v2, v2, v18
	v_xor_b32_e32 v18, vcc_hi, v4
	v_xor_b32_e32 v4, vcc_lo, v4
	v_and_b32_e32 v15, v15, v4
	v_lshlrev_b32_e32 v4, 28, v1
	v_cmp_gt_i64_e32 vcc, 0, v[3:4]
	v_not_b32_e32 v4, v4
	v_ashrrev_i32_e32 v4, 31, v4
	v_and_b32_e32 v2, v2, v18
	v_xor_b32_e32 v18, vcc_hi, v4
	v_xor_b32_e32 v4, vcc_lo, v4
	v_and_b32_e32 v15, v15, v4
	v_lshlrev_b32_e32 v4, 27, v1
	v_cmp_gt_i64_e32 vcc, 0, v[3:4]
	v_not_b32_e32 v4, v4
	;; [unrolled: 8-line block ×5, first 2 shown]
	v_ashrrev_i32_e32 v1, 31, v1
	v_xor_b32_e32 v3, vcc_hi, v1
	v_xor_b32_e32 v1, vcc_lo, v1
	ds_read_b32 v13, v14 offset:16
	v_and_b32_e32 v2, v2, v18
	v_and_b32_e32 v1, v15, v1
	;; [unrolled: 1-line block ×3, first 2 shown]
	v_mbcnt_lo_u32_b32 v3, v1, 0
	v_mbcnt_hi_u32_b32 v15, v2, v3
	v_cmp_ne_u64_e32 vcc, 0, v[1:2]
	v_cmp_eq_u32_e64 s[0:1], 0, v15
	s_and_b64 s[2:3], vcc, s[0:1]
	; wave barrier
	s_and_saveexec_b64 s[0:1], s[2:3]
	s_cbranch_execz .LBB138_157
; %bb.156:
	v_bcnt_u32_b32 v1, v1, 0
	v_bcnt_u32_b32 v1, v2, v1
	s_waitcnt lgkmcnt(0)
	v_add_u32_e32 v1, v13, v1
	ds_write_b32 v14, v1 offset:16
.LBB138_157:
	s_or_b64 exec, exec, s[0:1]
	v_bfrev_b32_e32 v4, 1
	v_cmp_lt_i32_e32 vcc, -1, v16
	v_cndmask_b32_e32 v1, -1, v4, vcc
	v_xor_b32_e32 v16, v1, v16
	s_brev_b32 s2, -2
	v_cmp_ne_u32_e32 vcc, s2, v16
	v_cndmask_b32_e32 v1, v4, v16, vcc
	v_lshrrev_b32_e32 v1, s68, v1
	v_and_b32_e32 v3, s9, v1
	v_mul_lo_u32 v1, v3, 20
	v_and_b32_e32 v2, 1, v3
	v_add_co_u32_e32 v22, vcc, -1, v2
	v_addc_co_u32_e64 v24, s[0:1], 0, -1, vcc
	v_cmp_ne_u32_e32 vcc, 0, v2
	v_xor_b32_e32 v2, vcc_hi, v24
	v_lshl_add_u32 v20, v19, 2, v1
	v_mov_b32_e32 v1, 0
	v_and_b32_e32 v24, exec_hi, v2
	v_lshlrev_b32_e32 v2, 30, v3
	v_xor_b32_e32 v22, vcc_lo, v22
	v_cmp_gt_i64_e32 vcc, 0, v[1:2]
	v_not_b32_e32 v2, v2
	v_ashrrev_i32_e32 v2, 31, v2
	v_and_b32_e32 v22, exec_lo, v22
	v_xor_b32_e32 v25, vcc_hi, v2
	v_xor_b32_e32 v2, vcc_lo, v2
	v_and_b32_e32 v22, v22, v2
	v_lshlrev_b32_e32 v2, 29, v3
	v_cmp_gt_i64_e32 vcc, 0, v[1:2]
	v_not_b32_e32 v2, v2
	v_ashrrev_i32_e32 v2, 31, v2
	v_and_b32_e32 v24, v24, v25
	v_xor_b32_e32 v25, vcc_hi, v2
	v_xor_b32_e32 v2, vcc_lo, v2
	v_and_b32_e32 v22, v22, v2
	v_lshlrev_b32_e32 v2, 28, v3
	v_cmp_gt_i64_e32 vcc, 0, v[1:2]
	v_not_b32_e32 v2, v2
	v_ashrrev_i32_e32 v2, 31, v2
	v_and_b32_e32 v24, v24, v25
	;; [unrolled: 8-line block ×5, first 2 shown]
	v_xor_b32_e32 v25, vcc_hi, v2
	v_xor_b32_e32 v2, vcc_lo, v2
	v_and_b32_e32 v22, v22, v2
	v_lshlrev_b32_e32 v2, 24, v3
	v_cmp_gt_i64_e32 vcc, 0, v[1:2]
	v_not_b32_e32 v2, v2
	v_ashrrev_i32_e32 v2, 31, v2
	v_xor_b32_e32 v3, vcc_hi, v2
	v_xor_b32_e32 v2, vcc_lo, v2
	; wave barrier
	ds_read_b32 v18, v20 offset:16
	v_and_b32_e32 v24, v24, v25
	v_and_b32_e32 v2, v22, v2
	;; [unrolled: 1-line block ×3, first 2 shown]
	v_mbcnt_lo_u32_b32 v22, v2, 0
	v_mbcnt_hi_u32_b32 v22, v3, v22
	v_cmp_ne_u64_e32 vcc, 0, v[2:3]
	v_cmp_eq_u32_e64 s[0:1], 0, v22
	s_and_b64 s[4:5], vcc, s[0:1]
	; wave barrier
	s_and_saveexec_b64 s[0:1], s[4:5]
	s_cbranch_execz .LBB138_159
; %bb.158:
	v_bcnt_u32_b32 v2, v2, 0
	v_bcnt_u32_b32 v2, v3, v2
	s_waitcnt lgkmcnt(0)
	v_add_u32_e32 v2, v18, v2
	ds_write_b32 v20, v2 offset:16
.LBB138_159:
	s_or_b64 exec, exec, s[0:1]
	v_cmp_lt_i32_e32 vcc, -1, v21
	v_cndmask_b32_e32 v2, -1, v4, vcc
	v_xor_b32_e32 v21, v2, v21
	v_cmp_ne_u32_e32 vcc, s2, v21
	v_cndmask_b32_e32 v2, v4, v21, vcc
	v_lshrrev_b32_e32 v2, s68, v2
	v_and_b32_e32 v3, s9, v2
	v_mul_lo_u32 v2, v3, 20
	; wave barrier
	v_lshl_add_u32 v25, v19, 2, v2
	v_and_b32_e32 v2, 1, v3
	v_add_co_u32_e32 v4, vcc, -1, v2
	v_addc_co_u32_e64 v26, s[0:1], 0, -1, vcc
	v_cmp_ne_u32_e32 vcc, 0, v2
	v_xor_b32_e32 v2, vcc_hi, v26
	v_and_b32_e32 v26, exec_hi, v2
	v_lshlrev_b32_e32 v2, 30, v3
	v_xor_b32_e32 v4, vcc_lo, v4
	v_cmp_gt_i64_e32 vcc, 0, v[1:2]
	v_not_b32_e32 v2, v2
	v_ashrrev_i32_e32 v2, 31, v2
	v_and_b32_e32 v4, exec_lo, v4
	v_xor_b32_e32 v29, vcc_hi, v2
	v_xor_b32_e32 v2, vcc_lo, v2
	v_and_b32_e32 v4, v4, v2
	v_lshlrev_b32_e32 v2, 29, v3
	v_cmp_gt_i64_e32 vcc, 0, v[1:2]
	v_not_b32_e32 v2, v2
	v_ashrrev_i32_e32 v2, 31, v2
	v_and_b32_e32 v26, v26, v29
	v_xor_b32_e32 v29, vcc_hi, v2
	v_xor_b32_e32 v2, vcc_lo, v2
	v_and_b32_e32 v4, v4, v2
	v_lshlrev_b32_e32 v2, 28, v3
	v_cmp_gt_i64_e32 vcc, 0, v[1:2]
	v_not_b32_e32 v2, v2
	v_ashrrev_i32_e32 v2, 31, v2
	v_and_b32_e32 v26, v26, v29
	;; [unrolled: 8-line block ×5, first 2 shown]
	v_xor_b32_e32 v29, vcc_hi, v2
	v_xor_b32_e32 v2, vcc_lo, v2
	v_and_b32_e32 v4, v4, v2
	v_lshlrev_b32_e32 v2, 24, v3
	v_cmp_gt_i64_e32 vcc, 0, v[1:2]
	v_not_b32_e32 v1, v2
	v_ashrrev_i32_e32 v1, 31, v1
	v_xor_b32_e32 v2, vcc_hi, v1
	v_xor_b32_e32 v1, vcc_lo, v1
	ds_read_b32 v24, v25 offset:16
	v_and_b32_e32 v26, v26, v29
	v_and_b32_e32 v1, v4, v1
	;; [unrolled: 1-line block ×3, first 2 shown]
	v_mbcnt_lo_u32_b32 v3, v1, 0
	v_mbcnt_hi_u32_b32 v26, v2, v3
	v_cmp_ne_u64_e32 vcc, 0, v[1:2]
	v_cmp_eq_u32_e64 s[0:1], 0, v26
	s_and_b64 s[2:3], vcc, s[0:1]
	; wave barrier
	s_and_saveexec_b64 s[0:1], s[2:3]
	s_cbranch_execz .LBB138_161
; %bb.160:
	v_bcnt_u32_b32 v1, v1, 0
	v_bcnt_u32_b32 v1, v2, v1
	s_waitcnt lgkmcnt(0)
	v_add_u32_e32 v1, v24, v1
	ds_write_b32 v25, v1 offset:16
.LBB138_161:
	s_or_b64 exec, exec, s[0:1]
	v_bfrev_b32_e32 v4, 1
	v_cmp_lt_i32_e32 vcc, -1, v27
	v_cndmask_b32_e32 v1, -1, v4, vcc
	v_xor_b32_e32 v27, v1, v27
	s_brev_b32 s2, -2
	v_cmp_ne_u32_e32 vcc, s2, v27
	v_cndmask_b32_e32 v1, v4, v27, vcc
	v_lshrrev_b32_e32 v1, s68, v1
	v_and_b32_e32 v3, s9, v1
	v_mul_lo_u32 v1, v3, 20
	v_and_b32_e32 v2, 1, v3
	v_add_co_u32_e32 v32, vcc, -1, v2
	v_addc_co_u32_e64 v34, s[0:1], 0, -1, vcc
	v_cmp_ne_u32_e32 vcc, 0, v2
	v_xor_b32_e32 v2, vcc_hi, v34
	v_lshl_add_u32 v30, v19, 2, v1
	v_mov_b32_e32 v1, 0
	v_and_b32_e32 v34, exec_hi, v2
	v_lshlrev_b32_e32 v2, 30, v3
	v_xor_b32_e32 v32, vcc_lo, v32
	v_cmp_gt_i64_e32 vcc, 0, v[1:2]
	v_not_b32_e32 v2, v2
	v_ashrrev_i32_e32 v2, 31, v2
	v_and_b32_e32 v32, exec_lo, v32
	v_xor_b32_e32 v35, vcc_hi, v2
	v_xor_b32_e32 v2, vcc_lo, v2
	v_and_b32_e32 v32, v32, v2
	v_lshlrev_b32_e32 v2, 29, v3
	v_cmp_gt_i64_e32 vcc, 0, v[1:2]
	v_not_b32_e32 v2, v2
	v_ashrrev_i32_e32 v2, 31, v2
	v_and_b32_e32 v34, v34, v35
	v_xor_b32_e32 v35, vcc_hi, v2
	v_xor_b32_e32 v2, vcc_lo, v2
	v_and_b32_e32 v32, v32, v2
	v_lshlrev_b32_e32 v2, 28, v3
	v_cmp_gt_i64_e32 vcc, 0, v[1:2]
	v_not_b32_e32 v2, v2
	v_ashrrev_i32_e32 v2, 31, v2
	v_and_b32_e32 v34, v34, v35
	;; [unrolled: 8-line block ×5, first 2 shown]
	v_xor_b32_e32 v35, vcc_hi, v2
	v_xor_b32_e32 v2, vcc_lo, v2
	v_and_b32_e32 v32, v32, v2
	v_lshlrev_b32_e32 v2, 24, v3
	v_cmp_gt_i64_e32 vcc, 0, v[1:2]
	v_not_b32_e32 v2, v2
	v_ashrrev_i32_e32 v2, 31, v2
	v_xor_b32_e32 v3, vcc_hi, v2
	v_xor_b32_e32 v2, vcc_lo, v2
	; wave barrier
	ds_read_b32 v29, v30 offset:16
	v_and_b32_e32 v34, v34, v35
	v_and_b32_e32 v2, v32, v2
	;; [unrolled: 1-line block ×3, first 2 shown]
	v_mbcnt_lo_u32_b32 v32, v2, 0
	v_mbcnt_hi_u32_b32 v32, v3, v32
	v_cmp_ne_u64_e32 vcc, 0, v[2:3]
	v_cmp_eq_u32_e64 s[0:1], 0, v32
	s_and_b64 s[4:5], vcc, s[0:1]
	; wave barrier
	s_and_saveexec_b64 s[0:1], s[4:5]
	s_cbranch_execz .LBB138_163
; %bb.162:
	v_bcnt_u32_b32 v2, v2, 0
	v_bcnt_u32_b32 v2, v3, v2
	s_waitcnt lgkmcnt(0)
	v_add_u32_e32 v2, v29, v2
	ds_write_b32 v30, v2 offset:16
.LBB138_163:
	s_or_b64 exec, exec, s[0:1]
	v_cmp_lt_i32_e32 vcc, -1, v31
	v_cndmask_b32_e32 v2, -1, v4, vcc
	v_xor_b32_e32 v31, v2, v31
	v_cmp_ne_u32_e32 vcc, s2, v31
	v_cndmask_b32_e32 v2, v4, v31, vcc
	v_lshrrev_b32_e32 v2, s68, v2
	v_and_b32_e32 v3, s9, v2
	v_mul_lo_u32 v2, v3, 20
	; wave barrier
	v_lshl_add_u32 v35, v19, 2, v2
	v_and_b32_e32 v2, 1, v3
	v_add_co_u32_e32 v4, vcc, -1, v2
	v_addc_co_u32_e64 v37, s[0:1], 0, -1, vcc
	v_cmp_ne_u32_e32 vcc, 0, v2
	v_xor_b32_e32 v2, vcc_hi, v37
	v_and_b32_e32 v37, exec_hi, v2
	v_lshlrev_b32_e32 v2, 30, v3
	v_xor_b32_e32 v4, vcc_lo, v4
	v_cmp_gt_i64_e32 vcc, 0, v[1:2]
	v_not_b32_e32 v2, v2
	v_ashrrev_i32_e32 v2, 31, v2
	v_and_b32_e32 v4, exec_lo, v4
	v_xor_b32_e32 v39, vcc_hi, v2
	v_xor_b32_e32 v2, vcc_lo, v2
	v_and_b32_e32 v4, v4, v2
	v_lshlrev_b32_e32 v2, 29, v3
	v_cmp_gt_i64_e32 vcc, 0, v[1:2]
	v_not_b32_e32 v2, v2
	v_ashrrev_i32_e32 v2, 31, v2
	v_and_b32_e32 v37, v37, v39
	v_xor_b32_e32 v39, vcc_hi, v2
	v_xor_b32_e32 v2, vcc_lo, v2
	v_and_b32_e32 v4, v4, v2
	v_lshlrev_b32_e32 v2, 28, v3
	v_cmp_gt_i64_e32 vcc, 0, v[1:2]
	v_not_b32_e32 v2, v2
	v_ashrrev_i32_e32 v2, 31, v2
	v_and_b32_e32 v37, v37, v39
	;; [unrolled: 8-line block ×5, first 2 shown]
	v_xor_b32_e32 v39, vcc_hi, v2
	v_xor_b32_e32 v2, vcc_lo, v2
	v_and_b32_e32 v4, v4, v2
	v_lshlrev_b32_e32 v2, 24, v3
	v_cmp_gt_i64_e32 vcc, 0, v[1:2]
	v_not_b32_e32 v1, v2
	v_ashrrev_i32_e32 v1, 31, v1
	v_xor_b32_e32 v2, vcc_hi, v1
	v_xor_b32_e32 v1, vcc_lo, v1
	ds_read_b32 v34, v35 offset:16
	v_and_b32_e32 v37, v37, v39
	v_and_b32_e32 v1, v4, v1
	;; [unrolled: 1-line block ×3, first 2 shown]
	v_mbcnt_lo_u32_b32 v3, v1, 0
	v_mbcnt_hi_u32_b32 v37, v2, v3
	v_cmp_ne_u64_e32 vcc, 0, v[1:2]
	v_cmp_eq_u32_e64 s[0:1], 0, v37
	s_and_b64 s[2:3], vcc, s[0:1]
	; wave barrier
	s_and_saveexec_b64 s[0:1], s[2:3]
	s_cbranch_execz .LBB138_165
; %bb.164:
	v_bcnt_u32_b32 v1, v1, 0
	v_bcnt_u32_b32 v1, v2, v1
	s_waitcnt lgkmcnt(0)
	v_add_u32_e32 v1, v34, v1
	ds_write_b32 v35, v1 offset:16
.LBB138_165:
	s_or_b64 exec, exec, s[0:1]
	v_bfrev_b32_e32 v4, 1
	v_cmp_lt_i32_e32 vcc, -1, v36
	v_cndmask_b32_e32 v1, -1, v4, vcc
	v_xor_b32_e32 v36, v1, v36
	s_brev_b32 s2, -2
	v_cmp_ne_u32_e32 vcc, s2, v36
	v_cndmask_b32_e32 v1, v4, v36, vcc
	v_lshrrev_b32_e32 v1, s68, v1
	v_and_b32_e32 v3, s9, v1
	v_mul_lo_u32 v1, v3, 20
	v_and_b32_e32 v2, 1, v3
	v_add_co_u32_e32 v41, vcc, -1, v2
	v_addc_co_u32_e64 v42, s[0:1], 0, -1, vcc
	v_cmp_ne_u32_e32 vcc, 0, v2
	v_xor_b32_e32 v2, vcc_hi, v42
	v_lshl_add_u32 v40, v19, 2, v1
	v_mov_b32_e32 v1, 0
	v_and_b32_e32 v42, exec_hi, v2
	v_lshlrev_b32_e32 v2, 30, v3
	v_xor_b32_e32 v41, vcc_lo, v41
	v_cmp_gt_i64_e32 vcc, 0, v[1:2]
	v_not_b32_e32 v2, v2
	v_ashrrev_i32_e32 v2, 31, v2
	v_and_b32_e32 v41, exec_lo, v41
	v_xor_b32_e32 v43, vcc_hi, v2
	v_xor_b32_e32 v2, vcc_lo, v2
	v_and_b32_e32 v41, v41, v2
	v_lshlrev_b32_e32 v2, 29, v3
	v_cmp_gt_i64_e32 vcc, 0, v[1:2]
	v_not_b32_e32 v2, v2
	v_ashrrev_i32_e32 v2, 31, v2
	v_and_b32_e32 v42, v42, v43
	v_xor_b32_e32 v43, vcc_hi, v2
	v_xor_b32_e32 v2, vcc_lo, v2
	v_and_b32_e32 v41, v41, v2
	v_lshlrev_b32_e32 v2, 28, v3
	v_cmp_gt_i64_e32 vcc, 0, v[1:2]
	v_not_b32_e32 v2, v2
	v_ashrrev_i32_e32 v2, 31, v2
	v_and_b32_e32 v42, v42, v43
	;; [unrolled: 8-line block ×5, first 2 shown]
	v_xor_b32_e32 v43, vcc_hi, v2
	v_xor_b32_e32 v2, vcc_lo, v2
	v_and_b32_e32 v41, v41, v2
	v_lshlrev_b32_e32 v2, 24, v3
	v_cmp_gt_i64_e32 vcc, 0, v[1:2]
	v_not_b32_e32 v2, v2
	v_ashrrev_i32_e32 v2, 31, v2
	v_xor_b32_e32 v3, vcc_hi, v2
	v_xor_b32_e32 v2, vcc_lo, v2
	; wave barrier
	ds_read_b32 v39, v40 offset:16
	v_and_b32_e32 v42, v42, v43
	v_and_b32_e32 v2, v41, v2
	;; [unrolled: 1-line block ×3, first 2 shown]
	v_mbcnt_lo_u32_b32 v41, v2, 0
	v_mbcnt_hi_u32_b32 v41, v3, v41
	v_cmp_ne_u64_e32 vcc, 0, v[2:3]
	v_cmp_eq_u32_e64 s[0:1], 0, v41
	s_and_b64 s[4:5], vcc, s[0:1]
	; wave barrier
	s_and_saveexec_b64 s[0:1], s[4:5]
	s_cbranch_execz .LBB138_167
; %bb.166:
	v_bcnt_u32_b32 v2, v2, 0
	v_bcnt_u32_b32 v2, v3, v2
	s_waitcnt lgkmcnt(0)
	v_add_u32_e32 v2, v39, v2
	ds_write_b32 v40, v2 offset:16
.LBB138_167:
	s_or_b64 exec, exec, s[0:1]
	v_cmp_lt_i32_e32 vcc, -1, v38
	v_cndmask_b32_e32 v2, -1, v4, vcc
	v_xor_b32_e32 v38, v2, v38
	v_cmp_ne_u32_e32 vcc, s2, v38
	v_cndmask_b32_e32 v2, v4, v38, vcc
	v_lshrrev_b32_e32 v2, s68, v2
	v_and_b32_e32 v3, s9, v2
	v_mul_lo_u32 v2, v3, 20
	; wave barrier
	v_lshl_add_u32 v43, v19, 2, v2
	v_and_b32_e32 v2, 1, v3
	v_add_co_u32_e32 v4, vcc, -1, v2
	v_addc_co_u32_e64 v44, s[0:1], 0, -1, vcc
	v_cmp_ne_u32_e32 vcc, 0, v2
	v_xor_b32_e32 v2, vcc_hi, v44
	v_and_b32_e32 v44, exec_hi, v2
	v_lshlrev_b32_e32 v2, 30, v3
	v_xor_b32_e32 v4, vcc_lo, v4
	v_cmp_gt_i64_e32 vcc, 0, v[1:2]
	v_not_b32_e32 v2, v2
	v_ashrrev_i32_e32 v2, 31, v2
	v_and_b32_e32 v4, exec_lo, v4
	v_xor_b32_e32 v45, vcc_hi, v2
	v_xor_b32_e32 v2, vcc_lo, v2
	v_and_b32_e32 v4, v4, v2
	v_lshlrev_b32_e32 v2, 29, v3
	v_cmp_gt_i64_e32 vcc, 0, v[1:2]
	v_not_b32_e32 v2, v2
	v_ashrrev_i32_e32 v2, 31, v2
	v_and_b32_e32 v44, v44, v45
	v_xor_b32_e32 v45, vcc_hi, v2
	v_xor_b32_e32 v2, vcc_lo, v2
	v_and_b32_e32 v4, v4, v2
	v_lshlrev_b32_e32 v2, 28, v3
	v_cmp_gt_i64_e32 vcc, 0, v[1:2]
	v_not_b32_e32 v2, v2
	v_ashrrev_i32_e32 v2, 31, v2
	v_and_b32_e32 v44, v44, v45
	v_xor_b32_e32 v45, vcc_hi, v2
	v_xor_b32_e32 v2, vcc_lo, v2
	v_and_b32_e32 v4, v4, v2
	v_lshlrev_b32_e32 v2, 27, v3
	v_cmp_gt_i64_e32 vcc, 0, v[1:2]
	v_not_b32_e32 v2, v2
	v_ashrrev_i32_e32 v2, 31, v2
	v_and_b32_e32 v44, v44, v45
	v_xor_b32_e32 v45, vcc_hi, v2
	v_xor_b32_e32 v2, vcc_lo, v2
	v_and_b32_e32 v4, v4, v2
	v_lshlrev_b32_e32 v2, 26, v3
	v_cmp_gt_i64_e32 vcc, 0, v[1:2]
	v_not_b32_e32 v2, v2
	v_ashrrev_i32_e32 v2, 31, v2
	v_and_b32_e32 v44, v44, v45
	v_xor_b32_e32 v45, vcc_hi, v2
	v_xor_b32_e32 v2, vcc_lo, v2
	v_and_b32_e32 v4, v4, v2
	v_lshlrev_b32_e32 v2, 25, v3
	v_cmp_gt_i64_e32 vcc, 0, v[1:2]
	v_not_b32_e32 v2, v2
	v_ashrrev_i32_e32 v2, 31, v2
	v_and_b32_e32 v44, v44, v45
	v_xor_b32_e32 v45, vcc_hi, v2
	v_xor_b32_e32 v2, vcc_lo, v2
	v_and_b32_e32 v4, v4, v2
	v_lshlrev_b32_e32 v2, 24, v3
	v_cmp_gt_i64_e32 vcc, 0, v[1:2]
	v_not_b32_e32 v1, v2
	v_ashrrev_i32_e32 v1, 31, v1
	v_xor_b32_e32 v2, vcc_hi, v1
	v_xor_b32_e32 v1, vcc_lo, v1
	ds_read_b32 v42, v43 offset:16
	v_and_b32_e32 v44, v44, v45
	v_and_b32_e32 v1, v4, v1
	;; [unrolled: 1-line block ×3, first 2 shown]
	v_mbcnt_lo_u32_b32 v3, v1, 0
	v_mbcnt_hi_u32_b32 v44, v2, v3
	v_cmp_ne_u64_e32 vcc, 0, v[1:2]
	v_cmp_eq_u32_e64 s[0:1], 0, v44
	s_and_b64 s[2:3], vcc, s[0:1]
	; wave barrier
	s_and_saveexec_b64 s[0:1], s[2:3]
	s_cbranch_execz .LBB138_169
; %bb.168:
	v_bcnt_u32_b32 v1, v1, 0
	v_bcnt_u32_b32 v1, v2, v1
	s_waitcnt lgkmcnt(0)
	v_add_u32_e32 v1, v42, v1
	ds_write_b32 v43, v1 offset:16
.LBB138_169:
	s_or_b64 exec, exec, s[0:1]
	v_bfrev_b32_e32 v4, 1
	v_cmp_lt_i32_e32 vcc, -1, v33
	v_cndmask_b32_e32 v1, -1, v4, vcc
	v_xor_b32_e32 v33, v1, v33
	s_brev_b32 s2, -2
	v_cmp_ne_u32_e32 vcc, s2, v33
	v_cndmask_b32_e32 v1, v4, v33, vcc
	v_lshrrev_b32_e32 v1, s68, v1
	v_and_b32_e32 v3, s9, v1
	v_mul_lo_u32 v1, v3, 20
	v_and_b32_e32 v2, 1, v3
	v_add_co_u32_e32 v47, vcc, -1, v2
	v_addc_co_u32_e64 v48, s[0:1], 0, -1, vcc
	v_cmp_ne_u32_e32 vcc, 0, v2
	v_xor_b32_e32 v2, vcc_hi, v48
	v_lshl_add_u32 v46, v19, 2, v1
	v_mov_b32_e32 v1, 0
	v_and_b32_e32 v48, exec_hi, v2
	v_lshlrev_b32_e32 v2, 30, v3
	v_xor_b32_e32 v47, vcc_lo, v47
	v_cmp_gt_i64_e32 vcc, 0, v[1:2]
	v_not_b32_e32 v2, v2
	v_ashrrev_i32_e32 v2, 31, v2
	v_and_b32_e32 v47, exec_lo, v47
	v_xor_b32_e32 v49, vcc_hi, v2
	v_xor_b32_e32 v2, vcc_lo, v2
	v_and_b32_e32 v47, v47, v2
	v_lshlrev_b32_e32 v2, 29, v3
	v_cmp_gt_i64_e32 vcc, 0, v[1:2]
	v_not_b32_e32 v2, v2
	v_ashrrev_i32_e32 v2, 31, v2
	v_and_b32_e32 v48, v48, v49
	v_xor_b32_e32 v49, vcc_hi, v2
	v_xor_b32_e32 v2, vcc_lo, v2
	v_and_b32_e32 v47, v47, v2
	v_lshlrev_b32_e32 v2, 28, v3
	v_cmp_gt_i64_e32 vcc, 0, v[1:2]
	v_not_b32_e32 v2, v2
	v_ashrrev_i32_e32 v2, 31, v2
	v_and_b32_e32 v48, v48, v49
	;; [unrolled: 8-line block ×5, first 2 shown]
	v_xor_b32_e32 v49, vcc_hi, v2
	v_xor_b32_e32 v2, vcc_lo, v2
	v_and_b32_e32 v47, v47, v2
	v_lshlrev_b32_e32 v2, 24, v3
	v_cmp_gt_i64_e32 vcc, 0, v[1:2]
	v_not_b32_e32 v2, v2
	v_ashrrev_i32_e32 v2, 31, v2
	v_xor_b32_e32 v3, vcc_hi, v2
	v_xor_b32_e32 v2, vcc_lo, v2
	; wave barrier
	ds_read_b32 v45, v46 offset:16
	v_and_b32_e32 v48, v48, v49
	v_and_b32_e32 v2, v47, v2
	;; [unrolled: 1-line block ×3, first 2 shown]
	v_mbcnt_lo_u32_b32 v47, v2, 0
	v_mbcnt_hi_u32_b32 v48, v3, v47
	v_cmp_ne_u64_e32 vcc, 0, v[2:3]
	v_cmp_eq_u32_e64 s[0:1], 0, v48
	s_and_b64 s[4:5], vcc, s[0:1]
	; wave barrier
	s_and_saveexec_b64 s[0:1], s[4:5]
	s_cbranch_execz .LBB138_171
; %bb.170:
	v_bcnt_u32_b32 v2, v2, 0
	v_bcnt_u32_b32 v2, v3, v2
	s_waitcnt lgkmcnt(0)
	v_add_u32_e32 v2, v45, v2
	ds_write_b32 v46, v2 offset:16
.LBB138_171:
	s_or_b64 exec, exec, s[0:1]
	v_cmp_lt_i32_e32 vcc, -1, v28
	v_cndmask_b32_e32 v2, -1, v4, vcc
	v_xor_b32_e32 v47, v2, v28
	v_cmp_ne_u32_e32 vcc, s2, v47
	v_cndmask_b32_e32 v2, v4, v47, vcc
	v_lshrrev_b32_e32 v2, s68, v2
	v_and_b32_e32 v3, s9, v2
	v_mul_lo_u32 v2, v3, 20
	; wave barrier
	v_lshl_add_u32 v28, v19, 2, v2
	v_and_b32_e32 v2, 1, v3
	v_add_co_u32_e32 v4, vcc, -1, v2
	v_addc_co_u32_e64 v50, s[0:1], 0, -1, vcc
	v_cmp_ne_u32_e32 vcc, 0, v2
	v_xor_b32_e32 v2, vcc_hi, v50
	v_and_b32_e32 v50, exec_hi, v2
	v_lshlrev_b32_e32 v2, 30, v3
	v_xor_b32_e32 v4, vcc_lo, v4
	v_cmp_gt_i64_e32 vcc, 0, v[1:2]
	v_not_b32_e32 v2, v2
	v_ashrrev_i32_e32 v2, 31, v2
	v_and_b32_e32 v4, exec_lo, v4
	v_xor_b32_e32 v51, vcc_hi, v2
	v_xor_b32_e32 v2, vcc_lo, v2
	v_and_b32_e32 v4, v4, v2
	v_lshlrev_b32_e32 v2, 29, v3
	v_cmp_gt_i64_e32 vcc, 0, v[1:2]
	v_not_b32_e32 v2, v2
	v_ashrrev_i32_e32 v2, 31, v2
	v_and_b32_e32 v50, v50, v51
	v_xor_b32_e32 v51, vcc_hi, v2
	v_xor_b32_e32 v2, vcc_lo, v2
	v_and_b32_e32 v4, v4, v2
	v_lshlrev_b32_e32 v2, 28, v3
	v_cmp_gt_i64_e32 vcc, 0, v[1:2]
	v_not_b32_e32 v2, v2
	v_ashrrev_i32_e32 v2, 31, v2
	v_and_b32_e32 v50, v50, v51
	;; [unrolled: 8-line block ×5, first 2 shown]
	v_xor_b32_e32 v51, vcc_hi, v2
	v_xor_b32_e32 v2, vcc_lo, v2
	v_and_b32_e32 v4, v4, v2
	v_lshlrev_b32_e32 v2, 24, v3
	v_cmp_gt_i64_e32 vcc, 0, v[1:2]
	v_not_b32_e32 v1, v2
	v_ashrrev_i32_e32 v1, 31, v1
	v_xor_b32_e32 v2, vcc_hi, v1
	v_xor_b32_e32 v1, vcc_lo, v1
	ds_read_b32 v49, v28 offset:16
	v_and_b32_e32 v50, v50, v51
	v_and_b32_e32 v1, v4, v1
	;; [unrolled: 1-line block ×3, first 2 shown]
	v_mbcnt_lo_u32_b32 v3, v1, 0
	v_mbcnt_hi_u32_b32 v51, v2, v3
	v_cmp_ne_u64_e32 vcc, 0, v[1:2]
	v_cmp_eq_u32_e64 s[0:1], 0, v51
	s_and_b64 s[2:3], vcc, s[0:1]
	; wave barrier
	s_and_saveexec_b64 s[0:1], s[2:3]
	s_cbranch_execz .LBB138_173
; %bb.172:
	v_bcnt_u32_b32 v1, v1, 0
	v_bcnt_u32_b32 v1, v2, v1
	s_waitcnt lgkmcnt(0)
	v_add_u32_e32 v1, v49, v1
	ds_write_b32 v28, v1 offset:16
.LBB138_173:
	s_or_b64 exec, exec, s[0:1]
	v_bfrev_b32_e32 v4, 1
	v_cmp_lt_i32_e32 vcc, -1, v23
	v_cndmask_b32_e32 v1, -1, v4, vcc
	v_xor_b32_e32 v50, v1, v23
	s_brev_b32 s2, -2
	v_cmp_ne_u32_e32 vcc, s2, v50
	v_cndmask_b32_e32 v1, v4, v50, vcc
	v_lshrrev_b32_e32 v1, s68, v1
	v_and_b32_e32 v3, s9, v1
	v_mul_lo_u32 v1, v3, 20
	v_and_b32_e32 v2, 1, v3
	v_add_co_u32_e32 v52, vcc, -1, v2
	v_addc_co_u32_e64 v54, s[0:1], 0, -1, vcc
	v_cmp_ne_u32_e32 vcc, 0, v2
	v_xor_b32_e32 v2, vcc_hi, v54
	v_lshl_add_u32 v23, v19, 2, v1
	v_mov_b32_e32 v1, 0
	v_and_b32_e32 v54, exec_hi, v2
	v_lshlrev_b32_e32 v2, 30, v3
	v_xor_b32_e32 v52, vcc_lo, v52
	v_cmp_gt_i64_e32 vcc, 0, v[1:2]
	v_not_b32_e32 v2, v2
	v_ashrrev_i32_e32 v2, 31, v2
	v_and_b32_e32 v52, exec_lo, v52
	v_xor_b32_e32 v55, vcc_hi, v2
	v_xor_b32_e32 v2, vcc_lo, v2
	v_and_b32_e32 v52, v52, v2
	v_lshlrev_b32_e32 v2, 29, v3
	v_cmp_gt_i64_e32 vcc, 0, v[1:2]
	v_not_b32_e32 v2, v2
	v_ashrrev_i32_e32 v2, 31, v2
	v_and_b32_e32 v54, v54, v55
	v_xor_b32_e32 v55, vcc_hi, v2
	v_xor_b32_e32 v2, vcc_lo, v2
	v_and_b32_e32 v52, v52, v2
	v_lshlrev_b32_e32 v2, 28, v3
	v_cmp_gt_i64_e32 vcc, 0, v[1:2]
	v_not_b32_e32 v2, v2
	v_ashrrev_i32_e32 v2, 31, v2
	v_and_b32_e32 v54, v54, v55
	;; [unrolled: 8-line block ×5, first 2 shown]
	v_xor_b32_e32 v55, vcc_hi, v2
	v_xor_b32_e32 v2, vcc_lo, v2
	v_and_b32_e32 v52, v52, v2
	v_lshlrev_b32_e32 v2, 24, v3
	v_cmp_gt_i64_e32 vcc, 0, v[1:2]
	v_not_b32_e32 v2, v2
	v_ashrrev_i32_e32 v2, 31, v2
	v_xor_b32_e32 v3, vcc_hi, v2
	v_xor_b32_e32 v2, vcc_lo, v2
	; wave barrier
	ds_read_b32 v53, v23 offset:16
	v_and_b32_e32 v54, v54, v55
	v_and_b32_e32 v2, v52, v2
	;; [unrolled: 1-line block ×3, first 2 shown]
	v_mbcnt_lo_u32_b32 v52, v2, 0
	v_mbcnt_hi_u32_b32 v55, v3, v52
	v_cmp_ne_u64_e32 vcc, 0, v[2:3]
	v_cmp_eq_u32_e64 s[0:1], 0, v55
	s_and_b64 s[4:5], vcc, s[0:1]
	; wave barrier
	s_and_saveexec_b64 s[0:1], s[4:5]
	s_cbranch_execz .LBB138_175
; %bb.174:
	v_bcnt_u32_b32 v2, v2, 0
	v_bcnt_u32_b32 v2, v3, v2
	s_waitcnt lgkmcnt(0)
	v_add_u32_e32 v2, v53, v2
	ds_write_b32 v23, v2 offset:16
.LBB138_175:
	s_or_b64 exec, exec, s[0:1]
	v_cmp_lt_i32_e32 vcc, -1, v17
	v_cndmask_b32_e32 v2, -1, v4, vcc
	v_xor_b32_e32 v54, v2, v17
	v_cmp_ne_u32_e32 vcc, s2, v54
	v_cndmask_b32_e32 v2, v4, v54, vcc
	v_lshrrev_b32_e32 v2, s68, v2
	v_and_b32_e32 v3, s9, v2
	v_mul_lo_u32 v2, v3, 20
	; wave barrier
	v_lshl_add_u32 v17, v19, 2, v2
	v_and_b32_e32 v2, 1, v3
	v_add_co_u32_e32 v4, vcc, -1, v2
	v_addc_co_u32_e64 v19, s[0:1], 0, -1, vcc
	v_cmp_ne_u32_e32 vcc, 0, v2
	v_xor_b32_e32 v2, vcc_hi, v19
	v_and_b32_e32 v19, exec_hi, v2
	v_lshlrev_b32_e32 v2, 30, v3
	v_xor_b32_e32 v4, vcc_lo, v4
	v_cmp_gt_i64_e32 vcc, 0, v[1:2]
	v_not_b32_e32 v2, v2
	v_ashrrev_i32_e32 v2, 31, v2
	v_and_b32_e32 v4, exec_lo, v4
	v_xor_b32_e32 v52, vcc_hi, v2
	v_xor_b32_e32 v2, vcc_lo, v2
	v_and_b32_e32 v4, v4, v2
	v_lshlrev_b32_e32 v2, 29, v3
	v_cmp_gt_i64_e32 vcc, 0, v[1:2]
	v_not_b32_e32 v2, v2
	v_ashrrev_i32_e32 v2, 31, v2
	v_and_b32_e32 v19, v19, v52
	v_xor_b32_e32 v52, vcc_hi, v2
	v_xor_b32_e32 v2, vcc_lo, v2
	v_and_b32_e32 v4, v4, v2
	v_lshlrev_b32_e32 v2, 28, v3
	v_cmp_gt_i64_e32 vcc, 0, v[1:2]
	v_not_b32_e32 v2, v2
	v_ashrrev_i32_e32 v2, 31, v2
	v_and_b32_e32 v19, v19, v52
	;; [unrolled: 8-line block ×5, first 2 shown]
	v_xor_b32_e32 v52, vcc_hi, v2
	v_xor_b32_e32 v2, vcc_lo, v2
	v_and_b32_e32 v4, v4, v2
	v_lshlrev_b32_e32 v2, 24, v3
	v_cmp_gt_i64_e32 vcc, 0, v[1:2]
	v_not_b32_e32 v1, v2
	v_ashrrev_i32_e32 v1, 31, v1
	v_xor_b32_e32 v2, vcc_hi, v1
	v_xor_b32_e32 v1, vcc_lo, v1
	ds_read_b32 v56, v17 offset:16
	v_and_b32_e32 v19, v19, v52
	v_and_b32_e32 v1, v4, v1
	;; [unrolled: 1-line block ×3, first 2 shown]
	v_mbcnt_lo_u32_b32 v3, v1, 0
	v_mbcnt_hi_u32_b32 v57, v2, v3
	v_cmp_ne_u64_e32 vcc, 0, v[1:2]
	v_cmp_eq_u32_e64 s[0:1], 0, v57
	s_and_b64 s[2:3], vcc, s[0:1]
	; wave barrier
	s_and_saveexec_b64 s[0:1], s[2:3]
	s_cbranch_execz .LBB138_177
; %bb.176:
	v_bcnt_u32_b32 v1, v1, 0
	v_bcnt_u32_b32 v1, v2, v1
	s_waitcnt lgkmcnt(0)
	v_add_u32_e32 v1, v56, v1
	ds_write_b32 v17, v1 offset:16
.LBB138_177:
	s_or_b64 exec, exec, s[0:1]
	; wave barrier
	s_waitcnt lgkmcnt(0)
	s_barrier
	ds_read2_b32 v[3:4], v6 offset0:4 offset1:5
	ds_read2_b32 v[1:2], v6 offset0:6 offset1:7
	ds_read_b32 v19, v6 offset:32
	v_min_u32_e32 v9, 0xc0, v9
	v_or_b32_e32 v9, 63, v9
	s_waitcnt lgkmcnt(1)
	v_add3_u32 v52, v4, v3, v1
	s_waitcnt lgkmcnt(0)
	v_add3_u32 v19, v52, v2, v19
	v_and_b32_e32 v52, 15, v8
	v_cmp_ne_u32_e32 vcc, 0, v52
	v_mov_b32_dpp v58, v19 row_shr:1 row_mask:0xf bank_mask:0xf
	v_cndmask_b32_e32 v58, 0, v58, vcc
	v_add_u32_e32 v19, v58, v19
	v_cmp_lt_u32_e32 vcc, 1, v52
	s_nop 0
	v_mov_b32_dpp v58, v19 row_shr:2 row_mask:0xf bank_mask:0xf
	v_cndmask_b32_e32 v58, 0, v58, vcc
	v_add_u32_e32 v19, v19, v58
	v_cmp_lt_u32_e32 vcc, 3, v52
	s_nop 0
	;; [unrolled: 5-line block ×3, first 2 shown]
	v_mov_b32_dpp v58, v19 row_shr:8 row_mask:0xf bank_mask:0xf
	v_cndmask_b32_e32 v52, 0, v58, vcc
	v_add_u32_e32 v19, v19, v52
	v_bfe_i32 v58, v8, 4, 1
	v_cmp_lt_u32_e32 vcc, 31, v8
	v_mov_b32_dpp v52, v19 row_bcast:15 row_mask:0xf bank_mask:0xf
	v_and_b32_e32 v52, v58, v52
	v_add_u32_e32 v19, v19, v52
	v_lshrrev_b32_e32 v58, 6, v0
	s_nop 0
	v_mov_b32_dpp v52, v19 row_bcast:31 row_mask:0xf bank_mask:0xf
	v_cndmask_b32_e32 v52, 0, v52, vcc
	v_add_u32_e32 v19, v19, v52
	v_cmp_eq_u32_e32 vcc, v0, v9
	s_and_saveexec_b64 s[0:1], vcc
; %bb.178:
	v_lshlrev_b32_e32 v9, 2, v58
	ds_write_b32 v9, v19
; %bb.179:
	s_or_b64 exec, exec, s[0:1]
	v_cmp_gt_u32_e32 vcc, 4, v0
	v_lshlrev_b32_e32 v52, 2, v0
	s_waitcnt lgkmcnt(0)
	s_barrier
	s_and_saveexec_b64 s[0:1], vcc
	s_cbranch_execz .LBB138_181
; %bb.180:
	ds_read_b32 v9, v52
	v_and_b32_e32 v59, 3, v8
	v_cmp_ne_u32_e32 vcc, 0, v59
	s_waitcnt lgkmcnt(0)
	v_mov_b32_dpp v60, v9 row_shr:1 row_mask:0xf bank_mask:0xf
	v_cndmask_b32_e32 v60, 0, v60, vcc
	v_add_u32_e32 v9, v60, v9
	v_cmp_lt_u32_e32 vcc, 1, v59
	s_nop 0
	v_mov_b32_dpp v60, v9 row_shr:2 row_mask:0xf bank_mask:0xf
	v_cndmask_b32_e32 v59, 0, v60, vcc
	v_add_u32_e32 v9, v9, v59
	ds_write_b32 v52, v9
.LBB138_181:
	s_or_b64 exec, exec, s[0:1]
	v_cmp_lt_u32_e32 vcc, 63, v0
	v_mov_b32_e32 v9, 0
	s_waitcnt lgkmcnt(0)
	s_barrier
	s_and_saveexec_b64 s[0:1], vcc
; %bb.182:
	v_lshl_add_u32 v9, v58, 2, -4
	ds_read_b32 v9, v9
; %bb.183:
	s_or_b64 exec, exec, s[0:1]
	v_add_u32_e32 v58, -1, v8
	v_and_b32_e32 v59, 64, v8
	v_cmp_lt_i32_e32 vcc, v58, v59
	v_cndmask_b32_e32 v58, v58, v8, vcc
	s_waitcnt lgkmcnt(0)
	v_add_u32_e32 v19, v9, v19
	v_lshlrev_b32_e32 v58, 2, v58
	ds_bpermute_b32 v19, v58, v19
	v_cmp_eq_u32_e32 vcc, 0, v8
	s_movk_i32 s0, 0x100
	s_waitcnt lgkmcnt(0)
	v_cndmask_b32_e32 v9, v19, v9, vcc
	v_cmp_ne_u32_e32 vcc, 0, v0
	v_cndmask_b32_e32 v9, 0, v9, vcc
	v_add_u32_e32 v3, v9, v3
	v_add_u32_e32 v4, v3, v4
	;; [unrolled: 1-line block ×4, first 2 shown]
	ds_write2_b32 v6, v9, v3 offset0:4 offset1:5
	ds_write2_b32 v6, v4, v1 offset0:6 offset1:7
	ds_write_b32 v6, v2 offset:32
	s_waitcnt lgkmcnt(0)
	s_barrier
	ds_read_b32 v2, v43 offset:16
	ds_read_b32 v3, v46 offset:16
	;; [unrolled: 1-line block ×13, first 2 shown]
	v_add_u32_e32 v6, 1, v0
	v_cmp_ne_u32_e32 vcc, s0, v6
	v_mov_b32_e32 v1, 0xc00
	s_and_saveexec_b64 s[0:1], vcc
; %bb.184:
	v_mul_u32_u24_e32 v1, 20, v6
	ds_read_b32 v1, v1 offset:16
; %bb.185:
	s_or_b64 exec, exec, s[0:1]
	s_waitcnt lgkmcnt(7)
	v_add_u32_e32 v28, v10, v11
	s_waitcnt lgkmcnt(6)
	v_add3_u32 v25, v15, v13, v14
	s_waitcnt lgkmcnt(5)
	v_add3_u32 v23, v22, v18, v17
	v_add3_u32 v17, v44, v42, v2
	v_lshlrev_b32_e32 v2, 2, v28
	s_waitcnt lgkmcnt(0)
	s_barrier
	ds_write_b32 v2, v5 offset:2048
	v_lshlrev_b32_e32 v2, 2, v25
	v_add3_u32 v22, v26, v24, v19
	ds_write_b32 v2, v12 offset:2048
	v_lshlrev_b32_e32 v2, 2, v23
	v_add3_u32 v20, v32, v29, v20
	;; [unrolled: 3-line block ×4, first 2 shown]
	ds_write_b32 v2, v27 offset:2048
	v_lshlrev_b32_e32 v2, 2, v19
	ds_write_b32 v2, v31 offset:2048
	v_lshlrev_b32_e32 v2, 2, v18
	v_add3_u32 v15, v48, v45, v3
	ds_write_b32 v2, v36 offset:2048
	v_lshlrev_b32_e32 v2, 2, v17
	v_add3_u32 v14, v51, v49, v4
	;; [unrolled: 3-line block ×4, first 2 shown]
	ds_write_b32 v2, v47 offset:2048
	v_lshlrev_b32_e32 v2, 2, v13
	ds_write_b32 v2, v50 offset:2048
	v_lshlrev_b32_e32 v2, 2, v11
	ds_write_b32 v2, v54 offset:2048
	v_sub_u32_e32 v10, v1, v9
	v_lshl_or_b32 v1, s6, 8, v0
	v_mov_b32_e32 v2, 0
	v_lshlrev_b64 v[3:4], 2, v[1:2]
	v_mov_b32_e32 v12, s73
	v_add_co_u32_e32 v3, vcc, s72, v3
	v_addc_co_u32_e32 v4, vcc, v12, v4, vcc
	v_or_b32_e32 v1, 2.0, v10
	s_mov_b64 s[0:1], 0
	s_brev_b32 s10, -4
	v_mov_b32_e32 v16, 0
	s_waitcnt lgkmcnt(0)
	s_barrier
	global_store_dword v[3:4], v1, off
                                        ; implicit-def: $sgpr2_sgpr3
	s_branch .LBB138_188
.LBB138_186:                            ;   in Loop: Header=BB138_188 Depth=1
	s_or_b64 exec, exec, s[4:5]
.LBB138_187:                            ;   in Loop: Header=BB138_188 Depth=1
	s_or_b64 exec, exec, s[2:3]
	v_and_b32_e32 v5, 0x3fffffff, v1
	v_add_u32_e32 v16, v5, v16
	v_cmp_gt_i32_e64 s[2:3], -2.0, v1
	s_and_b64 s[4:5], exec, s[2:3]
	s_or_b64 s[0:1], s[4:5], s[0:1]
	s_andn2_b64 exec, exec, s[0:1]
	s_cbranch_execz .LBB138_193
.LBB138_188:                            ; =>This Loop Header: Depth=1
                                        ;     Child Loop BB138_191 Depth 2
	s_or_b64 s[2:3], s[2:3], exec
	s_cmp_eq_u32 s7, 0
	s_cbranch_scc1 .LBB138_192
; %bb.189:                              ;   in Loop: Header=BB138_188 Depth=1
	s_add_i32 s7, s7, -1
	v_lshl_or_b32 v1, s7, 8, v0
	v_lshlrev_b64 v[5:6], 2, v[1:2]
	v_add_co_u32_e32 v5, vcc, s72, v5
	v_addc_co_u32_e32 v6, vcc, v12, v6, vcc
	global_load_dword v1, v[5:6], off glc
	s_waitcnt vmcnt(0)
	v_cmp_gt_u32_e32 vcc, 2.0, v1
	s_and_saveexec_b64 s[2:3], vcc
	s_cbranch_execz .LBB138_187
; %bb.190:                              ;   in Loop: Header=BB138_188 Depth=1
	s_mov_b64 s[4:5], 0
.LBB138_191:                            ;   Parent Loop BB138_188 Depth=1
                                        ; =>  This Inner Loop Header: Depth=2
	global_load_dword v1, v[5:6], off glc
	s_waitcnt vmcnt(0)
	v_cmp_lt_u32_e32 vcc, s10, v1
	s_or_b64 s[4:5], vcc, s[4:5]
	s_andn2_b64 exec, exec, s[4:5]
	s_cbranch_execnz .LBB138_191
	s_branch .LBB138_186
.LBB138_192:                            ;   in Loop: Header=BB138_188 Depth=1
                                        ; implicit-def: $sgpr7
	s_and_b64 s[4:5], exec, s[2:3]
	s_or_b64 s[0:1], s[4:5], s[0:1]
	s_andn2_b64 exec, exec, s[0:1]
	s_cbranch_execnz .LBB138_188
.LBB138_193:
	s_or_b64 exec, exec, s[0:1]
	v_add_u32_e32 v2, v16, v10
	v_or_b32_e32 v2, 0x80000000, v2
	v_lshlrev_b32_e32 v1, 3, v0
	global_store_dword v[3:4], v2, off
	global_load_dwordx2 v[2:3], v1, s[64:65]
	v_sub_co_u32_e32 v4, vcc, v16, v9
	v_subb_co_u32_e64 v5, s[0:1], 0, 0, vcc
	v_sub_u32_e32 v21, v1, v52
	s_brev_b32 s0, -2
	v_bfrev_b32_e32 v12, 1
	v_mov_b32_e32 v6, s59
	v_mov_b32_e32 v16, s59
	;; [unrolled: 1-line block ×4, first 2 shown]
	v_or_b32_e32 v65, 0x500, v0
	v_or_b32_e32 v66, 0x600, v0
	;; [unrolled: 1-line block ×3, first 2 shown]
	v_lshlrev_b32_e32 v7, 3, v7
	v_or_b32_e32 v68, 0x800, v0
	v_lshlrev_b32_e32 v55, 2, v68
	s_waitcnt vmcnt(0)
	v_add_co_u32_e32 v2, vcc, v4, v2
	v_addc_co_u32_e32 v3, vcc, v5, v3, vcc
	ds_write_b64 v1, v[2:3]
	s_waitcnt lgkmcnt(0)
	s_barrier
	ds_read2st64_b32 v[2:3], v21 offset0:8 offset1:12
	ds_read2st64_b32 v[4:5], v21 offset0:16 offset1:20
	;; [unrolled: 1-line block ×3, first 2 shown]
	s_waitcnt lgkmcnt(2)
	v_cmp_ne_u32_e32 vcc, s0, v2
	v_cndmask_b32_e32 v29, v12, v2, vcc
	v_cmp_lt_i32_e32 vcc, -1, v2
	v_cndmask_b32_e64 v30, v12, -1, vcc
	v_cmp_ne_u32_e32 vcc, s0, v3
	v_cndmask_b32_e32 v31, v12, v3, vcc
	v_cmp_lt_i32_e32 vcc, -1, v3
	v_cndmask_b32_e64 v32, v12, -1, vcc
	s_waitcnt lgkmcnt(1)
	v_cmp_ne_u32_e32 vcc, s0, v4
	v_cndmask_b32_e32 v33, v12, v4, vcc
	v_cmp_lt_i32_e32 vcc, -1, v4
	v_cndmask_b32_e64 v34, v12, -1, vcc
	v_cmp_ne_u32_e32 vcc, s0, v5
	v_cndmask_b32_e32 v36, v12, v5, vcc
	v_lshrrev_b32_e32 v29, s68, v29
	v_xor_b32_e32 v38, v30, v2
	v_lshrrev_b32_e32 v2, s68, v31
	v_xor_b32_e32 v39, v32, v3
	;; [unrolled: 2-line block ×3, first 2 shown]
	v_lshrrev_b32_e32 v4, s68, v36
	v_and_b32_e32 v29, s9, v29
	v_and_b32_e32 v2, s9, v2
	;; [unrolled: 1-line block ×4, first 2 shown]
	v_lshlrev_b32_e32 v57, 3, v29
	v_lshlrev_b32_e32 v58, 3, v2
	;; [unrolled: 1-line block ×4, first 2 shown]
	ds_read_b64 v[2:3], v57
	ds_read_b64 v[29:30], v58
	;; [unrolled: 1-line block ×4, first 2 shown]
	v_cmp_lt_i32_e32 vcc, -1, v5
	s_waitcnt lgkmcnt(3)
	v_lshlrev_b64 v[2:3], 2, v[2:3]
	v_cndmask_b32_e64 v37, v12, -1, vcc
	v_xor_b32_e32 v36, v37, v5
	s_waitcnt lgkmcnt(2)
	v_lshlrev_b64 v[4:5], 2, v[29:30]
	v_add_co_u32_e32 v2, vcc, s58, v2
	v_addc_co_u32_e32 v3, vcc, v6, v3, vcc
	s_waitcnt lgkmcnt(1)
	v_lshlrev_b64 v[29:30], 2, v[31:32]
	v_add_co_u32_e32 v4, vcc, s58, v4
	v_addc_co_u32_e32 v5, vcc, v16, v5, vcc
	;; [unrolled: 4-line block ×3, first 2 shown]
	v_add_co_u32_e32 v24, vcc, s58, v31
	v_addc_co_u32_e32 v32, vcc, v35, v32, vcc
	v_add_co_u32_e32 v2, vcc, v2, v52
	v_addc_co_u32_e32 v3, vcc, 0, v3, vcc
	;; [unrolled: 2-line block ×5, first 2 shown]
	v_cmp_ne_u32_e32 vcc, s0, v26
	global_store_dword v[2:3], v38, off
	global_store_dword v[4:5], v39, off offset:1024
	global_store_dword v[29:30], v40, off offset:2048
	;; [unrolled: 1-line block ×3, first 2 shown]
	v_cndmask_b32_e32 v2, v12, v26, vcc
	v_lshrrev_b32_e32 v2, s68, v2
	v_and_b32_e32 v2, s9, v2
	v_cmp_lt_i32_e32 vcc, -1, v26
	v_cndmask_b32_e64 v3, v12, -1, vcc
	v_lshlrev_b32_e32 v61, 3, v2
	v_xor_b32_e32 v6, v3, v26
	ds_read_b64 v[2:3], v61
	ds_read2st64_b32 v[4:5], v21 offset0:32 offset1:36
	v_cmp_ne_u32_e32 vcc, s0, v27
	v_cndmask_b32_e32 v16, v12, v27, vcc
	v_lshrrev_b32_e32 v16, s68, v16
	v_and_b32_e32 v16, s9, v16
	s_waitcnt lgkmcnt(0)
	v_cmp_ne_u32_e32 vcc, s0, v4
	v_lshlrev_b32_e32 v62, 3, v16
	v_cndmask_b32_e32 v16, v12, v4, vcc
	v_lshrrev_b32_e32 v16, s68, v16
	v_and_b32_e32 v16, s9, v16
	v_cmp_ne_u32_e32 vcc, s0, v5
	v_lshlrev_b32_e32 v63, 3, v16
	v_cndmask_b32_e32 v16, v12, v5, vcc
	v_lshrrev_b32_e32 v16, s68, v16
	v_lshlrev_b64 v[2:3], 2, v[2:3]
	v_and_b32_e32 v16, s9, v16
	v_or_b32_e32 v24, 0x400, v0
	v_lshlrev_b32_e32 v64, 3, v16
	v_mov_b32_e32 v16, s59
	v_add_co_u32_e32 v2, vcc, s58, v2
	v_addc_co_u32_e32 v3, vcc, v16, v3, vcc
	v_lshlrev_b32_e32 v16, 2, v24
	v_add_co_u32_e32 v2, vcc, v2, v16
	ds_read_b64 v[29:30], v62
	ds_read_b64 v[31:32], v63
	;; [unrolled: 1-line block ×3, first 2 shown]
	v_addc_co_u32_e32 v3, vcc, 0, v3, vcc
	v_cmp_lt_i32_e32 vcc, -1, v27
	global_store_dword v[2:3], v6, off
	v_cndmask_b32_e64 v2, v12, -1, vcc
	v_xor_b32_e32 v6, v2, v27
	s_waitcnt lgkmcnt(2)
	v_lshlrev_b64 v[2:3], 2, v[29:30]
	v_mov_b32_e32 v16, s59
	v_add_co_u32_e32 v2, vcc, s58, v2
	v_addc_co_u32_e32 v3, vcc, v16, v3, vcc
	v_lshlrev_b32_e32 v16, 2, v65
	v_add_co_u32_e32 v2, vcc, v2, v16
	v_addc_co_u32_e32 v3, vcc, 0, v3, vcc
	v_cmp_lt_i32_e32 vcc, -1, v4
	global_store_dword v[2:3], v6, off
	v_cndmask_b32_e64 v2, v12, -1, vcc
	v_xor_b32_e32 v4, v2, v4
	s_waitcnt lgkmcnt(1)
	v_lshlrev_b64 v[2:3], 2, v[31:32]
	v_mov_b32_e32 v6, s59
	v_add_co_u32_e32 v2, vcc, s58, v2
	v_addc_co_u32_e32 v3, vcc, v6, v3, vcc
	v_lshlrev_b32_e32 v6, 2, v66
	v_add_co_u32_e32 v2, vcc, v2, v6
	v_addc_co_u32_e32 v3, vcc, 0, v3, vcc
	v_cmp_lt_i32_e32 vcc, -1, v5
	global_store_dword v[2:3], v4, off
	v_cndmask_b32_e64 v2, v12, -1, vcc
	v_xor_b32_e32 v6, v2, v5
	s_waitcnt lgkmcnt(0)
	v_lshlrev_b64 v[2:3], 2, v[33:34]
	v_mov_b32_e32 v4, s59
	v_add_co_u32_e32 v5, vcc, s58, v2
	v_addc_co_u32_e32 v16, vcc, v4, v3, vcc
	ds_read2st64_b32 v[2:3], v21 offset0:40 offset1:44
	v_lshlrev_b32_e32 v4, 2, v67
	v_add_co_u32_e32 v4, vcc, v5, v4
	v_addc_co_u32_e32 v5, vcc, 0, v16, vcc
	s_waitcnt lgkmcnt(0)
	v_cmp_ne_u32_e32 vcc, s0, v2
	global_store_dword v[4:5], v6, off
	v_cndmask_b32_e32 v4, v12, v2, vcc
	v_lshrrev_b32_e32 v4, s68, v4
	v_and_b32_e32 v4, s9, v4
	v_cmp_lt_i32_e32 vcc, -1, v2
	v_cndmask_b32_e64 v5, v12, -1, vcc
	v_lshlrev_b32_e32 v69, 3, v4
	v_xor_b32_e32 v2, v5, v2
	ds_read_b64 v[4:5], v69
	ds_read2st64_b32 v[26:27], v21 offset0:48 offset1:52
	v_cmp_ne_u32_e32 vcc, s0, v3
	v_cndmask_b32_e32 v6, v12, v3, vcc
	v_lshrrev_b32_e32 v6, s68, v6
	v_and_b32_e32 v6, s9, v6
	s_waitcnt lgkmcnt(0)
	v_cmp_ne_u32_e32 vcc, s0, v26
	v_lshlrev_b32_e32 v21, 3, v6
	v_cndmask_b32_e32 v6, v12, v26, vcc
	v_lshrrev_b32_e32 v6, s68, v6
	v_and_b32_e32 v6, s9, v6
	v_cmp_ne_u32_e32 vcc, s0, v27
	v_lshlrev_b32_e32 v70, 3, v6
	v_cndmask_b32_e32 v6, v12, v27, vcc
	v_lshrrev_b32_e32 v6, s68, v6
	s_lshl_b64 s[0:1], s[54:55], 3
	v_and_b32_e32 v6, s9, v6
	s_add_u32 s0, s60, s0
	v_lshlrev_b32_e32 v71, 3, v6
	s_addc_u32 s1, s61, s1
	v_lshlrev_b32_e32 v6, 3, v8
	v_mov_b32_e32 v8, s1
	v_add_co_u32_e32 v6, vcc, s0, v6
	v_addc_co_u32_e32 v8, vcc, 0, v8, vcc
	v_add_co_u32_e32 v6, vcc, v6, v7
	v_addc_co_u32_e32 v7, vcc, 0, v8, vcc
	ds_read_b64 v[29:30], v21
	ds_read_b64 v[31:32], v70
	;; [unrolled: 1-line block ×3, first 2 shown]
	global_load_dwordx2 v[35:36], v[6:7], off
	s_movk_i32 s0, 0x1000
	v_lshlrev_b64 v[4:5], 2, v[4:5]
	global_load_dwordx2 v[37:38], v[6:7], off offset:512
	global_load_dwordx2 v[39:40], v[6:7], off offset:1024
	;; [unrolled: 1-line block ×7, first 2 shown]
	v_add_co_u32_e32 v6, vcc, s0, v6
	v_addc_co_u32_e32 v7, vcc, 0, v7, vcc
	v_mov_b32_e32 v8, s59
	global_load_dwordx2 v[51:52], v[6:7], off
	global_load_dwordx2 v[53:54], v[6:7], off offset:512
	v_add_co_u32_e32 v16, vcc, s58, v4
	v_addc_co_u32_e32 v8, vcc, v8, v5, vcc
	global_load_dwordx2 v[4:5], v[6:7], off offset:1024
	v_add_co_u32_e32 v55, vcc, v16, v55
	global_load_dwordx2 v[6:7], v[6:7], off offset:1536
	v_addc_co_u32_e32 v56, vcc, 0, v8, vcc
	v_cmp_lt_i32_e32 vcc, -1, v3
	global_store_dword v[55:56], v2, off
	v_cndmask_b32_e64 v2, v12, -1, vcc
	v_xor_b32_e32 v16, v2, v3
	s_waitcnt lgkmcnt(2)
	v_lshlrev_b64 v[2:3], 2, v[29:30]
	v_or_b32_e32 v8, 0x900, v0
	v_mov_b32_e32 v29, s59
	v_add_co_u32_e32 v2, vcc, s58, v2
	v_addc_co_u32_e32 v3, vcc, v29, v3, vcc
	v_lshlrev_b32_e32 v29, 2, v8
	v_add_co_u32_e32 v2, vcc, v2, v29
	v_addc_co_u32_e32 v3, vcc, 0, v3, vcc
	v_cmp_lt_i32_e32 vcc, -1, v26
	global_store_dword v[2:3], v16, off
	v_cndmask_b32_e64 v2, v12, -1, vcc
	v_xor_b32_e32 v16, v2, v26
	s_waitcnt lgkmcnt(1)
	v_lshlrev_b64 v[2:3], 2, v[31:32]
	v_or_b32_e32 v29, 0xa00, v0
	v_mov_b32_e32 v26, s59
	v_add_co_u32_e32 v2, vcc, s58, v2
	v_addc_co_u32_e32 v3, vcc, v26, v3, vcc
	v_lshlrev_b32_e32 v26, 2, v29
	v_add_co_u32_e32 v2, vcc, v2, v26
	;; [unrolled: 13-line block ×3, first 2 shown]
	v_addc_co_u32_e32 v3, vcc, 0, v3, vcc
	global_store_dword v[2:3], v12, off
	v_lshlrev_b32_e32 v2, 3, v28
	s_waitcnt vmcnt(0)
	s_barrier
	v_lshlrev_b32_e32 v0, 3, v0
	s_add_i32 s8, s8, -1
	s_cmp_lg_u32 s6, s8
	ds_write_b64 v2, v[35:36] offset:2048
	v_lshlrev_b32_e32 v2, 3, v25
	ds_write_b64 v2, v[37:38] offset:2048
	v_lshlrev_b32_e32 v2, 3, v23
	;; [unrolled: 2-line block ×11, first 2 shown]
	ds_write_b64 v2, v[6:7] offset:2048
	s_waitcnt lgkmcnt(0)
	s_barrier
	ds_read_b64 v[6:7], v57
	ds_read2st64_b64 v[2:5], v1 offset0:4 offset1:8
	ds_read_b64 v[11:12], v58
	ds_read_b64 v[13:14], v59
	;; [unrolled: 1-line block ×3, first 2 shown]
	s_waitcnt lgkmcnt(4)
	v_lshlrev_b64 v[6:7], 3, v[6:7]
	v_mov_b32_e32 v17, s63
	v_add_co_u32_e32 v6, vcc, s62, v6
	v_addc_co_u32_e32 v7, vcc, v17, v7, vcc
	v_add_co_u32_e32 v6, vcc, v6, v1
	v_addc_co_u32_e32 v7, vcc, 0, v7, vcc
	s_waitcnt lgkmcnt(3)
	global_store_dwordx2 v[6:7], v[2:3], off
	s_waitcnt lgkmcnt(2)
	v_lshlrev_b64 v[2:3], 3, v[11:12]
	v_mov_b32_e32 v6, s63
	v_add_co_u32_e32 v2, vcc, s62, v2
	v_addc_co_u32_e32 v3, vcc, v6, v3, vcc
	v_add_co_u32_e32 v2, vcc, v2, v1
	v_addc_co_u32_e32 v3, vcc, 0, v3, vcc
	s_waitcnt lgkmcnt(1)
	v_lshlrev_b64 v[6:7], 3, v[13:14]
	global_store_dwordx2 v[2:3], v[4:5], off offset:2048
	ds_read2st64_b64 v[2:5], v1 offset0:12 offset1:16
	v_mov_b32_e32 v11, s63
	v_add_co_u32_e32 v6, vcc, s62, v6
	v_addc_co_u32_e32 v7, vcc, v11, v7, vcc
	v_or_b32_e32 v11, 0x1000, v1
	v_add_co_u32_e32 v6, vcc, v6, v11
	v_addc_co_u32_e32 v7, vcc, 0, v7, vcc
	s_waitcnt lgkmcnt(0)
	global_store_dwordx2 v[6:7], v[2:3], off
	v_lshlrev_b64 v[2:3], 3, v[15:16]
	v_mov_b32_e32 v6, s63
	v_add_co_u32_e32 v2, vcc, s62, v2
	v_addc_co_u32_e32 v3, vcc, v6, v3, vcc
	v_or_b32_e32 v6, 0x1800, v1
	v_add_co_u32_e32 v2, vcc, v2, v6
	v_addc_co_u32_e32 v3, vcc, 0, v3, vcc
	global_store_dwordx2 v[2:3], v[4:5], off
	ds_read_b64 v[6:7], v61
	ds_read2st64_b64 v[2:5], v1 offset0:20 offset1:24
	ds_read_b64 v[11:12], v62
	ds_read_b64 v[13:14], v63
	;; [unrolled: 1-line block ×3, first 2 shown]
	s_waitcnt lgkmcnt(4)
	v_lshlrev_b64 v[6:7], 3, v[6:7]
	v_add_co_u32_e32 v6, vcc, s62, v6
	v_addc_co_u32_e32 v7, vcc, v17, v7, vcc
	v_lshlrev_b32_e32 v17, 3, v24
	v_add_co_u32_e32 v6, vcc, v6, v17
	v_addc_co_u32_e32 v7, vcc, 0, v7, vcc
	s_waitcnt lgkmcnt(3)
	global_store_dwordx2 v[6:7], v[2:3], off
	s_waitcnt lgkmcnt(2)
	v_lshlrev_b64 v[2:3], 3, v[11:12]
	v_mov_b32_e32 v6, s63
	v_add_co_u32_e32 v2, vcc, s62, v2
	v_addc_co_u32_e32 v3, vcc, v6, v3, vcc
	v_lshlrev_b32_e32 v6, 3, v65
	v_add_co_u32_e32 v2, vcc, v2, v6
	v_addc_co_u32_e32 v3, vcc, 0, v3, vcc
	s_waitcnt lgkmcnt(1)
	v_lshlrev_b64 v[6:7], 3, v[13:14]
	global_store_dwordx2 v[2:3], v[4:5], off
	ds_read2st64_b64 v[2:5], v1 offset0:28 offset1:32
	v_mov_b32_e32 v11, s63
	v_add_co_u32_e32 v6, vcc, s62, v6
	v_addc_co_u32_e32 v7, vcc, v11, v7, vcc
	v_lshlrev_b32_e32 v11, 3, v66
	v_add_co_u32_e32 v6, vcc, v6, v11
	v_addc_co_u32_e32 v7, vcc, 0, v7, vcc
	s_waitcnt lgkmcnt(0)
	global_store_dwordx2 v[6:7], v[2:3], off
	v_lshlrev_b64 v[2:3], 3, v[15:16]
	v_mov_b32_e32 v6, s63
	v_add_co_u32_e32 v2, vcc, s62, v2
	v_addc_co_u32_e32 v3, vcc, v6, v3, vcc
	v_lshlrev_b32_e32 v6, 3, v67
	v_add_co_u32_e32 v2, vcc, v2, v6
	v_addc_co_u32_e32 v3, vcc, 0, v3, vcc
	global_store_dwordx2 v[2:3], v[4:5], off
	ds_read_b64 v[6:7], v69
	ds_read2st64_b64 v[2:5], v1 offset0:36 offset1:40
	ds_read_b64 v[11:12], v21
	ds_read_b64 v[13:14], v70
	;; [unrolled: 1-line block ×3, first 2 shown]
	s_waitcnt lgkmcnt(4)
	v_lshlrev_b64 v[6:7], 3, v[6:7]
	v_mov_b32_e32 v17, s63
	v_add_co_u32_e32 v6, vcc, s62, v6
	v_addc_co_u32_e32 v7, vcc, v17, v7, vcc
	v_lshlrev_b32_e32 v17, 3, v68
	v_add_co_u32_e32 v6, vcc, v6, v17
	v_addc_co_u32_e32 v7, vcc, 0, v7, vcc
	s_waitcnt lgkmcnt(3)
	global_store_dwordx2 v[6:7], v[2:3], off
	s_waitcnt lgkmcnt(2)
	v_lshlrev_b64 v[2:3], 3, v[11:12]
	v_mov_b32_e32 v6, s63
	v_add_co_u32_e32 v2, vcc, s62, v2
	v_addc_co_u32_e32 v3, vcc, v6, v3, vcc
	v_lshlrev_b32_e32 v6, 3, v8
	v_add_co_u32_e32 v2, vcc, v2, v6
	v_addc_co_u32_e32 v3, vcc, 0, v3, vcc
	s_waitcnt lgkmcnt(1)
	v_lshlrev_b64 v[6:7], 3, v[13:14]
	global_store_dwordx2 v[2:3], v[4:5], off
	ds_read2st64_b64 v[2:5], v1 offset0:44 offset1:48
	v_mov_b32_e32 v8, s63
	v_add_co_u32_e32 v6, vcc, s62, v6
	v_addc_co_u32_e32 v7, vcc, v8, v7, vcc
	v_lshlrev_b32_e32 v8, 3, v29
	v_add_co_u32_e32 v6, vcc, v6, v8
	v_addc_co_u32_e32 v7, vcc, 0, v7, vcc
	s_waitcnt lgkmcnt(0)
	global_store_dwordx2 v[6:7], v[2:3], off
	v_lshlrev_b64 v[2:3], 3, v[15:16]
	v_mov_b32_e32 v6, s63
	v_add_co_u32_e32 v2, vcc, s62, v2
	v_addc_co_u32_e32 v3, vcc, v6, v3, vcc
	v_add_co_u32_e32 v2, vcc, v2, v0
	v_addc_co_u32_e32 v3, vcc, 0, v3, vcc
	global_store_dwordx2 v[2:3], v[4:5], off
	s_cbranch_scc1 .LBB138_195
; %bb.194:
	ds_read_b64 v[2:3], v1
	v_add_co_u32_e32 v0, vcc, v10, v9
	v_addc_co_u32_e64 v4, s[0:1], 0, 0, vcc
	s_waitcnt lgkmcnt(0)
	v_add_co_u32_e32 v2, vcc, v0, v2
	v_addc_co_u32_e32 v3, vcc, v4, v3, vcc
	global_store_dwordx2 v1, v[2:3], s[66:67]
.LBB138_195:
	s_endpgm
.LBB138_196:
	s_or_b64 exec, exec, s[0:1]
	s_and_saveexec_b64 s[0:1], s[26:27]
	s_cbranch_execz .LBB138_139
.LBB138_197:
	v_lshlrev_b32_e32 v3, 3, v60
	ds_read_b64 v[3:4], v3
	ds_read_b64 v[5:6], v32 offset:4096
	v_mov_b32_e32 v7, s63
	s_waitcnt lgkmcnt(1)
	v_lshlrev_b64 v[3:4], 3, v[3:4]
	v_add_co_u32_e32 v3, vcc, s62, v3
	v_addc_co_u32_e32 v4, vcc, v7, v4, vcc
	v_add_co_u32_e32 v3, vcc, v3, v32
	v_addc_co_u32_e32 v4, vcc, 0, v4, vcc
	s_waitcnt lgkmcnt(0)
	global_store_dwordx2 v[3:4], v[5:6], off offset:2048
	s_or_b64 exec, exec, s[0:1]
	s_and_saveexec_b64 s[0:1], s[28:29]
	s_cbranch_execnz .LBB138_140
.LBB138_198:
	s_or_b64 exec, exec, s[0:1]
	s_and_saveexec_b64 s[0:1], s[30:31]
	s_cbranch_execz .LBB138_141
.LBB138_199:
	v_lshlrev_b32_e32 v3, 3, v58
	ds_read_b64 v[3:4], v3
	ds_read_b64 v[5:6], v32 offset:8192
	v_mov_b32_e32 v7, s63
	s_waitcnt lgkmcnt(1)
	v_lshlrev_b64 v[3:4], 3, v[3:4]
	v_add_co_u32_e32 v3, vcc, s62, v3
	v_addc_co_u32_e32 v4, vcc, v7, v4, vcc
	v_lshlrev_b32_e32 v7, 3, v46
	v_add_co_u32_e32 v3, vcc, v3, v7
	v_addc_co_u32_e32 v4, vcc, 0, v4, vcc
	s_waitcnt lgkmcnt(0)
	global_store_dwordx2 v[3:4], v[5:6], off
	s_or_b64 exec, exec, s[0:1]
	s_and_saveexec_b64 s[0:1], s[34:35]
	s_cbranch_execnz .LBB138_142
.LBB138_200:
	s_or_b64 exec, exec, s[0:1]
	s_and_saveexec_b64 s[0:1], s[36:37]
	s_cbranch_execz .LBB138_143
.LBB138_201:
	v_lshlrev_b32_e32 v3, 3, v56
	ds_read_b64 v[3:4], v3
	ds_read_b64 v[5:6], v32 offset:12288
	v_mov_b32_e32 v7, s63
	s_waitcnt lgkmcnt(1)
	v_lshlrev_b64 v[3:4], 3, v[3:4]
	v_add_co_u32_e32 v3, vcc, s62, v3
	v_addc_co_u32_e32 v4, vcc, v7, v4, vcc
	v_lshlrev_b32_e32 v7, 3, v48
	v_add_co_u32_e32 v3, vcc, v3, v7
	v_addc_co_u32_e32 v4, vcc, 0, v4, vcc
	s_waitcnt lgkmcnt(0)
	global_store_dwordx2 v[3:4], v[5:6], off
	s_or_b64 exec, exec, s[0:1]
	s_and_saveexec_b64 s[0:1], s[38:39]
	s_cbranch_execnz .LBB138_144
.LBB138_202:
	s_or_b64 exec, exec, s[0:1]
	s_and_saveexec_b64 s[0:1], s[40:41]
	s_cbranch_execz .LBB138_145
.LBB138_203:
	v_lshlrev_b32_e32 v3, 3, v55
	ds_read_b64 v[3:4], v3
	ds_read_b64 v[5:6], v32 offset:16384
	v_mov_b32_e32 v7, s63
	s_waitcnt lgkmcnt(1)
	v_lshlrev_b64 v[3:4], 3, v[3:4]
	v_add_co_u32_e32 v3, vcc, s62, v3
	v_addc_co_u32_e32 v4, vcc, v7, v4, vcc
	v_lshlrev_b32_e32 v7, 3, v50
	v_add_co_u32_e32 v3, vcc, v3, v7
	v_addc_co_u32_e32 v4, vcc, 0, v4, vcc
	s_waitcnt lgkmcnt(0)
	global_store_dwordx2 v[3:4], v[5:6], off
	s_or_b64 exec, exec, s[0:1]
	s_and_saveexec_b64 s[0:1], s[42:43]
	s_cbranch_execnz .LBB138_146
.LBB138_204:
	s_or_b64 exec, exec, s[0:1]
	s_and_saveexec_b64 s[0:1], s[44:45]
	s_cbranch_execz .LBB138_147
.LBB138_205:
	v_lshlrev_b32_e32 v3, 3, v28
	ds_read_b64 v[3:4], v3
	ds_read_b64 v[5:6], v32 offset:20480
	v_mov_b32_e32 v7, s63
	s_waitcnt lgkmcnt(1)
	v_lshlrev_b64 v[3:4], 3, v[3:4]
	v_add_co_u32_e32 v3, vcc, s62, v3
	v_addc_co_u32_e32 v4, vcc, v7, v4, vcc
	v_lshlrev_b32_e32 v7, 3, v52
	v_add_co_u32_e32 v3, vcc, v3, v7
	v_addc_co_u32_e32 v4, vcc, 0, v4, vcc
	s_waitcnt lgkmcnt(0)
	global_store_dwordx2 v[3:4], v[5:6], off
	s_or_b64 exec, exec, s[0:1]
	s_and_saveexec_b64 s[0:1], s[46:47]
	s_cbranch_execnz .LBB138_148
.LBB138_206:
	s_or_b64 exec, exec, s[0:1]
	s_and_saveexec_b64 s[0:1], s[48:49]
	s_cbranch_execz .LBB138_149
.LBB138_207:
	v_lshlrev_b32_e32 v3, 3, v27
	ds_read_b64 v[3:4], v3
	ds_read_b64 v[5:6], v32 offset:24576
	v_mov_b32_e32 v7, s63
	s_waitcnt lgkmcnt(1)
	v_lshlrev_b64 v[3:4], 3, v[3:4]
	v_add_co_u32_e32 v3, vcc, s62, v3
	v_addc_co_u32_e32 v4, vcc, v7, v4, vcc
	v_lshlrev_b32_e32 v7, 3, v54
	v_add_co_u32_e32 v3, vcc, v3, v7
	v_addc_co_u32_e32 v4, vcc, 0, v4, vcc
	s_waitcnt lgkmcnt(0)
	global_store_dwordx2 v[3:4], v[5:6], off
	s_or_b64 exec, exec, s[0:1]
	s_add_i32 s33, s33, -1
	s_cmp_eq_u32 s6, s33
	s_cbranch_scc1 .LBB138_150
	s_branch .LBB138_151
	.section	.rodata,"a",@progbits
	.p2align	6, 0x0
	.amdhsa_kernel _ZN7rocprim17ROCPRIM_304000_NS6detail25onesweep_iteration_kernelINS1_34wrapped_radix_sort_onesweep_configINS0_14default_configEfN2at4cuda3cub6detail10OpaqueTypeILi8EEEEELb0EPKfPfPKSA_PSA_mNS0_19identity_decomposerEEEvT1_T2_T3_T4_jPT5_SO_PNS1_23onesweep_lookback_stateET6_jjj
		.amdhsa_group_segment_fixed_size 26624
		.amdhsa_private_segment_fixed_size 0
		.amdhsa_kernarg_size 336
		.amdhsa_user_sgpr_count 6
		.amdhsa_user_sgpr_private_segment_buffer 1
		.amdhsa_user_sgpr_dispatch_ptr 0
		.amdhsa_user_sgpr_queue_ptr 0
		.amdhsa_user_sgpr_kernarg_segment_ptr 1
		.amdhsa_user_sgpr_dispatch_id 0
		.amdhsa_user_sgpr_flat_scratch_init 0
		.amdhsa_user_sgpr_private_segment_size 0
		.amdhsa_uses_dynamic_stack 0
		.amdhsa_system_sgpr_private_segment_wavefront_offset 0
		.amdhsa_system_sgpr_workgroup_id_x 1
		.amdhsa_system_sgpr_workgroup_id_y 0
		.amdhsa_system_sgpr_workgroup_id_z 0
		.amdhsa_system_sgpr_workgroup_info 0
		.amdhsa_system_vgpr_workitem_id 2
		.amdhsa_next_free_vgpr 85
		.amdhsa_next_free_sgpr 98
		.amdhsa_reserve_vcc 1
		.amdhsa_reserve_flat_scratch 0
		.amdhsa_float_round_mode_32 0
		.amdhsa_float_round_mode_16_64 0
		.amdhsa_float_denorm_mode_32 3
		.amdhsa_float_denorm_mode_16_64 3
		.amdhsa_dx10_clamp 1
		.amdhsa_ieee_mode 1
		.amdhsa_fp16_overflow 0
		.amdhsa_exception_fp_ieee_invalid_op 0
		.amdhsa_exception_fp_denorm_src 0
		.amdhsa_exception_fp_ieee_div_zero 0
		.amdhsa_exception_fp_ieee_overflow 0
		.amdhsa_exception_fp_ieee_underflow 0
		.amdhsa_exception_fp_ieee_inexact 0
		.amdhsa_exception_int_div_zero 0
	.end_amdhsa_kernel
	.section	.text._ZN7rocprim17ROCPRIM_304000_NS6detail25onesweep_iteration_kernelINS1_34wrapped_radix_sort_onesweep_configINS0_14default_configEfN2at4cuda3cub6detail10OpaqueTypeILi8EEEEELb0EPKfPfPKSA_PSA_mNS0_19identity_decomposerEEEvT1_T2_T3_T4_jPT5_SO_PNS1_23onesweep_lookback_stateET6_jjj,"axG",@progbits,_ZN7rocprim17ROCPRIM_304000_NS6detail25onesweep_iteration_kernelINS1_34wrapped_radix_sort_onesweep_configINS0_14default_configEfN2at4cuda3cub6detail10OpaqueTypeILi8EEEEELb0EPKfPfPKSA_PSA_mNS0_19identity_decomposerEEEvT1_T2_T3_T4_jPT5_SO_PNS1_23onesweep_lookback_stateET6_jjj,comdat
.Lfunc_end138:
	.size	_ZN7rocprim17ROCPRIM_304000_NS6detail25onesweep_iteration_kernelINS1_34wrapped_radix_sort_onesweep_configINS0_14default_configEfN2at4cuda3cub6detail10OpaqueTypeILi8EEEEELb0EPKfPfPKSA_PSA_mNS0_19identity_decomposerEEEvT1_T2_T3_T4_jPT5_SO_PNS1_23onesweep_lookback_stateET6_jjj, .Lfunc_end138-_ZN7rocprim17ROCPRIM_304000_NS6detail25onesweep_iteration_kernelINS1_34wrapped_radix_sort_onesweep_configINS0_14default_configEfN2at4cuda3cub6detail10OpaqueTypeILi8EEEEELb0EPKfPfPKSA_PSA_mNS0_19identity_decomposerEEEvT1_T2_T3_T4_jPT5_SO_PNS1_23onesweep_lookback_stateET6_jjj
                                        ; -- End function
	.set _ZN7rocprim17ROCPRIM_304000_NS6detail25onesweep_iteration_kernelINS1_34wrapped_radix_sort_onesweep_configINS0_14default_configEfN2at4cuda3cub6detail10OpaqueTypeILi8EEEEELb0EPKfPfPKSA_PSA_mNS0_19identity_decomposerEEEvT1_T2_T3_T4_jPT5_SO_PNS1_23onesweep_lookback_stateET6_jjj.num_vgpr, 72
	.set _ZN7rocprim17ROCPRIM_304000_NS6detail25onesweep_iteration_kernelINS1_34wrapped_radix_sort_onesweep_configINS0_14default_configEfN2at4cuda3cub6detail10OpaqueTypeILi8EEEEELb0EPKfPfPKSA_PSA_mNS0_19identity_decomposerEEEvT1_T2_T3_T4_jPT5_SO_PNS1_23onesweep_lookback_stateET6_jjj.num_agpr, 0
	.set _ZN7rocprim17ROCPRIM_304000_NS6detail25onesweep_iteration_kernelINS1_34wrapped_radix_sort_onesweep_configINS0_14default_configEfN2at4cuda3cub6detail10OpaqueTypeILi8EEEEELb0EPKfPfPKSA_PSA_mNS0_19identity_decomposerEEEvT1_T2_T3_T4_jPT5_SO_PNS1_23onesweep_lookback_stateET6_jjj.numbered_sgpr, 75
	.set _ZN7rocprim17ROCPRIM_304000_NS6detail25onesweep_iteration_kernelINS1_34wrapped_radix_sort_onesweep_configINS0_14default_configEfN2at4cuda3cub6detail10OpaqueTypeILi8EEEEELb0EPKfPfPKSA_PSA_mNS0_19identity_decomposerEEEvT1_T2_T3_T4_jPT5_SO_PNS1_23onesweep_lookback_stateET6_jjj.num_named_barrier, 0
	.set _ZN7rocprim17ROCPRIM_304000_NS6detail25onesweep_iteration_kernelINS1_34wrapped_radix_sort_onesweep_configINS0_14default_configEfN2at4cuda3cub6detail10OpaqueTypeILi8EEEEELb0EPKfPfPKSA_PSA_mNS0_19identity_decomposerEEEvT1_T2_T3_T4_jPT5_SO_PNS1_23onesweep_lookback_stateET6_jjj.private_seg_size, 0
	.set _ZN7rocprim17ROCPRIM_304000_NS6detail25onesweep_iteration_kernelINS1_34wrapped_radix_sort_onesweep_configINS0_14default_configEfN2at4cuda3cub6detail10OpaqueTypeILi8EEEEELb0EPKfPfPKSA_PSA_mNS0_19identity_decomposerEEEvT1_T2_T3_T4_jPT5_SO_PNS1_23onesweep_lookback_stateET6_jjj.uses_vcc, 1
	.set _ZN7rocprim17ROCPRIM_304000_NS6detail25onesweep_iteration_kernelINS1_34wrapped_radix_sort_onesweep_configINS0_14default_configEfN2at4cuda3cub6detail10OpaqueTypeILi8EEEEELb0EPKfPfPKSA_PSA_mNS0_19identity_decomposerEEEvT1_T2_T3_T4_jPT5_SO_PNS1_23onesweep_lookback_stateET6_jjj.uses_flat_scratch, 0
	.set _ZN7rocprim17ROCPRIM_304000_NS6detail25onesweep_iteration_kernelINS1_34wrapped_radix_sort_onesweep_configINS0_14default_configEfN2at4cuda3cub6detail10OpaqueTypeILi8EEEEELb0EPKfPfPKSA_PSA_mNS0_19identity_decomposerEEEvT1_T2_T3_T4_jPT5_SO_PNS1_23onesweep_lookback_stateET6_jjj.has_dyn_sized_stack, 0
	.set _ZN7rocprim17ROCPRIM_304000_NS6detail25onesweep_iteration_kernelINS1_34wrapped_radix_sort_onesweep_configINS0_14default_configEfN2at4cuda3cub6detail10OpaqueTypeILi8EEEEELb0EPKfPfPKSA_PSA_mNS0_19identity_decomposerEEEvT1_T2_T3_T4_jPT5_SO_PNS1_23onesweep_lookback_stateET6_jjj.has_recursion, 0
	.set _ZN7rocprim17ROCPRIM_304000_NS6detail25onesweep_iteration_kernelINS1_34wrapped_radix_sort_onesweep_configINS0_14default_configEfN2at4cuda3cub6detail10OpaqueTypeILi8EEEEELb0EPKfPfPKSA_PSA_mNS0_19identity_decomposerEEEvT1_T2_T3_T4_jPT5_SO_PNS1_23onesweep_lookback_stateET6_jjj.has_indirect_call, 0
	.section	.AMDGPU.csdata,"",@progbits
; Kernel info:
; codeLenInByte = 20344
; TotalNumSgprs: 79
; NumVgprs: 72
; ScratchSize: 0
; MemoryBound: 0
; FloatMode: 240
; IeeeMode: 1
; LDSByteSize: 26624 bytes/workgroup (compile time only)
; SGPRBlocks: 12
; VGPRBlocks: 21
; NumSGPRsForWavesPerEU: 102
; NumVGPRsForWavesPerEU: 85
; Occupancy: 2
; WaveLimiterHint : 1
; COMPUTE_PGM_RSRC2:SCRATCH_EN: 0
; COMPUTE_PGM_RSRC2:USER_SGPR: 6
; COMPUTE_PGM_RSRC2:TRAP_HANDLER: 0
; COMPUTE_PGM_RSRC2:TGID_X_EN: 1
; COMPUTE_PGM_RSRC2:TGID_Y_EN: 0
; COMPUTE_PGM_RSRC2:TGID_Z_EN: 0
; COMPUTE_PGM_RSRC2:TIDIG_COMP_CNT: 2
	.section	.text._ZN7rocprim17ROCPRIM_304000_NS6detail25onesweep_iteration_kernelINS1_34wrapped_radix_sort_onesweep_configINS0_14default_configEfN2at4cuda3cub6detail10OpaqueTypeILi8EEEEELb0EPfSC_PSA_SD_mNS0_19identity_decomposerEEEvT1_T2_T3_T4_jPT5_SK_PNS1_23onesweep_lookback_stateET6_jjj,"axG",@progbits,_ZN7rocprim17ROCPRIM_304000_NS6detail25onesweep_iteration_kernelINS1_34wrapped_radix_sort_onesweep_configINS0_14default_configEfN2at4cuda3cub6detail10OpaqueTypeILi8EEEEELb0EPfSC_PSA_SD_mNS0_19identity_decomposerEEEvT1_T2_T3_T4_jPT5_SK_PNS1_23onesweep_lookback_stateET6_jjj,comdat
	.protected	_ZN7rocprim17ROCPRIM_304000_NS6detail25onesweep_iteration_kernelINS1_34wrapped_radix_sort_onesweep_configINS0_14default_configEfN2at4cuda3cub6detail10OpaqueTypeILi8EEEEELb0EPfSC_PSA_SD_mNS0_19identity_decomposerEEEvT1_T2_T3_T4_jPT5_SK_PNS1_23onesweep_lookback_stateET6_jjj ; -- Begin function _ZN7rocprim17ROCPRIM_304000_NS6detail25onesweep_iteration_kernelINS1_34wrapped_radix_sort_onesweep_configINS0_14default_configEfN2at4cuda3cub6detail10OpaqueTypeILi8EEEEELb0EPfSC_PSA_SD_mNS0_19identity_decomposerEEEvT1_T2_T3_T4_jPT5_SK_PNS1_23onesweep_lookback_stateET6_jjj
	.globl	_ZN7rocprim17ROCPRIM_304000_NS6detail25onesweep_iteration_kernelINS1_34wrapped_radix_sort_onesweep_configINS0_14default_configEfN2at4cuda3cub6detail10OpaqueTypeILi8EEEEELb0EPfSC_PSA_SD_mNS0_19identity_decomposerEEEvT1_T2_T3_T4_jPT5_SK_PNS1_23onesweep_lookback_stateET6_jjj
	.p2align	8
	.type	_ZN7rocprim17ROCPRIM_304000_NS6detail25onesweep_iteration_kernelINS1_34wrapped_radix_sort_onesweep_configINS0_14default_configEfN2at4cuda3cub6detail10OpaqueTypeILi8EEEEELb0EPfSC_PSA_SD_mNS0_19identity_decomposerEEEvT1_T2_T3_T4_jPT5_SK_PNS1_23onesweep_lookback_stateET6_jjj,@function
_ZN7rocprim17ROCPRIM_304000_NS6detail25onesweep_iteration_kernelINS1_34wrapped_radix_sort_onesweep_configINS0_14default_configEfN2at4cuda3cub6detail10OpaqueTypeILi8EEEEELb0EPfSC_PSA_SD_mNS0_19identity_decomposerEEEvT1_T2_T3_T4_jPT5_SK_PNS1_23onesweep_lookback_stateET6_jjj: ; @_ZN7rocprim17ROCPRIM_304000_NS6detail25onesweep_iteration_kernelINS1_34wrapped_radix_sort_onesweep_configINS0_14default_configEfN2at4cuda3cub6detail10OpaqueTypeILi8EEEEELb0EPfSC_PSA_SD_mNS0_19identity_decomposerEEEvT1_T2_T3_T4_jPT5_SK_PNS1_23onesweep_lookback_stateET6_jjj
; %bb.0:
	s_load_dwordx8 s[56:63], s[4:5], 0x0
	s_load_dwordx4 s[68:71], s[4:5], 0x44
	s_load_dwordx4 s[64:67], s[4:5], 0x28
	s_load_dwordx2 s[72:73], s[4:5], 0x38
	s_mov_b32 s7, s6
	s_mov_b64 s[0:1], -1
	s_waitcnt lgkmcnt(0)
	s_cmp_ge_u32 s6, s70
	s_mul_i32 s54, s6, 0xc00
	v_mbcnt_lo_u32_b32 v29, -1, 0
	s_cbranch_scc0 .LBB139_152
; %bb.1:
	s_load_dword s2, s[4:5], 0x20
	s_mulk_i32 s70, 0xf400
	s_mov_b32 s55, 0
	s_lshl_b64 s[0:1], s[54:55], 2
	v_mbcnt_hi_u32_b32 v9, -1, v29
	s_waitcnt lgkmcnt(0)
	s_add_i32 s70, s70, s2
	s_add_u32 s0, s56, s0
	s_addc_u32 s1, s57, s1
	v_and_b32_e32 v7, 0xc0, v0
	v_lshlrev_b32_e32 v3, 2, v9
	v_mul_u32_u24_e32 v10, 12, v7
	v_mov_b32_e32 v4, s1
	v_add_co_u32_e32 v3, vcc, s0, v3
	v_addc_co_u32_e32 v4, vcc, 0, v4, vcc
	v_lshlrev_b32_e32 v5, 2, v10
	v_add_co_u32_e32 v3, vcc, v3, v5
	v_addc_co_u32_e32 v4, vcc, 0, v4, vcc
	v_or_b32_e32 v8, v9, v10
	v_cmp_gt_u32_e32 vcc, s70, v8
	v_bfrev_b32_e32 v13, -2
	v_bfrev_b32_e32 v5, -2
	s_and_saveexec_b64 s[0:1], vcc
	s_cbranch_execz .LBB139_3
; %bb.2:
	global_load_dword v5, v[3:4], off
.LBB139_3:
	s_or_b64 exec, exec, s[0:1]
	v_add_u32_e32 v6, 64, v8
	v_cmp_gt_u32_e64 s[0:1], s70, v6
	s_and_saveexec_b64 s[2:3], s[0:1]
	s_cbranch_execz .LBB139_5
; %bb.4:
	global_load_dword v13, v[3:4], off offset:256
.LBB139_5:
	s_or_b64 exec, exec, s[2:3]
	v_add_u32_e32 v6, 0x80, v8
	v_cmp_gt_u32_e64 s[2:3], s70, v6
	v_bfrev_b32_e32 v22, -2
	v_bfrev_b32_e32 v18, -2
	s_and_saveexec_b64 s[8:9], s[2:3]
	s_cbranch_execz .LBB139_7
; %bb.6:
	global_load_dword v18, v[3:4], off offset:512
.LBB139_7:
	s_or_b64 exec, exec, s[8:9]
	v_add_u32_e32 v6, 0xc0, v8
	v_cmp_gt_u32_e64 s[50:51], s70, v6
	s_and_saveexec_b64 s[8:9], s[50:51]
	s_cbranch_execz .LBB139_9
; %bb.8:
	global_load_dword v22, v[3:4], off offset:768
.LBB139_9:
	s_or_b64 exec, exec, s[8:9]
	v_add_u32_e32 v6, 0x100, v8
	v_cmp_gt_u32_e64 s[8:9], s70, v6
	v_bfrev_b32_e32 v36, -2
	v_bfrev_b32_e32 v31, -2
	s_and_saveexec_b64 s[10:11], s[8:9]
	s_cbranch_execz .LBB139_11
; %bb.10:
	global_load_dword v31, v[3:4], off offset:1024
.LBB139_11:
	;; [unrolled: 18-line block ×5, first 2 shown]
	s_or_b64 exec, exec, s[10:11]
	v_add_u32_e32 v8, 0x2c0, v8
	v_cmp_gt_u32_e64 s[10:11], s70, v8
	s_and_saveexec_b64 s[24:25], s[10:11]
	s_cbranch_execz .LBB139_25
; %bb.24:
	global_load_dword v6, v[3:4], off offset:2816
.LBB139_25:
	s_or_b64 exec, exec, s[24:25]
	s_load_dword s24, s[4:5], 0x5c
	s_load_dword s33, s[4:5], 0x50
	s_add_u32 s25, s4, 0x50
	s_addc_u32 s26, s5, 0
	v_mov_b32_e32 v3, 0
	s_waitcnt lgkmcnt(0)
	s_lshr_b32 s27, s24, 16
	s_cmp_lt_u32 s6, s33
	s_cselect_b32 s24, 12, 18
	s_add_u32 s24, s25, s24
	s_addc_u32 s25, s26, 0
	global_load_ushort v12, v3, s[24:25]
	v_bfrev_b32_e32 v15, 1
	s_waitcnt vmcnt(1)
	v_cmp_lt_i32_e64 s[24:25], -1, v5
	v_cndmask_b32_e64 v4, -1, v15, s[24:25]
	s_brev_b32 s28, -2
	v_xor_b32_e32 v8, v4, v5
	v_cmp_ne_u32_e64 s[24:25], s28, v8
	v_cndmask_b32_e64 v4, v15, v8, s[24:25]
	s_lshl_b32 s24, -1, s69
	v_lshrrev_b32_e32 v4, s68, v4
	s_not_b32 s74, s24
	v_and_b32_e32 v14, s74, v4
	v_and_b32_e32 v17, 1, v14
	v_add_co_u32_e64 v19, s[24:25], -1, v17
	v_lshlrev_b32_e32 v4, 30, v14
	v_addc_co_u32_e64 v20, s[24:25], 0, -1, s[24:25]
	v_mad_u32_u24 v5, v2, s27, v1
	v_cmp_ne_u32_e64 s[24:25], 0, v17
	v_cmp_gt_i64_e64 s[26:27], 0, v[3:4]
	v_not_b32_e32 v17, v4
	v_lshlrev_b32_e32 v4, 29, v14
	v_xor_b32_e32 v20, s25, v20
	v_xor_b32_e32 v19, s24, v19
	v_ashrrev_i32_e32 v17, 31, v17
	v_cmp_gt_i64_e64 s[24:25], 0, v[3:4]
	v_not_b32_e32 v23, v4
	v_lshlrev_b32_e32 v4, 28, v14
	v_and_b32_e32 v20, exec_hi, v20
	v_and_b32_e32 v19, exec_lo, v19
	v_xor_b32_e32 v24, s27, v17
	v_xor_b32_e32 v17, s26, v17
	v_ashrrev_i32_e32 v23, 31, v23
	v_cmp_gt_i64_e64 s[26:27], 0, v[3:4]
	v_not_b32_e32 v25, v4
	v_lshlrev_b32_e32 v4, 27, v14
	v_and_b32_e32 v20, v20, v24
	v_and_b32_e32 v17, v19, v17
	v_xor_b32_e32 v19, s25, v23
	v_xor_b32_e32 v23, s24, v23
	v_ashrrev_i32_e32 v24, 31, v25
	v_cmp_gt_i64_e64 s[24:25], 0, v[3:4]
	v_not_b32_e32 v25, v4
	v_lshlrev_b32_e32 v4, 26, v14
	v_and_b32_e32 v19, v20, v19
	v_and_b32_e32 v17, v17, v23
	;; [unrolled: 8-line block ×3, first 2 shown]
	v_xor_b32_e32 v20, s25, v24
	v_xor_b32_e32 v23, s24, v24
	v_ashrrev_i32_e32 v24, 31, v25
	v_cmp_gt_i64_e64 s[24:25], 0, v[3:4]
	v_not_b32_e32 v25, v4
	v_lshlrev_b32_e32 v4, 24, v14
	v_mul_lo_u32 v16, v14, 20
	v_and_b32_e32 v14, v19, v20
	v_and_b32_e32 v17, v17, v23
	v_xor_b32_e32 v19, s27, v24
	v_xor_b32_e32 v20, s26, v24
	v_ashrrev_i32_e32 v23, 31, v25
	v_cmp_gt_i64_e64 s[26:27], 0, v[3:4]
	v_not_b32_e32 v25, v4
	v_and_b32_e32 v17, v17, v20
	v_and_b32_e32 v14, v14, v19
	v_xor_b32_e32 v19, s25, v23
	v_mul_u32_u24_e32 v11, 20, v0
	ds_write2_b32 v11, v3, v3 offset0:4 offset1:5
	ds_write2_b32 v11, v3, v3 offset0:6 offset1:7
	ds_write_b32 v11, v3 offset:32
	s_waitcnt vmcnt(0) lgkmcnt(0)
	s_barrier
	; wave barrier
	v_mad_u64_u32 v[4:5], s[30:31], v5, v12, v[0:1]
	v_xor_b32_e32 v5, s24, v23
	v_and_b32_e32 v17, v17, v5
	v_lshrrev_b32_e32 v24, 6, v4
	v_ashrrev_i32_e32 v4, 31, v25
	v_xor_b32_e32 v5, s27, v4
	v_xor_b32_e32 v4, s26, v4
	v_and_b32_e32 v12, v14, v19
	v_and_b32_e32 v4, v17, v4
	;; [unrolled: 1-line block ×3, first 2 shown]
	v_mbcnt_lo_u32_b32 v12, v4, 0
	v_mbcnt_hi_u32_b32 v12, v5, v12
	v_cmp_ne_u64_e64 s[24:25], 0, v[4:5]
	v_cmp_eq_u32_e64 s[26:27], 0, v12
	v_lshl_add_u32 v14, v24, 2, v16
	s_and_b64 s[26:27], s[24:25], s[26:27]
	s_and_saveexec_b64 s[24:25], s[26:27]
; %bb.26:
	v_bcnt_u32_b32 v4, v4, 0
	v_bcnt_u32_b32 v4, v5, v4
	ds_write_b32 v14, v4 offset:16
; %bb.27:
	s_or_b64 exec, exec, s[24:25]
	v_cmp_lt_i32_e64 s[24:25], -1, v13
	v_cndmask_b32_e64 v4, -1, v15, s[24:25]
	v_xor_b32_e32 v13, v4, v13
	v_cmp_ne_u32_e64 s[24:25], s28, v13
	v_cndmask_b32_e64 v4, v15, v13, s[24:25]
	v_lshrrev_b32_e32 v4, s68, v4
	v_and_b32_e32 v5, s74, v4
	v_mul_lo_u32 v4, v5, 20
	; wave barrier
	v_lshl_add_u32 v16, v24, 2, v4
	v_and_b32_e32 v4, 1, v5
	v_add_co_u32_e64 v17, s[24:25], -1, v4
	v_addc_co_u32_e64 v19, s[24:25], 0, -1, s[24:25]
	v_cmp_ne_u32_e64 s[24:25], 0, v4
	v_xor_b32_e32 v4, s25, v19
	v_and_b32_e32 v19, exec_hi, v4
	v_lshlrev_b32_e32 v4, 30, v5
	v_xor_b32_e32 v17, s24, v17
	v_cmp_gt_i64_e64 s[24:25], 0, v[3:4]
	v_not_b32_e32 v4, v4
	v_ashrrev_i32_e32 v4, 31, v4
	v_and_b32_e32 v17, exec_lo, v17
	v_xor_b32_e32 v20, s25, v4
	v_xor_b32_e32 v4, s24, v4
	v_and_b32_e32 v17, v17, v4
	v_lshlrev_b32_e32 v4, 29, v5
	v_cmp_gt_i64_e64 s[24:25], 0, v[3:4]
	v_not_b32_e32 v4, v4
	v_ashrrev_i32_e32 v4, 31, v4
	v_and_b32_e32 v19, v19, v20
	v_xor_b32_e32 v20, s25, v4
	v_xor_b32_e32 v4, s24, v4
	v_and_b32_e32 v17, v17, v4
	v_lshlrev_b32_e32 v4, 28, v5
	v_cmp_gt_i64_e64 s[24:25], 0, v[3:4]
	v_not_b32_e32 v4, v4
	v_ashrrev_i32_e32 v4, 31, v4
	v_and_b32_e32 v19, v19, v20
	;; [unrolled: 8-line block ×5, first 2 shown]
	v_xor_b32_e32 v20, s25, v4
	v_xor_b32_e32 v4, s24, v4
	v_and_b32_e32 v17, v17, v4
	v_lshlrev_b32_e32 v4, 24, v5
	v_cmp_gt_i64_e64 s[24:25], 0, v[3:4]
	v_not_b32_e32 v3, v4
	v_ashrrev_i32_e32 v3, 31, v3
	v_xor_b32_e32 v4, s25, v3
	v_xor_b32_e32 v3, s24, v3
	ds_read_b32 v15, v16 offset:16
	v_and_b32_e32 v19, v19, v20
	v_and_b32_e32 v3, v17, v3
	;; [unrolled: 1-line block ×3, first 2 shown]
	v_mbcnt_lo_u32_b32 v5, v3, 0
	v_mbcnt_hi_u32_b32 v17, v4, v5
	v_cmp_ne_u64_e64 s[24:25], 0, v[3:4]
	v_cmp_eq_u32_e64 s[26:27], 0, v17
	s_and_b64 s[26:27], s[24:25], s[26:27]
	; wave barrier
	s_and_saveexec_b64 s[24:25], s[26:27]
	s_cbranch_execz .LBB139_29
; %bb.28:
	v_bcnt_u32_b32 v3, v3, 0
	v_bcnt_u32_b32 v3, v4, v3
	s_waitcnt lgkmcnt(0)
	v_add_u32_e32 v3, v15, v3
	ds_write_b32 v16, v3 offset:16
.LBB139_29:
	s_or_b64 exec, exec, s[24:25]
	v_bfrev_b32_e32 v25, 1
	v_cmp_lt_i32_e64 s[24:25], -1, v18
	v_cndmask_b32_e64 v3, -1, v25, s[24:25]
	v_xor_b32_e32 v18, v3, v18
	v_cmp_ne_u32_e64 s[24:25], s28, v18
	v_cndmask_b32_e64 v3, v25, v18, s[24:25]
	v_lshrrev_b32_e32 v3, s68, v3
	v_and_b32_e32 v5, s74, v3
	v_and_b32_e32 v4, 1, v5
	v_mul_lo_u32 v3, v5, 20
	v_add_co_u32_e64 v23, s[24:25], -1, v4
	v_addc_co_u32_e64 v27, s[24:25], 0, -1, s[24:25]
	v_cmp_ne_u32_e64 s[24:25], 0, v4
	v_xor_b32_e32 v4, s25, v27
	v_lshl_add_u32 v20, v24, 2, v3
	v_mov_b32_e32 v3, 0
	v_and_b32_e32 v27, exec_hi, v4
	v_lshlrev_b32_e32 v4, 30, v5
	v_xor_b32_e32 v23, s24, v23
	v_cmp_gt_i64_e64 s[24:25], 0, v[3:4]
	v_not_b32_e32 v4, v4
	v_ashrrev_i32_e32 v4, 31, v4
	v_and_b32_e32 v23, exec_lo, v23
	v_xor_b32_e32 v28, s25, v4
	v_xor_b32_e32 v4, s24, v4
	v_and_b32_e32 v23, v23, v4
	v_lshlrev_b32_e32 v4, 29, v5
	v_cmp_gt_i64_e64 s[24:25], 0, v[3:4]
	v_not_b32_e32 v4, v4
	v_ashrrev_i32_e32 v4, 31, v4
	v_and_b32_e32 v27, v27, v28
	v_xor_b32_e32 v28, s25, v4
	v_xor_b32_e32 v4, s24, v4
	v_and_b32_e32 v23, v23, v4
	v_lshlrev_b32_e32 v4, 28, v5
	v_cmp_gt_i64_e64 s[24:25], 0, v[3:4]
	v_not_b32_e32 v4, v4
	v_ashrrev_i32_e32 v4, 31, v4
	v_and_b32_e32 v27, v27, v28
	;; [unrolled: 8-line block ×5, first 2 shown]
	v_xor_b32_e32 v28, s25, v4
	v_xor_b32_e32 v4, s24, v4
	v_and_b32_e32 v23, v23, v4
	v_lshlrev_b32_e32 v4, 24, v5
	v_cmp_gt_i64_e64 s[24:25], 0, v[3:4]
	v_not_b32_e32 v4, v4
	v_ashrrev_i32_e32 v4, 31, v4
	v_xor_b32_e32 v5, s25, v4
	v_xor_b32_e32 v4, s24, v4
	; wave barrier
	ds_read_b32 v19, v20 offset:16
	v_and_b32_e32 v27, v27, v28
	v_and_b32_e32 v4, v23, v4
	;; [unrolled: 1-line block ×3, first 2 shown]
	v_mbcnt_lo_u32_b32 v23, v4, 0
	v_mbcnt_hi_u32_b32 v23, v5, v23
	v_cmp_ne_u64_e64 s[24:25], 0, v[4:5]
	v_cmp_eq_u32_e64 s[26:27], 0, v23
	s_and_b64 s[26:27], s[24:25], s[26:27]
	; wave barrier
	s_and_saveexec_b64 s[24:25], s[26:27]
	s_cbranch_execz .LBB139_31
; %bb.30:
	v_bcnt_u32_b32 v4, v4, 0
	v_bcnt_u32_b32 v4, v5, v4
	s_waitcnt lgkmcnt(0)
	v_add_u32_e32 v4, v19, v4
	ds_write_b32 v20, v4 offset:16
.LBB139_31:
	s_or_b64 exec, exec, s[24:25]
	v_cmp_lt_i32_e64 s[24:25], -1, v22
	v_cndmask_b32_e64 v4, -1, v25, s[24:25]
	v_xor_b32_e32 v22, v4, v22
	v_cmp_ne_u32_e64 s[24:25], s28, v22
	v_cndmask_b32_e64 v4, v25, v22, s[24:25]
	v_lshrrev_b32_e32 v4, s68, v4
	v_and_b32_e32 v5, s74, v4
	v_mul_lo_u32 v4, v5, 20
	; wave barrier
	v_lshl_add_u32 v27, v24, 2, v4
	v_and_b32_e32 v4, 1, v5
	v_add_co_u32_e64 v28, s[24:25], -1, v4
	v_addc_co_u32_e64 v32, s[24:25], 0, -1, s[24:25]
	v_cmp_ne_u32_e64 s[24:25], 0, v4
	v_xor_b32_e32 v4, s25, v32
	v_and_b32_e32 v32, exec_hi, v4
	v_lshlrev_b32_e32 v4, 30, v5
	v_xor_b32_e32 v28, s24, v28
	v_cmp_gt_i64_e64 s[24:25], 0, v[3:4]
	v_not_b32_e32 v4, v4
	v_ashrrev_i32_e32 v4, 31, v4
	v_and_b32_e32 v28, exec_lo, v28
	v_xor_b32_e32 v33, s25, v4
	v_xor_b32_e32 v4, s24, v4
	v_and_b32_e32 v28, v28, v4
	v_lshlrev_b32_e32 v4, 29, v5
	v_cmp_gt_i64_e64 s[24:25], 0, v[3:4]
	v_not_b32_e32 v4, v4
	v_ashrrev_i32_e32 v4, 31, v4
	v_and_b32_e32 v32, v32, v33
	v_xor_b32_e32 v33, s25, v4
	v_xor_b32_e32 v4, s24, v4
	v_and_b32_e32 v28, v28, v4
	v_lshlrev_b32_e32 v4, 28, v5
	v_cmp_gt_i64_e64 s[24:25], 0, v[3:4]
	v_not_b32_e32 v4, v4
	v_ashrrev_i32_e32 v4, 31, v4
	v_and_b32_e32 v32, v32, v33
	;; [unrolled: 8-line block ×5, first 2 shown]
	v_xor_b32_e32 v33, s25, v4
	v_xor_b32_e32 v4, s24, v4
	v_and_b32_e32 v28, v28, v4
	v_lshlrev_b32_e32 v4, 24, v5
	v_cmp_gt_i64_e64 s[24:25], 0, v[3:4]
	v_not_b32_e32 v3, v4
	v_ashrrev_i32_e32 v3, 31, v3
	v_xor_b32_e32 v4, s25, v3
	v_xor_b32_e32 v3, s24, v3
	ds_read_b32 v25, v27 offset:16
	v_and_b32_e32 v32, v32, v33
	v_and_b32_e32 v3, v28, v3
	;; [unrolled: 1-line block ×3, first 2 shown]
	v_mbcnt_lo_u32_b32 v5, v3, 0
	v_mbcnt_hi_u32_b32 v28, v4, v5
	v_cmp_ne_u64_e64 s[24:25], 0, v[3:4]
	v_cmp_eq_u32_e64 s[26:27], 0, v28
	s_and_b64 s[26:27], s[24:25], s[26:27]
	; wave barrier
	s_and_saveexec_b64 s[24:25], s[26:27]
	s_cbranch_execz .LBB139_33
; %bb.32:
	v_bcnt_u32_b32 v3, v3, 0
	v_bcnt_u32_b32 v3, v4, v3
	s_waitcnt lgkmcnt(0)
	v_add_u32_e32 v3, v25, v3
	ds_write_b32 v27, v3 offset:16
.LBB139_33:
	s_or_b64 exec, exec, s[24:25]
	v_bfrev_b32_e32 v37, 1
	v_cmp_lt_i32_e64 s[24:25], -1, v31
	v_cndmask_b32_e64 v3, -1, v37, s[24:25]
	v_xor_b32_e32 v31, v3, v31
	v_cmp_ne_u32_e64 s[24:25], s28, v31
	v_cndmask_b32_e64 v3, v37, v31, s[24:25]
	v_lshrrev_b32_e32 v3, s68, v3
	v_and_b32_e32 v5, s74, v3
	v_and_b32_e32 v4, 1, v5
	v_mul_lo_u32 v3, v5, 20
	v_add_co_u32_e64 v34, s[24:25], -1, v4
	v_addc_co_u32_e64 v38, s[24:25], 0, -1, s[24:25]
	v_cmp_ne_u32_e64 s[24:25], 0, v4
	v_xor_b32_e32 v4, s25, v38
	v_lshl_add_u32 v33, v24, 2, v3
	v_mov_b32_e32 v3, 0
	v_and_b32_e32 v38, exec_hi, v4
	v_lshlrev_b32_e32 v4, 30, v5
	v_xor_b32_e32 v34, s24, v34
	v_cmp_gt_i64_e64 s[24:25], 0, v[3:4]
	v_not_b32_e32 v4, v4
	v_ashrrev_i32_e32 v4, 31, v4
	v_and_b32_e32 v34, exec_lo, v34
	v_xor_b32_e32 v40, s25, v4
	v_xor_b32_e32 v4, s24, v4
	v_and_b32_e32 v34, v34, v4
	v_lshlrev_b32_e32 v4, 29, v5
	v_cmp_gt_i64_e64 s[24:25], 0, v[3:4]
	v_not_b32_e32 v4, v4
	v_ashrrev_i32_e32 v4, 31, v4
	v_and_b32_e32 v38, v38, v40
	v_xor_b32_e32 v40, s25, v4
	v_xor_b32_e32 v4, s24, v4
	v_and_b32_e32 v34, v34, v4
	v_lshlrev_b32_e32 v4, 28, v5
	v_cmp_gt_i64_e64 s[24:25], 0, v[3:4]
	v_not_b32_e32 v4, v4
	v_ashrrev_i32_e32 v4, 31, v4
	v_and_b32_e32 v38, v38, v40
	;; [unrolled: 8-line block ×5, first 2 shown]
	v_xor_b32_e32 v40, s25, v4
	v_xor_b32_e32 v4, s24, v4
	v_and_b32_e32 v34, v34, v4
	v_lshlrev_b32_e32 v4, 24, v5
	v_cmp_gt_i64_e64 s[24:25], 0, v[3:4]
	v_not_b32_e32 v4, v4
	v_ashrrev_i32_e32 v4, 31, v4
	v_xor_b32_e32 v5, s25, v4
	v_xor_b32_e32 v4, s24, v4
	; wave barrier
	ds_read_b32 v32, v33 offset:16
	v_and_b32_e32 v38, v38, v40
	v_and_b32_e32 v4, v34, v4
	;; [unrolled: 1-line block ×3, first 2 shown]
	v_mbcnt_lo_u32_b32 v34, v4, 0
	v_mbcnt_hi_u32_b32 v34, v5, v34
	v_cmp_ne_u64_e64 s[24:25], 0, v[4:5]
	v_cmp_eq_u32_e64 s[26:27], 0, v34
	s_and_b64 s[26:27], s[24:25], s[26:27]
	; wave barrier
	s_and_saveexec_b64 s[24:25], s[26:27]
	s_cbranch_execz .LBB139_35
; %bb.34:
	v_bcnt_u32_b32 v4, v4, 0
	v_bcnt_u32_b32 v4, v5, v4
	s_waitcnt lgkmcnt(0)
	v_add_u32_e32 v4, v32, v4
	ds_write_b32 v33, v4 offset:16
.LBB139_35:
	s_or_b64 exec, exec, s[24:25]
	v_cmp_lt_i32_e64 s[24:25], -1, v36
	v_cndmask_b32_e64 v4, -1, v37, s[24:25]
	v_xor_b32_e32 v45, v4, v36
	v_cmp_ne_u32_e64 s[24:25], s28, v45
	v_cndmask_b32_e64 v4, v37, v45, s[24:25]
	v_lshrrev_b32_e32 v4, s68, v4
	v_and_b32_e32 v5, s74, v4
	v_mul_lo_u32 v4, v5, 20
	; wave barrier
	v_lshl_add_u32 v37, v24, 2, v4
	v_and_b32_e32 v4, 1, v5
	v_add_co_u32_e64 v38, s[24:25], -1, v4
	v_addc_co_u32_e64 v40, s[24:25], 0, -1, s[24:25]
	v_cmp_ne_u32_e64 s[24:25], 0, v4
	v_xor_b32_e32 v4, s25, v40
	v_and_b32_e32 v40, exec_hi, v4
	v_lshlrev_b32_e32 v4, 30, v5
	v_xor_b32_e32 v38, s24, v38
	v_cmp_gt_i64_e64 s[24:25], 0, v[3:4]
	v_not_b32_e32 v4, v4
	v_ashrrev_i32_e32 v4, 31, v4
	v_and_b32_e32 v38, exec_lo, v38
	v_xor_b32_e32 v41, s25, v4
	v_xor_b32_e32 v4, s24, v4
	v_and_b32_e32 v38, v38, v4
	v_lshlrev_b32_e32 v4, 29, v5
	v_cmp_gt_i64_e64 s[24:25], 0, v[3:4]
	v_not_b32_e32 v4, v4
	v_ashrrev_i32_e32 v4, 31, v4
	v_and_b32_e32 v40, v40, v41
	v_xor_b32_e32 v41, s25, v4
	v_xor_b32_e32 v4, s24, v4
	v_and_b32_e32 v38, v38, v4
	v_lshlrev_b32_e32 v4, 28, v5
	v_cmp_gt_i64_e64 s[24:25], 0, v[3:4]
	v_not_b32_e32 v4, v4
	v_ashrrev_i32_e32 v4, 31, v4
	v_and_b32_e32 v40, v40, v41
	;; [unrolled: 8-line block ×5, first 2 shown]
	v_xor_b32_e32 v41, s25, v4
	v_xor_b32_e32 v4, s24, v4
	v_and_b32_e32 v38, v38, v4
	v_lshlrev_b32_e32 v4, 24, v5
	v_cmp_gt_i64_e64 s[24:25], 0, v[3:4]
	v_not_b32_e32 v3, v4
	v_ashrrev_i32_e32 v3, 31, v3
	v_xor_b32_e32 v4, s25, v3
	v_xor_b32_e32 v3, s24, v3
	ds_read_b32 v36, v37 offset:16
	v_and_b32_e32 v40, v40, v41
	v_and_b32_e32 v3, v38, v3
	;; [unrolled: 1-line block ×3, first 2 shown]
	v_mbcnt_lo_u32_b32 v5, v3, 0
	v_mbcnt_hi_u32_b32 v38, v4, v5
	v_cmp_ne_u64_e64 s[24:25], 0, v[3:4]
	v_cmp_eq_u32_e64 s[26:27], 0, v38
	s_and_b64 s[26:27], s[24:25], s[26:27]
	; wave barrier
	s_and_saveexec_b64 s[24:25], s[26:27]
	s_cbranch_execz .LBB139_37
; %bb.36:
	v_bcnt_u32_b32 v3, v3, 0
	v_bcnt_u32_b32 v3, v4, v3
	s_waitcnt lgkmcnt(0)
	v_add_u32_e32 v3, v36, v3
	ds_write_b32 v37, v3 offset:16
.LBB139_37:
	s_or_b64 exec, exec, s[24:25]
	v_bfrev_b32_e32 v40, 1
	v_cmp_lt_i32_e64 s[24:25], -1, v39
	v_cndmask_b32_e64 v3, -1, v40, s[24:25]
	v_xor_b32_e32 v46, v3, v39
	v_cmp_ne_u32_e64 s[24:25], s28, v46
	v_cndmask_b32_e64 v3, v40, v46, s[24:25]
	v_lshrrev_b32_e32 v3, s68, v3
	v_and_b32_e32 v5, s74, v3
	v_and_b32_e32 v4, 1, v5
	v_mul_lo_u32 v3, v5, 20
	v_add_co_u32_e64 v41, s[24:25], -1, v4
	v_addc_co_u32_e64 v42, s[24:25], 0, -1, s[24:25]
	v_cmp_ne_u32_e64 s[24:25], 0, v4
	v_xor_b32_e32 v4, s25, v42
	v_lshl_add_u32 v39, v24, 2, v3
	v_mov_b32_e32 v3, 0
	v_and_b32_e32 v42, exec_hi, v4
	v_lshlrev_b32_e32 v4, 30, v5
	v_xor_b32_e32 v41, s24, v41
	v_cmp_gt_i64_e64 s[24:25], 0, v[3:4]
	v_not_b32_e32 v4, v4
	v_ashrrev_i32_e32 v4, 31, v4
	v_and_b32_e32 v41, exec_lo, v41
	v_xor_b32_e32 v43, s25, v4
	v_xor_b32_e32 v4, s24, v4
	v_and_b32_e32 v41, v41, v4
	v_lshlrev_b32_e32 v4, 29, v5
	v_cmp_gt_i64_e64 s[24:25], 0, v[3:4]
	v_not_b32_e32 v4, v4
	v_ashrrev_i32_e32 v4, 31, v4
	v_and_b32_e32 v42, v42, v43
	v_xor_b32_e32 v43, s25, v4
	v_xor_b32_e32 v4, s24, v4
	v_and_b32_e32 v41, v41, v4
	v_lshlrev_b32_e32 v4, 28, v5
	v_cmp_gt_i64_e64 s[24:25], 0, v[3:4]
	v_not_b32_e32 v4, v4
	v_ashrrev_i32_e32 v4, 31, v4
	v_and_b32_e32 v42, v42, v43
	;; [unrolled: 8-line block ×5, first 2 shown]
	v_xor_b32_e32 v43, s25, v4
	v_xor_b32_e32 v4, s24, v4
	v_and_b32_e32 v41, v41, v4
	v_lshlrev_b32_e32 v4, 24, v5
	v_cmp_gt_i64_e64 s[24:25], 0, v[3:4]
	v_not_b32_e32 v4, v4
	v_ashrrev_i32_e32 v4, 31, v4
	v_xor_b32_e32 v5, s25, v4
	v_xor_b32_e32 v4, s24, v4
	; wave barrier
	ds_read_b32 v47, v39 offset:16
	v_and_b32_e32 v42, v42, v43
	v_and_b32_e32 v4, v41, v4
	;; [unrolled: 1-line block ×3, first 2 shown]
	v_mbcnt_lo_u32_b32 v41, v4, 0
	v_mbcnt_hi_u32_b32 v49, v5, v41
	v_cmp_ne_u64_e64 s[24:25], 0, v[4:5]
	v_cmp_eq_u32_e64 s[26:27], 0, v49
	s_and_b64 s[26:27], s[24:25], s[26:27]
	; wave barrier
	s_and_saveexec_b64 s[24:25], s[26:27]
	s_cbranch_execz .LBB139_39
; %bb.38:
	v_bcnt_u32_b32 v4, v4, 0
	v_bcnt_u32_b32 v4, v5, v4
	s_waitcnt lgkmcnt(0)
	v_add_u32_e32 v4, v47, v4
	ds_write_b32 v39, v4 offset:16
.LBB139_39:
	s_or_b64 exec, exec, s[24:25]
	v_cmp_lt_i32_e64 s[24:25], -1, v35
	v_cndmask_b32_e64 v4, -1, v40, s[24:25]
	v_xor_b32_e32 v48, v4, v35
	v_cmp_ne_u32_e64 s[24:25], s28, v48
	v_cndmask_b32_e64 v4, v40, v48, s[24:25]
	v_lshrrev_b32_e32 v4, s68, v4
	v_and_b32_e32 v5, s74, v4
	v_mul_lo_u32 v4, v5, 20
	; wave barrier
	v_lshl_add_u32 v40, v24, 2, v4
	v_and_b32_e32 v4, 1, v5
	v_add_co_u32_e64 v41, s[24:25], -1, v4
	v_addc_co_u32_e64 v42, s[24:25], 0, -1, s[24:25]
	v_cmp_ne_u32_e64 s[24:25], 0, v4
	v_xor_b32_e32 v4, s25, v42
	v_and_b32_e32 v42, exec_hi, v4
	v_lshlrev_b32_e32 v4, 30, v5
	v_xor_b32_e32 v41, s24, v41
	v_cmp_gt_i64_e64 s[24:25], 0, v[3:4]
	v_not_b32_e32 v4, v4
	v_ashrrev_i32_e32 v4, 31, v4
	v_and_b32_e32 v41, exec_lo, v41
	v_xor_b32_e32 v43, s25, v4
	v_xor_b32_e32 v4, s24, v4
	v_and_b32_e32 v41, v41, v4
	v_lshlrev_b32_e32 v4, 29, v5
	v_cmp_gt_i64_e64 s[24:25], 0, v[3:4]
	v_not_b32_e32 v4, v4
	v_ashrrev_i32_e32 v4, 31, v4
	v_and_b32_e32 v42, v42, v43
	v_xor_b32_e32 v43, s25, v4
	v_xor_b32_e32 v4, s24, v4
	v_and_b32_e32 v41, v41, v4
	v_lshlrev_b32_e32 v4, 28, v5
	v_cmp_gt_i64_e64 s[24:25], 0, v[3:4]
	v_not_b32_e32 v4, v4
	v_ashrrev_i32_e32 v4, 31, v4
	v_and_b32_e32 v42, v42, v43
	;; [unrolled: 8-line block ×5, first 2 shown]
	v_xor_b32_e32 v43, s25, v4
	v_xor_b32_e32 v4, s24, v4
	v_and_b32_e32 v41, v41, v4
	v_lshlrev_b32_e32 v4, 24, v5
	v_cmp_gt_i64_e64 s[24:25], 0, v[3:4]
	v_not_b32_e32 v3, v4
	v_ashrrev_i32_e32 v3, 31, v3
	v_xor_b32_e32 v4, s25, v3
	v_xor_b32_e32 v3, s24, v3
	ds_read_b32 v35, v40 offset:16
	v_and_b32_e32 v42, v42, v43
	v_and_b32_e32 v3, v41, v3
	;; [unrolled: 1-line block ×3, first 2 shown]
	v_mbcnt_lo_u32_b32 v5, v3, 0
	v_mbcnt_hi_u32_b32 v51, v4, v5
	v_cmp_ne_u64_e64 s[24:25], 0, v[3:4]
	v_cmp_eq_u32_e64 s[26:27], 0, v51
	s_and_b64 s[26:27], s[24:25], s[26:27]
	; wave barrier
	s_and_saveexec_b64 s[24:25], s[26:27]
	s_cbranch_execz .LBB139_41
; %bb.40:
	v_bcnt_u32_b32 v3, v3, 0
	v_bcnt_u32_b32 v3, v4, v3
	s_waitcnt lgkmcnt(0)
	v_add_u32_e32 v3, v35, v3
	ds_write_b32 v40, v3 offset:16
.LBB139_41:
	s_or_b64 exec, exec, s[24:25]
	v_bfrev_b32_e32 v41, 1
	v_cmp_lt_i32_e64 s[24:25], -1, v30
	v_cndmask_b32_e64 v3, -1, v41, s[24:25]
	v_xor_b32_e32 v50, v3, v30
	v_cmp_ne_u32_e64 s[24:25], s28, v50
	v_cndmask_b32_e64 v3, v41, v50, s[24:25]
	v_lshrrev_b32_e32 v3, s68, v3
	v_and_b32_e32 v5, s74, v3
	v_and_b32_e32 v4, 1, v5
	v_mul_lo_u32 v3, v5, 20
	v_add_co_u32_e64 v42, s[24:25], -1, v4
	v_addc_co_u32_e64 v43, s[24:25], 0, -1, s[24:25]
	v_cmp_ne_u32_e64 s[24:25], 0, v4
	v_xor_b32_e32 v4, s25, v43
	v_lshl_add_u32 v30, v24, 2, v3
	v_mov_b32_e32 v3, 0
	v_and_b32_e32 v43, exec_hi, v4
	v_lshlrev_b32_e32 v4, 30, v5
	v_xor_b32_e32 v42, s24, v42
	v_cmp_gt_i64_e64 s[24:25], 0, v[3:4]
	v_not_b32_e32 v4, v4
	v_ashrrev_i32_e32 v4, 31, v4
	v_and_b32_e32 v42, exec_lo, v42
	v_xor_b32_e32 v44, s25, v4
	v_xor_b32_e32 v4, s24, v4
	v_and_b32_e32 v42, v42, v4
	v_lshlrev_b32_e32 v4, 29, v5
	v_cmp_gt_i64_e64 s[24:25], 0, v[3:4]
	v_not_b32_e32 v4, v4
	v_ashrrev_i32_e32 v4, 31, v4
	v_and_b32_e32 v43, v43, v44
	v_xor_b32_e32 v44, s25, v4
	v_xor_b32_e32 v4, s24, v4
	v_and_b32_e32 v42, v42, v4
	v_lshlrev_b32_e32 v4, 28, v5
	v_cmp_gt_i64_e64 s[24:25], 0, v[3:4]
	v_not_b32_e32 v4, v4
	v_ashrrev_i32_e32 v4, 31, v4
	v_and_b32_e32 v43, v43, v44
	;; [unrolled: 8-line block ×5, first 2 shown]
	v_xor_b32_e32 v44, s25, v4
	v_xor_b32_e32 v4, s24, v4
	v_and_b32_e32 v42, v42, v4
	v_lshlrev_b32_e32 v4, 24, v5
	v_cmp_gt_i64_e64 s[24:25], 0, v[3:4]
	v_not_b32_e32 v4, v4
	v_ashrrev_i32_e32 v4, 31, v4
	v_xor_b32_e32 v5, s25, v4
	v_xor_b32_e32 v4, s24, v4
	; wave barrier
	ds_read_b32 v52, v30 offset:16
	v_and_b32_e32 v43, v43, v44
	v_and_b32_e32 v4, v42, v4
	;; [unrolled: 1-line block ×3, first 2 shown]
	v_mbcnt_lo_u32_b32 v42, v4, 0
	v_mbcnt_hi_u32_b32 v53, v5, v42
	v_cmp_ne_u64_e64 s[24:25], 0, v[4:5]
	v_cmp_eq_u32_e64 s[26:27], 0, v53
	s_and_b64 s[26:27], s[24:25], s[26:27]
	; wave barrier
	s_and_saveexec_b64 s[24:25], s[26:27]
	s_cbranch_execz .LBB139_43
; %bb.42:
	v_bcnt_u32_b32 v4, v4, 0
	v_bcnt_u32_b32 v4, v5, v4
	s_waitcnt lgkmcnt(0)
	v_add_u32_e32 v4, v52, v4
	ds_write_b32 v30, v4 offset:16
.LBB139_43:
	s_or_b64 exec, exec, s[24:25]
	v_cmp_lt_i32_e64 s[24:25], -1, v26
	v_cndmask_b32_e64 v4, -1, v41, s[24:25]
	v_xor_b32_e32 v26, v4, v26
	v_cmp_ne_u32_e64 s[24:25], s28, v26
	v_cndmask_b32_e64 v4, v41, v26, s[24:25]
	v_lshrrev_b32_e32 v4, s68, v4
	v_and_b32_e32 v5, s74, v4
	v_mul_lo_u32 v4, v5, 20
	; wave barrier
	v_lshl_add_u32 v41, v24, 2, v4
	v_and_b32_e32 v4, 1, v5
	v_add_co_u32_e64 v42, s[24:25], -1, v4
	v_addc_co_u32_e64 v43, s[24:25], 0, -1, s[24:25]
	v_cmp_ne_u32_e64 s[24:25], 0, v4
	v_xor_b32_e32 v4, s25, v43
	v_and_b32_e32 v43, exec_hi, v4
	v_lshlrev_b32_e32 v4, 30, v5
	v_xor_b32_e32 v42, s24, v42
	v_cmp_gt_i64_e64 s[24:25], 0, v[3:4]
	v_not_b32_e32 v4, v4
	v_ashrrev_i32_e32 v4, 31, v4
	v_and_b32_e32 v42, exec_lo, v42
	v_xor_b32_e32 v44, s25, v4
	v_xor_b32_e32 v4, s24, v4
	v_and_b32_e32 v42, v42, v4
	v_lshlrev_b32_e32 v4, 29, v5
	v_cmp_gt_i64_e64 s[24:25], 0, v[3:4]
	v_not_b32_e32 v4, v4
	v_ashrrev_i32_e32 v4, 31, v4
	v_and_b32_e32 v43, v43, v44
	v_xor_b32_e32 v44, s25, v4
	v_xor_b32_e32 v4, s24, v4
	v_and_b32_e32 v42, v42, v4
	v_lshlrev_b32_e32 v4, 28, v5
	v_cmp_gt_i64_e64 s[24:25], 0, v[3:4]
	v_not_b32_e32 v4, v4
	v_ashrrev_i32_e32 v4, 31, v4
	v_and_b32_e32 v43, v43, v44
	v_xor_b32_e32 v44, s25, v4
	v_xor_b32_e32 v4, s24, v4
	v_and_b32_e32 v42, v42, v4
	v_lshlrev_b32_e32 v4, 27, v5
	v_cmp_gt_i64_e64 s[24:25], 0, v[3:4]
	v_not_b32_e32 v4, v4
	v_ashrrev_i32_e32 v4, 31, v4
	v_and_b32_e32 v43, v43, v44
	v_xor_b32_e32 v44, s25, v4
	v_xor_b32_e32 v4, s24, v4
	v_and_b32_e32 v42, v42, v4
	v_lshlrev_b32_e32 v4, 26, v5
	v_cmp_gt_i64_e64 s[24:25], 0, v[3:4]
	v_not_b32_e32 v4, v4
	v_ashrrev_i32_e32 v4, 31, v4
	v_and_b32_e32 v43, v43, v44
	v_xor_b32_e32 v44, s25, v4
	v_xor_b32_e32 v4, s24, v4
	v_and_b32_e32 v42, v42, v4
	v_lshlrev_b32_e32 v4, 25, v5
	v_cmp_gt_i64_e64 s[24:25], 0, v[3:4]
	v_not_b32_e32 v4, v4
	v_ashrrev_i32_e32 v4, 31, v4
	v_and_b32_e32 v43, v43, v44
	v_xor_b32_e32 v44, s25, v4
	v_xor_b32_e32 v4, s24, v4
	v_and_b32_e32 v42, v42, v4
	v_lshlrev_b32_e32 v4, 24, v5
	v_cmp_gt_i64_e64 s[24:25], 0, v[3:4]
	v_not_b32_e32 v3, v4
	v_ashrrev_i32_e32 v3, 31, v3
	v_xor_b32_e32 v4, s25, v3
	v_xor_b32_e32 v3, s24, v3
	ds_read_b32 v54, v41 offset:16
	v_and_b32_e32 v43, v43, v44
	v_and_b32_e32 v3, v42, v3
	;; [unrolled: 1-line block ×3, first 2 shown]
	v_mbcnt_lo_u32_b32 v5, v3, 0
	v_mbcnt_hi_u32_b32 v55, v4, v5
	v_cmp_ne_u64_e64 s[24:25], 0, v[3:4]
	v_cmp_eq_u32_e64 s[26:27], 0, v55
	s_and_b64 s[26:27], s[24:25], s[26:27]
	; wave barrier
	s_and_saveexec_b64 s[24:25], s[26:27]
	s_cbranch_execz .LBB139_45
; %bb.44:
	v_bcnt_u32_b32 v3, v3, 0
	v_bcnt_u32_b32 v3, v4, v3
	s_waitcnt lgkmcnt(0)
	v_add_u32_e32 v3, v54, v3
	ds_write_b32 v41, v3 offset:16
.LBB139_45:
	s_or_b64 exec, exec, s[24:25]
	v_bfrev_b32_e32 v43, 1
	v_cmp_lt_i32_e64 s[24:25], -1, v21
	v_cndmask_b32_e64 v3, -1, v43, s[24:25]
	v_xor_b32_e32 v21, v3, v21
	v_cmp_ne_u32_e64 s[24:25], s28, v21
	v_cndmask_b32_e64 v3, v43, v21, s[24:25]
	v_lshrrev_b32_e32 v3, s68, v3
	v_and_b32_e32 v5, s74, v3
	v_and_b32_e32 v4, 1, v5
	v_mul_lo_u32 v3, v5, 20
	v_add_co_u32_e64 v44, s[24:25], -1, v4
	v_addc_co_u32_e64 v57, s[24:25], 0, -1, s[24:25]
	v_cmp_ne_u32_e64 s[24:25], 0, v4
	v_xor_b32_e32 v4, s25, v57
	v_lshl_add_u32 v42, v24, 2, v3
	v_mov_b32_e32 v3, 0
	v_and_b32_e32 v57, exec_hi, v4
	v_lshlrev_b32_e32 v4, 30, v5
	v_xor_b32_e32 v44, s24, v44
	v_cmp_gt_i64_e64 s[24:25], 0, v[3:4]
	v_not_b32_e32 v4, v4
	v_ashrrev_i32_e32 v4, 31, v4
	v_and_b32_e32 v44, exec_lo, v44
	v_xor_b32_e32 v58, s25, v4
	v_xor_b32_e32 v4, s24, v4
	v_and_b32_e32 v44, v44, v4
	v_lshlrev_b32_e32 v4, 29, v5
	v_cmp_gt_i64_e64 s[24:25], 0, v[3:4]
	v_not_b32_e32 v4, v4
	v_ashrrev_i32_e32 v4, 31, v4
	v_and_b32_e32 v57, v57, v58
	v_xor_b32_e32 v58, s25, v4
	v_xor_b32_e32 v4, s24, v4
	v_and_b32_e32 v44, v44, v4
	v_lshlrev_b32_e32 v4, 28, v5
	v_cmp_gt_i64_e64 s[24:25], 0, v[3:4]
	v_not_b32_e32 v4, v4
	v_ashrrev_i32_e32 v4, 31, v4
	v_and_b32_e32 v57, v57, v58
	v_xor_b32_e32 v58, s25, v4
	v_xor_b32_e32 v4, s24, v4
	v_and_b32_e32 v44, v44, v4
	v_lshlrev_b32_e32 v4, 27, v5
	v_cmp_gt_i64_e64 s[24:25], 0, v[3:4]
	v_not_b32_e32 v4, v4
	v_ashrrev_i32_e32 v4, 31, v4
	v_and_b32_e32 v57, v57, v58
	v_xor_b32_e32 v58, s25, v4
	v_xor_b32_e32 v4, s24, v4
	v_and_b32_e32 v44, v44, v4
	v_lshlrev_b32_e32 v4, 26, v5
	v_cmp_gt_i64_e64 s[24:25], 0, v[3:4]
	v_not_b32_e32 v4, v4
	v_ashrrev_i32_e32 v4, 31, v4
	v_and_b32_e32 v57, v57, v58
	v_xor_b32_e32 v58, s25, v4
	v_xor_b32_e32 v4, s24, v4
	v_and_b32_e32 v44, v44, v4
	v_lshlrev_b32_e32 v4, 25, v5
	v_cmp_gt_i64_e64 s[24:25], 0, v[3:4]
	v_not_b32_e32 v4, v4
	v_ashrrev_i32_e32 v4, 31, v4
	v_and_b32_e32 v57, v57, v58
	v_xor_b32_e32 v58, s25, v4
	v_xor_b32_e32 v4, s24, v4
	v_and_b32_e32 v44, v44, v4
	v_lshlrev_b32_e32 v4, 24, v5
	v_cmp_gt_i64_e64 s[24:25], 0, v[3:4]
	v_not_b32_e32 v4, v4
	v_ashrrev_i32_e32 v4, 31, v4
	v_xor_b32_e32 v5, s25, v4
	v_xor_b32_e32 v4, s24, v4
	; wave barrier
	ds_read_b32 v56, v42 offset:16
	v_and_b32_e32 v57, v57, v58
	v_and_b32_e32 v4, v44, v4
	;; [unrolled: 1-line block ×3, first 2 shown]
	v_mbcnt_lo_u32_b32 v44, v4, 0
	v_mbcnt_hi_u32_b32 v58, v5, v44
	v_cmp_ne_u64_e64 s[24:25], 0, v[4:5]
	v_cmp_eq_u32_e64 s[26:27], 0, v58
	s_and_b64 s[26:27], s[24:25], s[26:27]
	; wave barrier
	s_and_saveexec_b64 s[24:25], s[26:27]
	s_cbranch_execz .LBB139_47
; %bb.46:
	v_bcnt_u32_b32 v4, v4, 0
	v_bcnt_u32_b32 v4, v5, v4
	s_waitcnt lgkmcnt(0)
	v_add_u32_e32 v4, v56, v4
	ds_write_b32 v42, v4 offset:16
.LBB139_47:
	s_or_b64 exec, exec, s[24:25]
	v_cmp_lt_i32_e64 s[24:25], -1, v6
	v_cndmask_b32_e64 v4, -1, v43, s[24:25]
	v_xor_b32_e32 v57, v4, v6
	v_cmp_ne_u32_e64 s[24:25], s28, v57
	v_cndmask_b32_e64 v4, v43, v57, s[24:25]
	v_lshrrev_b32_e32 v4, s68, v4
	v_and_b32_e32 v5, s74, v4
	v_mul_lo_u32 v4, v5, 20
	; wave barrier
	v_lshl_add_u32 v43, v24, 2, v4
	v_and_b32_e32 v4, 1, v5
	v_add_co_u32_e64 v6, s[24:25], -1, v4
	v_addc_co_u32_e64 v44, s[24:25], 0, -1, s[24:25]
	v_cmp_ne_u32_e64 s[24:25], 0, v4
	v_xor_b32_e32 v4, s25, v44
	v_and_b32_e32 v44, exec_hi, v4
	v_lshlrev_b32_e32 v4, 30, v5
	v_xor_b32_e32 v6, s24, v6
	v_cmp_gt_i64_e64 s[24:25], 0, v[3:4]
	v_not_b32_e32 v4, v4
	v_ashrrev_i32_e32 v4, 31, v4
	v_and_b32_e32 v6, exec_lo, v6
	v_xor_b32_e32 v59, s25, v4
	v_xor_b32_e32 v4, s24, v4
	v_and_b32_e32 v6, v6, v4
	v_lshlrev_b32_e32 v4, 29, v5
	v_cmp_gt_i64_e64 s[24:25], 0, v[3:4]
	v_not_b32_e32 v4, v4
	v_ashrrev_i32_e32 v4, 31, v4
	v_and_b32_e32 v44, v44, v59
	v_xor_b32_e32 v59, s25, v4
	v_xor_b32_e32 v4, s24, v4
	v_and_b32_e32 v6, v6, v4
	v_lshlrev_b32_e32 v4, 28, v5
	v_cmp_gt_i64_e64 s[24:25], 0, v[3:4]
	v_not_b32_e32 v4, v4
	v_ashrrev_i32_e32 v4, 31, v4
	v_and_b32_e32 v44, v44, v59
	;; [unrolled: 8-line block ×5, first 2 shown]
	v_xor_b32_e32 v59, s25, v4
	v_xor_b32_e32 v4, s24, v4
	v_and_b32_e32 v6, v6, v4
	v_lshlrev_b32_e32 v4, 24, v5
	v_cmp_gt_i64_e64 s[24:25], 0, v[3:4]
	v_not_b32_e32 v3, v4
	v_ashrrev_i32_e32 v3, 31, v3
	v_xor_b32_e32 v4, s25, v3
	v_xor_b32_e32 v3, s24, v3
	ds_read_b32 v24, v43 offset:16
	v_and_b32_e32 v44, v44, v59
	v_and_b32_e32 v3, v6, v3
	;; [unrolled: 1-line block ×3, first 2 shown]
	v_mbcnt_lo_u32_b32 v5, v3, 0
	v_mbcnt_hi_u32_b32 v59, v4, v5
	v_cmp_ne_u64_e64 s[24:25], 0, v[3:4]
	v_cmp_eq_u32_e64 s[26:27], 0, v59
	s_and_b64 s[26:27], s[24:25], s[26:27]
	; wave barrier
	s_and_saveexec_b64 s[24:25], s[26:27]
	s_cbranch_execz .LBB139_49
; %bb.48:
	v_bcnt_u32_b32 v3, v3, 0
	v_bcnt_u32_b32 v3, v4, v3
	s_waitcnt lgkmcnt(0)
	v_add_u32_e32 v3, v24, v3
	ds_write_b32 v43, v3 offset:16
.LBB139_49:
	s_or_b64 exec, exec, s[24:25]
	; wave barrier
	s_waitcnt lgkmcnt(0)
	s_barrier
	ds_read2_b32 v[5:6], v11 offset0:4 offset1:5
	ds_read2_b32 v[3:4], v11 offset0:6 offset1:7
	ds_read_b32 v44, v11 offset:32
	v_min_u32_e32 v7, 0xc0, v7
	v_or_b32_e32 v7, 63, v7
	s_waitcnt lgkmcnt(1)
	v_add3_u32 v60, v6, v5, v3
	s_waitcnt lgkmcnt(0)
	v_add3_u32 v44, v60, v4, v44
	v_and_b32_e32 v60, 15, v9
	v_cmp_ne_u32_e64 s[24:25], 0, v60
	v_mov_b32_dpp v61, v44 row_shr:1 row_mask:0xf bank_mask:0xf
	v_cndmask_b32_e64 v61, 0, v61, s[24:25]
	v_add_u32_e32 v44, v61, v44
	v_cmp_lt_u32_e64 s[24:25], 1, v60
	s_nop 0
	v_mov_b32_dpp v61, v44 row_shr:2 row_mask:0xf bank_mask:0xf
	v_cndmask_b32_e64 v61, 0, v61, s[24:25]
	v_add_u32_e32 v44, v44, v61
	v_cmp_lt_u32_e64 s[24:25], 3, v60
	s_nop 0
	;; [unrolled: 5-line block ×3, first 2 shown]
	v_mov_b32_dpp v61, v44 row_shr:8 row_mask:0xf bank_mask:0xf
	v_cndmask_b32_e64 v60, 0, v61, s[24:25]
	v_add_u32_e32 v44, v44, v60
	v_bfe_i32 v61, v9, 4, 1
	v_cmp_lt_u32_e64 s[24:25], 31, v9
	v_mov_b32_dpp v60, v44 row_bcast:15 row_mask:0xf bank_mask:0xf
	v_and_b32_e32 v60, v61, v60
	v_add_u32_e32 v44, v44, v60
	s_nop 1
	v_mov_b32_dpp v60, v44 row_bcast:31 row_mask:0xf bank_mask:0xf
	v_cndmask_b32_e64 v60, 0, v60, s[24:25]
	v_add_u32_e32 v44, v44, v60
	v_lshrrev_b32_e32 v60, 6, v0
	v_cmp_eq_u32_e64 s[24:25], v0, v7
	s_and_saveexec_b64 s[26:27], s[24:25]
; %bb.50:
	v_lshlrev_b32_e32 v7, 2, v60
	ds_write_b32 v7, v44
; %bb.51:
	s_or_b64 exec, exec, s[26:27]
	v_cmp_gt_u32_e64 s[24:25], 4, v0
	s_waitcnt lgkmcnt(0)
	s_barrier
	s_and_saveexec_b64 s[26:27], s[24:25]
	s_cbranch_execz .LBB139_53
; %bb.52:
	v_lshlrev_b32_e32 v7, 2, v0
	ds_read_b32 v61, v7
	v_and_b32_e32 v62, 3, v9
	v_cmp_ne_u32_e64 s[24:25], 0, v62
	s_waitcnt lgkmcnt(0)
	v_mov_b32_dpp v63, v61 row_shr:1 row_mask:0xf bank_mask:0xf
	v_cndmask_b32_e64 v63, 0, v63, s[24:25]
	v_add_u32_e32 v61, v63, v61
	v_cmp_lt_u32_e64 s[24:25], 1, v62
	s_nop 0
	v_mov_b32_dpp v63, v61 row_shr:2 row_mask:0xf bank_mask:0xf
	v_cndmask_b32_e64 v62, 0, v63, s[24:25]
	v_add_u32_e32 v61, v61, v62
	ds_write_b32 v7, v61
.LBB139_53:
	s_or_b64 exec, exec, s[26:27]
	v_cmp_lt_u32_e64 s[24:25], 63, v0
	v_mov_b32_e32 v7, 0
	s_waitcnt lgkmcnt(0)
	s_barrier
	s_and_saveexec_b64 s[26:27], s[24:25]
; %bb.54:
	v_lshl_add_u32 v7, v60, 2, -4
	ds_read_b32 v7, v7
; %bb.55:
	s_or_b64 exec, exec, s[26:27]
	v_add_u32_e32 v60, -1, v9
	v_and_b32_e32 v61, 64, v9
	v_cmp_lt_i32_e64 s[24:25], v60, v61
	v_cndmask_b32_e64 v60, v60, v9, s[24:25]
	s_waitcnt lgkmcnt(0)
	v_add_u32_e32 v44, v7, v44
	v_lshlrev_b32_e32 v60, 2, v60
	ds_bpermute_b32 v44, v60, v44
	v_cmp_eq_u32_e64 s[24:25], 0, v9
	s_waitcnt lgkmcnt(0)
	v_cndmask_b32_e64 v7, v44, v7, s[24:25]
	v_cmp_ne_u32_e64 s[24:25], 0, v0
	v_cndmask_b32_e64 v7, 0, v7, s[24:25]
	v_add_u32_e32 v5, v7, v5
	v_add_u32_e32 v6, v5, v6
	;; [unrolled: 1-line block ×4, first 2 shown]
	ds_write2_b32 v11, v7, v5 offset0:4 offset1:5
	ds_write2_b32 v11, v6, v3 offset0:6 offset1:7
	ds_write_b32 v11, v4 offset:32
	s_waitcnt lgkmcnt(0)
	s_barrier
	ds_read_b32 v4, v40 offset:16
	ds_read_b32 v5, v30 offset:16
	;; [unrolled: 1-line block ×13, first 2 shown]
	v_add_u32_e32 v11, 1, v0
	s_movk_i32 s24, 0x100
	v_cmp_ne_u32_e64 s[24:25], s24, v11
	v_mov_b32_e32 v3, 0xc00
	s_and_saveexec_b64 s[26:27], s[24:25]
; %bb.56:
	v_mul_u32_u24_e32 v3, 20, v11
	ds_read_b32 v3, v3 offset:16
; %bb.57:
	s_or_b64 exec, exec, s[26:27]
	s_waitcnt lgkmcnt(7)
	v_add_u32_e32 v44, v14, v12
	s_waitcnt lgkmcnt(6)
	v_add3_u32 v43, v17, v15, v16
	s_waitcnt lgkmcnt(2)
	v_add3_u32 v39, v38, v36, v37
	v_add3_u32 v37, v51, v35, v4
	v_lshlrev_b32_e32 v4, 2, v44
	v_add3_u32 v42, v23, v19, v20
	s_waitcnt lgkmcnt(0)
	s_barrier
	ds_write_b32 v4, v8 offset:2048
	v_lshlrev_b32_e32 v4, 2, v43
	v_add3_u32 v41, v28, v25, v27
	ds_write_b32 v4, v13 offset:2048
	v_lshlrev_b32_e32 v4, 2, v42
	v_add3_u32 v40, v34, v32, v33
	ds_write_b32 v4, v18 offset:2048
	v_lshlrev_b32_e32 v4, 2, v41
	ds_write_b32 v4, v22 offset:2048
	v_lshlrev_b32_e32 v4, 2, v40
	v_add3_u32 v38, v49, v47, v61
	ds_write_b32 v4, v31 offset:2048
	v_lshlrev_b32_e32 v4, 2, v39
	;; [unrolled: 5-line block ×3, first 2 shown]
	v_add3_u32 v35, v55, v54, v6
	ds_write_b32 v4, v48 offset:2048
	v_lshlrev_b32_e32 v4, 2, v36
	v_add3_u32 v34, v58, v56, v7
	ds_write_b32 v4, v50 offset:2048
	v_lshlrev_b32_e32 v4, 2, v35
	v_add3_u32 v33, v59, v24, v60
	ds_write_b32 v4, v26 offset:2048
	v_lshlrev_b32_e32 v4, 2, v34
	ds_write_b32 v4, v21 offset:2048
	v_lshlrev_b32_e32 v4, 2, v33
	ds_write_b32 v4, v57 offset:2048
	v_sub_u32_e32 v31, v3, v30
	v_lshl_or_b32 v3, s6, 8, v0
	v_mov_b32_e32 v4, 0
	v_lshlrev_b64 v[5:6], 2, v[3:4]
	v_mov_b32_e32 v11, s73
	v_add_co_u32_e64 v5, s[24:25], s72, v5
	v_addc_co_u32_e64 v6, s[24:25], v11, v6, s[24:25]
	v_or_b32_e32 v3, 2.0, v31
	s_mov_b64 s[26:27], 0
	s_brev_b32 s34, -4
	s_mov_b32 s35, s7
	v_mov_b32_e32 v12, 0
	s_waitcnt lgkmcnt(0)
	s_barrier
	global_store_dword v[5:6], v3, off
                                        ; implicit-def: $sgpr24_sgpr25
	s_branch .LBB139_60
.LBB139_58:                             ;   in Loop: Header=BB139_60 Depth=1
	s_or_b64 exec, exec, s[30:31]
.LBB139_59:                             ;   in Loop: Header=BB139_60 Depth=1
	s_or_b64 exec, exec, s[28:29]
	v_and_b32_e32 v7, 0x3fffffff, v3
	v_add_u32_e32 v12, v7, v12
	v_cmp_gt_i32_e64 s[24:25], -2.0, v3
	s_and_b64 s[28:29], exec, s[24:25]
	s_or_b64 s[26:27], s[28:29], s[26:27]
	s_andn2_b64 exec, exec, s[26:27]
	s_cbranch_execz .LBB139_65
.LBB139_60:                             ; =>This Loop Header: Depth=1
                                        ;     Child Loop BB139_63 Depth 2
	s_or_b64 s[24:25], s[24:25], exec
	s_cmp_eq_u32 s35, 0
	s_cbranch_scc1 .LBB139_64
; %bb.61:                               ;   in Loop: Header=BB139_60 Depth=1
	s_add_i32 s35, s35, -1
	v_lshl_or_b32 v3, s35, 8, v0
	v_lshlrev_b64 v[7:8], 2, v[3:4]
	v_add_co_u32_e64 v7, s[24:25], s72, v7
	v_addc_co_u32_e64 v8, s[24:25], v11, v8, s[24:25]
	global_load_dword v3, v[7:8], off glc
	s_waitcnt vmcnt(0)
	v_cmp_gt_u32_e64 s[24:25], 2.0, v3
	s_and_saveexec_b64 s[28:29], s[24:25]
	s_cbranch_execz .LBB139_59
; %bb.62:                               ;   in Loop: Header=BB139_60 Depth=1
	s_mov_b64 s[30:31], 0
.LBB139_63:                             ;   Parent Loop BB139_60 Depth=1
                                        ; =>  This Inner Loop Header: Depth=2
	global_load_dword v3, v[7:8], off glc
	s_waitcnt vmcnt(0)
	v_cmp_lt_u32_e64 s[24:25], s34, v3
	s_or_b64 s[30:31], s[24:25], s[30:31]
	s_andn2_b64 exec, exec, s[30:31]
	s_cbranch_execnz .LBB139_63
	s_branch .LBB139_58
.LBB139_64:                             ;   in Loop: Header=BB139_60 Depth=1
                                        ; implicit-def: $sgpr35
	s_and_b64 s[28:29], exec, s[24:25]
	s_or_b64 s[26:27], s[28:29], s[26:27]
	s_andn2_b64 exec, exec, s[26:27]
	s_cbranch_execnz .LBB139_60
.LBB139_65:
	s_or_b64 exec, exec, s[26:27]
	v_add_u32_e32 v3, v12, v31
	v_or_b32_e32 v3, 0x80000000, v3
	v_lshlrev_b32_e32 v32, 3, v0
	global_store_dword v[5:6], v3, off
	global_load_dwordx2 v[3:4], v32, s[64:65]
	v_sub_co_u32_e64 v5, s[24:25], v12, v30
	v_subb_co_u32_e64 v6, s[24:25], 0, 0, s[24:25]
	s_waitcnt vmcnt(0)
	v_add_co_u32_e64 v3, s[24:25], v5, v3
	v_addc_co_u32_e64 v4, s[24:25], v6, v4, s[24:25]
	v_cmp_gt_u32_e64 s[24:25], s70, v0
	ds_write_b64 v32, v[3:4]
	s_waitcnt lgkmcnt(0)
	s_barrier
	s_and_saveexec_b64 s[28:29], s[24:25]
	s_cbranch_execz .LBB139_67
; %bb.66:
	v_lshlrev_b32_e32 v5, 2, v0
	v_sub_u32_e32 v3, v32, v5
	ds_read_b32 v6, v3 offset:2048
	s_brev_b32 s26, -2
	v_bfrev_b32_e32 v7, 1
	v_mov_b32_e32 v8, s59
	s_waitcnt lgkmcnt(0)
	v_cmp_ne_u32_e64 s[26:27], s26, v6
	v_cndmask_b32_e64 v3, v7, v6, s[26:27]
	v_lshrrev_b32_e32 v3, s68, v3
	v_and_b32_e32 v3, s74, v3
	v_lshlrev_b32_e32 v3, 3, v3
	ds_read_b64 v[3:4], v3
	v_cmp_lt_i32_e64 s[26:27], -1, v6
	v_cndmask_b32_e64 v7, v7, -1, s[26:27]
	v_xor_b32_e32 v6, v7, v6
	s_waitcnt lgkmcnt(0)
	v_lshlrev_b64 v[3:4], 2, v[3:4]
	v_add_co_u32_e64 v3, s[26:27], s58, v3
	v_addc_co_u32_e64 v4, s[26:27], v8, v4, s[26:27]
	v_add_co_u32_e64 v3, s[26:27], v3, v5
	v_addc_co_u32_e64 v4, s[26:27], 0, v4, s[26:27]
	global_store_dword v[3:4], v6, off
.LBB139_67:
	s_or_b64 exec, exec, s[28:29]
	v_or_b32_e32 v3, 0x100, v0
	v_cmp_gt_u32_e64 s[26:27], s70, v3
	s_and_saveexec_b64 s[30:31], s[26:27]
	s_cbranch_execz .LBB139_69
; %bb.68:
	v_lshlrev_b32_e32 v5, 2, v0
	v_sub_u32_e32 v3, v32, v5
	ds_read_b32 v6, v3 offset:3072
	s_brev_b32 s28, -2
	v_bfrev_b32_e32 v7, 1
	v_mov_b32_e32 v8, s59
	s_waitcnt lgkmcnt(0)
	v_cmp_ne_u32_e64 s[28:29], s28, v6
	v_cndmask_b32_e64 v3, v7, v6, s[28:29]
	v_lshrrev_b32_e32 v3, s68, v3
	v_and_b32_e32 v3, s74, v3
	v_lshlrev_b32_e32 v3, 3, v3
	ds_read_b64 v[3:4], v3
	v_cmp_lt_i32_e64 s[28:29], -1, v6
	v_cndmask_b32_e64 v7, v7, -1, s[28:29]
	v_xor_b32_e32 v6, v7, v6
	s_waitcnt lgkmcnt(0)
	v_lshlrev_b64 v[3:4], 2, v[3:4]
	v_add_co_u32_e64 v3, s[28:29], s58, v3
	v_addc_co_u32_e64 v4, s[28:29], v8, v4, s[28:29]
	v_add_co_u32_e64 v3, s[28:29], v3, v5
	v_addc_co_u32_e64 v4, s[28:29], 0, v4, s[28:29]
	global_store_dword v[3:4], v6, off offset:1024
.LBB139_69:
	s_or_b64 exec, exec, s[30:31]
	v_or_b32_e32 v45, 0x200, v0
	v_cmp_gt_u32_e64 s[28:29], s70, v45
	s_and_saveexec_b64 s[34:35], s[28:29]
	s_cbranch_execz .LBB139_71
; %bb.70:
	v_lshlrev_b32_e32 v5, 2, v0
	v_sub_u32_e32 v3, v32, v5
	ds_read_b32 v6, v3 offset:4096
	s_brev_b32 s30, -2
	v_bfrev_b32_e32 v7, 1
	v_mov_b32_e32 v8, s59
	s_waitcnt lgkmcnt(0)
	v_cmp_ne_u32_e64 s[30:31], s30, v6
	v_cndmask_b32_e64 v3, v7, v6, s[30:31]
	v_lshrrev_b32_e32 v3, s68, v3
	v_and_b32_e32 v3, s74, v3
	v_lshlrev_b32_e32 v3, 3, v3
	ds_read_b64 v[3:4], v3
	v_cmp_lt_i32_e64 s[30:31], -1, v6
	v_cndmask_b32_e64 v7, v7, -1, s[30:31]
	v_xor_b32_e32 v6, v7, v6
	s_waitcnt lgkmcnt(0)
	v_lshlrev_b64 v[3:4], 2, v[3:4]
	v_add_co_u32_e64 v3, s[30:31], s58, v3
	v_addc_co_u32_e64 v4, s[30:31], v8, v4, s[30:31]
	v_add_co_u32_e64 v3, s[30:31], v3, v5
	v_addc_co_u32_e64 v4, s[30:31], 0, v4, s[30:31]
	global_store_dword v[3:4], v6, off offset:2048
.LBB139_71:
	;; [unrolled: 30-line block ×3, first 2 shown]
	s_or_b64 exec, exec, s[36:37]
	v_or_b32_e32 v47, 0x400, v0
	v_cmp_gt_u32_e64 s[34:35], s70, v47
	s_and_saveexec_b64 s[38:39], s[34:35]
	s_cbranch_execz .LBB139_75
; %bb.74:
	v_lshlrev_b32_e32 v3, 2, v0
	v_sub_u32_e32 v3, v32, v3
	ds_read_b32 v5, v3 offset:6144
	s_brev_b32 s36, -2
	v_bfrev_b32_e32 v6, 1
	v_mov_b32_e32 v7, s59
	s_waitcnt lgkmcnt(0)
	v_cmp_ne_u32_e64 s[36:37], s36, v5
	v_cndmask_b32_e64 v3, v6, v5, s[36:37]
	v_lshrrev_b32_e32 v3, s68, v3
	v_and_b32_e32 v3, s74, v3
	v_lshlrev_b32_e32 v3, 3, v3
	ds_read_b64 v[3:4], v3
	v_cmp_lt_i32_e64 s[36:37], -1, v5
	v_cndmask_b32_e64 v6, v6, -1, s[36:37]
	v_xor_b32_e32 v5, v6, v5
	v_lshlrev_b32_e32 v6, 2, v47
	s_waitcnt lgkmcnt(0)
	v_lshlrev_b64 v[3:4], 2, v[3:4]
	v_add_co_u32_e64 v3, s[36:37], s58, v3
	v_addc_co_u32_e64 v4, s[36:37], v7, v4, s[36:37]
	v_add_co_u32_e64 v3, s[36:37], v3, v6
	v_addc_co_u32_e64 v4, s[36:37], 0, v4, s[36:37]
	global_store_dword v[3:4], v5, off
.LBB139_75:
	s_or_b64 exec, exec, s[38:39]
	v_or_b32_e32 v48, 0x500, v0
	v_cmp_gt_u32_e64 s[36:37], s70, v48
	s_and_saveexec_b64 s[40:41], s[36:37]
	s_cbranch_execz .LBB139_77
; %bb.76:
	v_lshlrev_b32_e32 v3, 2, v0
	v_sub_u32_e32 v3, v32, v3
	ds_read_b32 v5, v3 offset:7168
	s_brev_b32 s38, -2
	v_bfrev_b32_e32 v6, 1
	v_mov_b32_e32 v7, s59
	s_waitcnt lgkmcnt(0)
	v_cmp_ne_u32_e64 s[38:39], s38, v5
	v_cndmask_b32_e64 v3, v6, v5, s[38:39]
	v_lshrrev_b32_e32 v3, s68, v3
	v_and_b32_e32 v3, s74, v3
	v_lshlrev_b32_e32 v3, 3, v3
	ds_read_b64 v[3:4], v3
	v_cmp_lt_i32_e64 s[38:39], -1, v5
	v_cndmask_b32_e64 v6, v6, -1, s[38:39]
	v_xor_b32_e32 v5, v6, v5
	v_lshlrev_b32_e32 v6, 2, v48
	s_waitcnt lgkmcnt(0)
	v_lshlrev_b64 v[3:4], 2, v[3:4]
	v_add_co_u32_e64 v3, s[38:39], s58, v3
	v_addc_co_u32_e64 v4, s[38:39], v7, v4, s[38:39]
	v_add_co_u32_e64 v3, s[38:39], v3, v6
	v_addc_co_u32_e64 v4, s[38:39], 0, v4, s[38:39]
	global_store_dword v[3:4], v5, off
.LBB139_77:
	;; [unrolled: 31-line block ×3, first 2 shown]
	s_or_b64 exec, exec, s[42:43]
	v_or_b32_e32 v50, 0x700, v0
	v_cmp_gt_u32_e64 s[40:41], s70, v50
	s_and_saveexec_b64 s[44:45], s[40:41]
	s_cbranch_execz .LBB139_81
; %bb.80:
	v_lshlrev_b32_e32 v3, 2, v0
	ds_read_b32 v5, v3 offset:9216
	s_brev_b32 s42, -2
	v_bfrev_b32_e32 v6, 1
	v_mov_b32_e32 v7, s59
	s_waitcnt lgkmcnt(0)
	v_cmp_ne_u32_e64 s[42:43], s42, v5
	v_cndmask_b32_e64 v3, v6, v5, s[42:43]
	v_lshrrev_b32_e32 v3, s68, v3
	v_and_b32_e32 v3, s74, v3
	v_lshlrev_b32_e32 v3, 3, v3
	ds_read_b64 v[3:4], v3
	v_cmp_lt_i32_e64 s[42:43], -1, v5
	v_cndmask_b32_e64 v6, v6, -1, s[42:43]
	v_xor_b32_e32 v5, v6, v5
	v_lshlrev_b32_e32 v6, 2, v50
	s_waitcnt lgkmcnt(0)
	v_lshlrev_b64 v[3:4], 2, v[3:4]
	v_add_co_u32_e64 v3, s[42:43], s58, v3
	v_addc_co_u32_e64 v4, s[42:43], v7, v4, s[42:43]
	v_add_co_u32_e64 v3, s[42:43], v3, v6
	v_addc_co_u32_e64 v4, s[42:43], 0, v4, s[42:43]
	global_store_dword v[3:4], v5, off
.LBB139_81:
	s_or_b64 exec, exec, s[44:45]
	v_or_b32_e32 v51, 0x800, v0
	v_cmp_gt_u32_e64 s[42:43], s70, v51
	s_and_saveexec_b64 s[46:47], s[42:43]
	s_cbranch_execz .LBB139_83
; %bb.82:
	v_lshlrev_b32_e32 v3, 2, v0
	ds_read_b32 v5, v3 offset:10240
	s_brev_b32 s44, -2
	v_bfrev_b32_e32 v6, 1
	v_mov_b32_e32 v7, s59
	s_waitcnt lgkmcnt(0)
	v_cmp_ne_u32_e64 s[44:45], s44, v5
	v_cndmask_b32_e64 v3, v6, v5, s[44:45]
	v_lshrrev_b32_e32 v3, s68, v3
	v_and_b32_e32 v3, s74, v3
	v_lshlrev_b32_e32 v3, 3, v3
	ds_read_b64 v[3:4], v3
	v_cmp_lt_i32_e64 s[44:45], -1, v5
	v_cndmask_b32_e64 v6, v6, -1, s[44:45]
	v_xor_b32_e32 v5, v6, v5
	v_lshlrev_b32_e32 v6, 2, v51
	s_waitcnt lgkmcnt(0)
	v_lshlrev_b64 v[3:4], 2, v[3:4]
	v_add_co_u32_e64 v3, s[44:45], s58, v3
	v_addc_co_u32_e64 v4, s[44:45], v7, v4, s[44:45]
	v_add_co_u32_e64 v3, s[44:45], v3, v6
	v_addc_co_u32_e64 v4, s[44:45], 0, v4, s[44:45]
	global_store_dword v[3:4], v5, off
.LBB139_83:
	;; [unrolled: 30-line block ×5, first 2 shown]
	s_or_b64 exec, exec, s[70:71]
	s_lshl_b64 s[52:53], s[54:55], 3
	s_add_u32 s52, s60, s52
	s_addc_u32 s53, s61, s53
	v_lshlrev_b32_e32 v3, 3, v9
	v_mov_b32_e32 v4, s53
	v_add_co_u32_e64 v3, s[52:53], s52, v3
	v_addc_co_u32_e64 v4, s[52:53], 0, v4, s[52:53]
	v_lshlrev_b32_e32 v5, 3, v10
	v_add_co_u32_e64 v27, s[52:53], v3, v5
	v_addc_co_u32_e64 v28, s[52:53], 0, v4, s[52:53]
                                        ; implicit-def: $vgpr3_vgpr4
	s_and_saveexec_b64 s[52:53], vcc
	s_xor_b64 s[52:53], exec, s[52:53]
	s_cbranch_execz .LBB139_101
; %bb.90:
	global_load_dwordx2 v[3:4], v[27:28], off
	s_or_b64 exec, exec, s[52:53]
                                        ; implicit-def: $vgpr5_vgpr6
	s_and_saveexec_b64 s[52:53], s[0:1]
	s_cbranch_execnz .LBB139_102
.LBB139_91:
	s_or_b64 exec, exec, s[52:53]
                                        ; implicit-def: $vgpr7_vgpr8
	s_and_saveexec_b64 s[0:1], s[2:3]
	s_cbranch_execz .LBB139_103
.LBB139_92:
	global_load_dwordx2 v[7:8], v[27:28], off offset:1024
	s_or_b64 exec, exec, s[0:1]
                                        ; implicit-def: $vgpr9_vgpr10
	s_and_saveexec_b64 s[0:1], s[50:51]
	s_cbranch_execnz .LBB139_104
.LBB139_93:
	s_or_b64 exec, exec, s[0:1]
                                        ; implicit-def: $vgpr11_vgpr12
	s_and_saveexec_b64 s[0:1], s[8:9]
	s_cbranch_execz .LBB139_105
.LBB139_94:
	global_load_dwordx2 v[11:12], v[27:28], off offset:2048
	s_or_b64 exec, exec, s[0:1]
                                        ; implicit-def: $vgpr13_vgpr14
	s_and_saveexec_b64 s[0:1], s[12:13]
	s_cbranch_execnz .LBB139_106
.LBB139_95:
	s_or_b64 exec, exec, s[0:1]
                                        ; implicit-def: $vgpr15_vgpr16
	s_and_saveexec_b64 s[0:1], s[16:17]
	s_cbranch_execz .LBB139_107
.LBB139_96:
	global_load_dwordx2 v[15:16], v[27:28], off offset:3072
	s_or_b64 exec, exec, s[0:1]
                                        ; implicit-def: $vgpr17_vgpr18
	s_and_saveexec_b64 s[0:1], s[20:21]
	s_cbranch_execnz .LBB139_108
.LBB139_97:
	s_or_b64 exec, exec, s[0:1]
                                        ; implicit-def: $vgpr19_vgpr20
	s_and_saveexec_b64 s[0:1], s[22:23]
	s_cbranch_execz .LBB139_109
.LBB139_98:
	v_add_co_u32_e32 v19, vcc, 0x1000, v27
	v_addc_co_u32_e32 v20, vcc, 0, v28, vcc
	global_load_dwordx2 v[19:20], v[19:20], off
	s_or_b64 exec, exec, s[0:1]
                                        ; implicit-def: $vgpr21_vgpr22
	s_and_saveexec_b64 s[0:1], s[18:19]
	s_cbranch_execnz .LBB139_110
.LBB139_99:
	s_or_b64 exec, exec, s[0:1]
                                        ; implicit-def: $vgpr23_vgpr24
	s_and_saveexec_b64 s[0:1], s[14:15]
	s_cbranch_execz .LBB139_111
.LBB139_100:
	v_add_co_u32_e32 v23, vcc, 0x1000, v27
	v_addc_co_u32_e32 v24, vcc, 0, v28, vcc
	global_load_dwordx2 v[23:24], v[23:24], off offset:1024
	s_or_b64 exec, exec, s[0:1]
                                        ; implicit-def: $vgpr25_vgpr26
	s_and_saveexec_b64 s[0:1], s[10:11]
	s_cbranch_execnz .LBB139_112
	s_branch .LBB139_113
.LBB139_101:
	s_or_b64 exec, exec, s[52:53]
                                        ; implicit-def: $vgpr5_vgpr6
	s_and_saveexec_b64 s[52:53], s[0:1]
	s_cbranch_execz .LBB139_91
.LBB139_102:
	global_load_dwordx2 v[5:6], v[27:28], off offset:512
	s_or_b64 exec, exec, s[52:53]
                                        ; implicit-def: $vgpr7_vgpr8
	s_and_saveexec_b64 s[0:1], s[2:3]
	s_cbranch_execnz .LBB139_92
.LBB139_103:
	s_or_b64 exec, exec, s[0:1]
                                        ; implicit-def: $vgpr9_vgpr10
	s_and_saveexec_b64 s[0:1], s[50:51]
	s_cbranch_execz .LBB139_93
.LBB139_104:
	global_load_dwordx2 v[9:10], v[27:28], off offset:1536
	s_or_b64 exec, exec, s[0:1]
                                        ; implicit-def: $vgpr11_vgpr12
	s_and_saveexec_b64 s[0:1], s[8:9]
	s_cbranch_execnz .LBB139_94
.LBB139_105:
	s_or_b64 exec, exec, s[0:1]
                                        ; implicit-def: $vgpr13_vgpr14
	s_and_saveexec_b64 s[0:1], s[12:13]
	s_cbranch_execz .LBB139_95
.LBB139_106:
	global_load_dwordx2 v[13:14], v[27:28], off offset:2560
	s_or_b64 exec, exec, s[0:1]
                                        ; implicit-def: $vgpr15_vgpr16
	s_and_saveexec_b64 s[0:1], s[16:17]
	s_cbranch_execnz .LBB139_96
.LBB139_107:
	s_or_b64 exec, exec, s[0:1]
                                        ; implicit-def: $vgpr17_vgpr18
	s_and_saveexec_b64 s[0:1], s[20:21]
	s_cbranch_execz .LBB139_97
.LBB139_108:
	global_load_dwordx2 v[17:18], v[27:28], off offset:3584
	s_or_b64 exec, exec, s[0:1]
                                        ; implicit-def: $vgpr19_vgpr20
	s_and_saveexec_b64 s[0:1], s[22:23]
	s_cbranch_execnz .LBB139_98
.LBB139_109:
	s_or_b64 exec, exec, s[0:1]
                                        ; implicit-def: $vgpr21_vgpr22
	s_and_saveexec_b64 s[0:1], s[18:19]
	s_cbranch_execz .LBB139_99
.LBB139_110:
	v_add_co_u32_e32 v21, vcc, 0x1000, v27
	v_addc_co_u32_e32 v22, vcc, 0, v28, vcc
	global_load_dwordx2 v[21:22], v[21:22], off offset:512
	s_or_b64 exec, exec, s[0:1]
                                        ; implicit-def: $vgpr23_vgpr24
	s_and_saveexec_b64 s[0:1], s[14:15]
	s_cbranch_execnz .LBB139_100
.LBB139_111:
	s_or_b64 exec, exec, s[0:1]
                                        ; implicit-def: $vgpr25_vgpr26
	s_and_saveexec_b64 s[0:1], s[10:11]
	s_cbranch_execz .LBB139_113
.LBB139_112:
	v_add_co_u32_e32 v25, vcc, 0x1000, v27
	v_addc_co_u32_e32 v26, vcc, 0, v28, vcc
	global_load_dwordx2 v[25:26], v[25:26], off offset:1536
.LBB139_113:
	s_or_b64 exec, exec, s[0:1]
	v_mov_b32_e32 v60, 0
	v_mov_b32_e32 v64, 0
	s_and_saveexec_b64 s[0:1], s[24:25]
	s_cbranch_execz .LBB139_115
; %bb.114:
	v_lshlrev_b32_e32 v27, 2, v0
	ds_read_b32 v27, v27 offset:2048
	s_brev_b32 s2, -2
	v_bfrev_b32_e32 v28, 1
	s_waitcnt lgkmcnt(0)
	v_cmp_ne_u32_e32 vcc, s2, v27
	v_cndmask_b32_e32 v27, v28, v27, vcc
	v_lshrrev_b32_e32 v27, s68, v27
	v_and_b32_e32 v64, s74, v27
.LBB139_115:
	s_or_b64 exec, exec, s[0:1]
	s_and_saveexec_b64 s[0:1], s[26:27]
	s_cbranch_execz .LBB139_117
; %bb.116:
	v_lshlrev_b32_e32 v27, 2, v0
	ds_read_b32 v27, v27 offset:3072
	s_brev_b32 s2, -2
	v_bfrev_b32_e32 v28, 1
	s_waitcnt lgkmcnt(0)
	v_cmp_ne_u32_e32 vcc, s2, v27
	v_cndmask_b32_e32 v27, v28, v27, vcc
	v_lshrrev_b32_e32 v27, s68, v27
	v_and_b32_e32 v60, s74, v27
.LBB139_117:
	s_or_b64 exec, exec, s[0:1]
	v_mov_b32_e32 v58, 0
	v_mov_b32_e32 v63, 0
	s_and_saveexec_b64 s[0:1], s[28:29]
	s_cbranch_execz .LBB139_119
; %bb.118:
	v_lshlrev_b32_e32 v27, 2, v0
	ds_read_b32 v27, v27 offset:4096
	s_brev_b32 s2, -2
	v_bfrev_b32_e32 v28, 1
	s_waitcnt lgkmcnt(0)
	v_cmp_ne_u32_e32 vcc, s2, v27
	v_cndmask_b32_e32 v27, v28, v27, vcc
	v_lshrrev_b32_e32 v27, s68, v27
	v_and_b32_e32 v63, s74, v27
.LBB139_119:
	s_or_b64 exec, exec, s[0:1]
	s_and_saveexec_b64 s[0:1], s[30:31]
	s_cbranch_execz .LBB139_121
; %bb.120:
	v_lshlrev_b32_e32 v27, 2, v0
	ds_read_b32 v27, v27 offset:5120
	s_brev_b32 s2, -2
	v_bfrev_b32_e32 v28, 1
	s_waitcnt lgkmcnt(0)
	v_cmp_ne_u32_e32 vcc, s2, v27
	v_cndmask_b32_e32 v27, v28, v27, vcc
	v_lshrrev_b32_e32 v27, s68, v27
	v_and_b32_e32 v58, s74, v27
.LBB139_121:
	;; [unrolled: 30-line block ×6, first 2 shown]
	s_or_b64 exec, exec, s[0:1]
	v_lshlrev_b32_e32 v44, 3, v44
	s_waitcnt vmcnt(0)
	s_barrier
	ds_write_b64 v44, v[3:4] offset:2048
	v_lshlrev_b32_e32 v3, 3, v43
	ds_write_b64 v3, v[5:6] offset:2048
	v_lshlrev_b32_e32 v3, 3, v42
	;; [unrolled: 2-line block ×11, first 2 shown]
	ds_write_b64 v3, v[25:26] offset:2048
	s_waitcnt lgkmcnt(0)
	s_barrier
	s_and_saveexec_b64 s[0:1], s[24:25]
	s_cbranch_execz .LBB139_196
; %bb.138:
	v_lshlrev_b32_e32 v3, 3, v64
	ds_read_b64 v[3:4], v3
	ds_read_b64 v[5:6], v32 offset:2048
	v_mov_b32_e32 v7, s63
	s_waitcnt lgkmcnt(1)
	v_lshlrev_b64 v[3:4], 3, v[3:4]
	v_add_co_u32_e32 v3, vcc, s62, v3
	v_addc_co_u32_e32 v4, vcc, v7, v4, vcc
	v_add_co_u32_e32 v3, vcc, v3, v32
	v_addc_co_u32_e32 v4, vcc, 0, v4, vcc
	s_waitcnt lgkmcnt(0)
	global_store_dwordx2 v[3:4], v[5:6], off
	s_or_b64 exec, exec, s[0:1]
	s_and_saveexec_b64 s[0:1], s[26:27]
	s_cbranch_execnz .LBB139_197
.LBB139_139:
	s_or_b64 exec, exec, s[0:1]
	s_and_saveexec_b64 s[0:1], s[28:29]
	s_cbranch_execz .LBB139_198
.LBB139_140:
	v_lshlrev_b32_e32 v3, 3, v63
	ds_read_b64 v[3:4], v3
	ds_read_b64 v[5:6], v32 offset:6144
	v_mov_b32_e32 v7, s63
	s_waitcnt lgkmcnt(1)
	v_lshlrev_b64 v[3:4], 3, v[3:4]
	v_add_co_u32_e32 v3, vcc, s62, v3
	v_addc_co_u32_e32 v4, vcc, v7, v4, vcc
	v_lshlrev_b32_e32 v7, 3, v45
	v_add_co_u32_e32 v3, vcc, v3, v7
	v_addc_co_u32_e32 v4, vcc, 0, v4, vcc
	s_waitcnt lgkmcnt(0)
	global_store_dwordx2 v[3:4], v[5:6], off
	s_or_b64 exec, exec, s[0:1]
	s_and_saveexec_b64 s[0:1], s[30:31]
	s_cbranch_execnz .LBB139_199
.LBB139_141:
	s_or_b64 exec, exec, s[0:1]
	s_and_saveexec_b64 s[0:1], s[34:35]
	s_cbranch_execz .LBB139_200
.LBB139_142:
	v_lshlrev_b32_e32 v3, 3, v62
	ds_read_b64 v[3:4], v3
	ds_read_b64 v[5:6], v32 offset:10240
	v_mov_b32_e32 v7, s63
	s_waitcnt lgkmcnt(1)
	v_lshlrev_b64 v[3:4], 3, v[3:4]
	v_add_co_u32_e32 v3, vcc, s62, v3
	v_addc_co_u32_e32 v4, vcc, v7, v4, vcc
	v_lshlrev_b32_e32 v7, 3, v47
	v_add_co_u32_e32 v3, vcc, v3, v7
	v_addc_co_u32_e32 v4, vcc, 0, v4, vcc
	s_waitcnt lgkmcnt(0)
	global_store_dwordx2 v[3:4], v[5:6], off
	s_or_b64 exec, exec, s[0:1]
	s_and_saveexec_b64 s[0:1], s[36:37]
	s_cbranch_execnz .LBB139_201
.LBB139_143:
	s_or_b64 exec, exec, s[0:1]
	s_and_saveexec_b64 s[0:1], s[38:39]
	s_cbranch_execz .LBB139_202
.LBB139_144:
	v_lshlrev_b32_e32 v3, 3, v61
	ds_read_b64 v[3:4], v3
	ds_read_b64 v[5:6], v32 offset:14336
	v_mov_b32_e32 v7, s63
	s_waitcnt lgkmcnt(1)
	v_lshlrev_b64 v[3:4], 3, v[3:4]
	v_add_co_u32_e32 v3, vcc, s62, v3
	v_addc_co_u32_e32 v4, vcc, v7, v4, vcc
	v_lshlrev_b32_e32 v7, 3, v49
	v_add_co_u32_e32 v3, vcc, v3, v7
	v_addc_co_u32_e32 v4, vcc, 0, v4, vcc
	s_waitcnt lgkmcnt(0)
	global_store_dwordx2 v[3:4], v[5:6], off
	s_or_b64 exec, exec, s[0:1]
	s_and_saveexec_b64 s[0:1], s[40:41]
	s_cbranch_execnz .LBB139_203
.LBB139_145:
	s_or_b64 exec, exec, s[0:1]
	s_and_saveexec_b64 s[0:1], s[42:43]
	s_cbranch_execz .LBB139_204
.LBB139_146:
	v_lshlrev_b32_e32 v3, 3, v59
	ds_read_b64 v[3:4], v3
	ds_read_b64 v[5:6], v32 offset:18432
	v_mov_b32_e32 v7, s63
	s_waitcnt lgkmcnt(1)
	v_lshlrev_b64 v[3:4], 3, v[3:4]
	v_add_co_u32_e32 v3, vcc, s62, v3
	v_addc_co_u32_e32 v4, vcc, v7, v4, vcc
	v_lshlrev_b32_e32 v7, 3, v51
	v_add_co_u32_e32 v3, vcc, v3, v7
	v_addc_co_u32_e32 v4, vcc, 0, v4, vcc
	s_waitcnt lgkmcnt(0)
	global_store_dwordx2 v[3:4], v[5:6], off
	s_or_b64 exec, exec, s[0:1]
	s_and_saveexec_b64 s[0:1], s[44:45]
	s_cbranch_execnz .LBB139_205
.LBB139_147:
	s_or_b64 exec, exec, s[0:1]
	s_and_saveexec_b64 s[0:1], s[46:47]
	s_cbranch_execz .LBB139_206
.LBB139_148:
	v_lshlrev_b32_e32 v3, 3, v57
	ds_read_b64 v[3:4], v3
	ds_read_b64 v[5:6], v32 offset:22528
	v_mov_b32_e32 v7, s63
	s_waitcnt lgkmcnt(1)
	v_lshlrev_b64 v[3:4], 3, v[3:4]
	v_add_co_u32_e32 v3, vcc, s62, v3
	v_addc_co_u32_e32 v4, vcc, v7, v4, vcc
	v_lshlrev_b32_e32 v7, 3, v53
	v_add_co_u32_e32 v3, vcc, v3, v7
	v_addc_co_u32_e32 v4, vcc, 0, v4, vcc
	s_waitcnt lgkmcnt(0)
	global_store_dwordx2 v[3:4], v[5:6], off
	s_or_b64 exec, exec, s[0:1]
	s_and_saveexec_b64 s[0:1], s[48:49]
	s_cbranch_execnz .LBB139_207
.LBB139_149:
	s_or_b64 exec, exec, s[0:1]
	s_add_i32 s33, s33, -1
	s_cmp_eq_u32 s6, s33
	s_cbranch_scc0 .LBB139_151
.LBB139_150:
	ds_read_b64 v[3:4], v32
	v_add_co_u32_e32 v5, vcc, v31, v30
	v_addc_co_u32_e64 v6, s[0:1], 0, 0, vcc
	s_waitcnt lgkmcnt(0)
	v_add_co_u32_e32 v3, vcc, v5, v3
	v_addc_co_u32_e32 v4, vcc, v6, v4, vcc
	global_store_dwordx2 v32, v[3:4], s[66:67]
.LBB139_151:
	s_mov_b64 s[0:1], 0
.LBB139_152:
	s_and_b64 vcc, exec, s[0:1]
	s_cbranch_vccz .LBB139_195
; %bb.153:
	s_mov_b32 s55, 0
	s_lshl_b64 s[0:1], s[54:55], 2
	v_mbcnt_hi_u32_b32 v8, -1, v29
	s_add_u32 s0, s56, s0
	v_lshlrev_b32_e32 v4, 2, v8
	v_add_co_u32_e32 v4, vcc, s0, v4
	s_load_dword s8, s[4:5], 0x50
	s_load_dword s0, s[4:5], 0x5c
	s_addc_u32 s1, s57, s1
	v_and_b32_e32 v9, 0xc0, v0
	v_mul_u32_u24_e32 v7, 12, v9
	v_mov_b32_e32 v5, s1
	v_addc_co_u32_e32 v5, vcc, 0, v5, vcc
	v_lshlrev_b32_e32 v6, 2, v7
	v_add_co_u32_e32 v4, vcc, v4, v6
	s_add_u32 s1, s4, 0x50
	v_addc_co_u32_e32 v5, vcc, 0, v5, vcc
	s_addc_u32 s2, s5, 0
	s_waitcnt lgkmcnt(0)
	s_lshr_b32 s3, s0, 16
	global_load_dword v10, v[4:5], off
	s_cmp_lt_u32 s6, s8
	s_cselect_b32 s0, 12, 18
	s_add_u32 s0, s1, s0
	v_mov_b32_e32 v3, 0
	s_addc_u32 s1, s2, 0
	global_load_ushort v11, v3, s[0:1]
	v_mul_u32_u24_e32 v6, 20, v0
	ds_write2_b32 v6, v3, v3 offset0:4 offset1:5
	ds_write2_b32 v6, v3, v3 offset0:6 offset1:7
	ds_write_b32 v6, v3 offset:32
	global_load_dword v12, v[4:5], off offset:256
	global_load_dword v16, v[4:5], off offset:512
	;; [unrolled: 1-line block ×11, first 2 shown]
	v_bfrev_b32_e32 v13, 1
	v_mad_u32_u24 v1, v2, s3, v1
	s_brev_b32 s2, -2
	s_lshl_b32 s0, -1, s69
	s_not_b32 s9, s0
	s_waitcnt vmcnt(0) lgkmcnt(0)
	s_barrier
	; wave barrier
	v_cmp_lt_i32_e32 vcc, -1, v10
	v_cndmask_b32_e32 v2, -1, v13, vcc
	v_xor_b32_e32 v5, v2, v10
	v_cmp_ne_u32_e32 vcc, s2, v5
	v_cndmask_b32_e32 v4, v13, v5, vcc
	v_mad_u64_u32 v[1:2], s[0:1], v1, v11, v[0:1]
	v_lshrrev_b32_e32 v2, s68, v4
	v_and_b32_e32 v2, s9, v2
	v_and_b32_e32 v11, 1, v2
	v_add_co_u32_e32 v14, vcc, -1, v11
	v_lshlrev_b32_e32 v4, 30, v2
	v_addc_co_u32_e64 v15, s[0:1], 0, -1, vcc
	v_cmp_ne_u32_e32 vcc, 0, v11
	v_cmp_gt_i64_e64 s[0:1], 0, v[3:4]
	v_not_b32_e32 v11, v4
	v_lshlrev_b32_e32 v4, 29, v2
	v_lshrrev_b32_e32 v19, 6, v1
	v_xor_b32_e32 v1, vcc_hi, v15
	v_xor_b32_e32 v14, vcc_lo, v14
	v_ashrrev_i32_e32 v11, 31, v11
	v_cmp_gt_i64_e32 vcc, 0, v[3:4]
	v_not_b32_e32 v15, v4
	v_lshlrev_b32_e32 v4, 28, v2
	v_and_b32_e32 v1, exec_hi, v1
	v_and_b32_e32 v14, exec_lo, v14
	v_xor_b32_e32 v18, s1, v11
	v_xor_b32_e32 v11, s0, v11
	v_ashrrev_i32_e32 v15, 31, v15
	v_cmp_gt_i64_e64 s[0:1], 0, v[3:4]
	v_not_b32_e32 v4, v4
	v_and_b32_e32 v1, v1, v18
	v_and_b32_e32 v11, v14, v11
	v_xor_b32_e32 v14, vcc_hi, v15
	v_xor_b32_e32 v15, vcc_lo, v15
	v_ashrrev_i32_e32 v4, 31, v4
	v_and_b32_e32 v1, v1, v14
	v_and_b32_e32 v11, v11, v15
	v_xor_b32_e32 v14, s1, v4
	v_xor_b32_e32 v4, s0, v4
	v_and_b32_e32 v11, v11, v4
	v_lshlrev_b32_e32 v4, 27, v2
	v_cmp_gt_i64_e32 vcc, 0, v[3:4]
	v_not_b32_e32 v4, v4
	v_ashrrev_i32_e32 v4, 31, v4
	v_and_b32_e32 v1, v1, v14
	v_xor_b32_e32 v14, vcc_hi, v4
	v_xor_b32_e32 v4, vcc_lo, v4
	v_and_b32_e32 v11, v11, v4
	v_lshlrev_b32_e32 v4, 26, v2
	v_cmp_gt_i64_e32 vcc, 0, v[3:4]
	v_not_b32_e32 v4, v4
	v_ashrrev_i32_e32 v4, 31, v4
	v_and_b32_e32 v1, v1, v14
	v_xor_b32_e32 v14, vcc_hi, v4
	v_xor_b32_e32 v4, vcc_lo, v4
	;; [unrolled: 8-line block ×3, first 2 shown]
	v_and_b32_e32 v11, v11, v4
	v_lshlrev_b32_e32 v4, 24, v2
	v_mul_lo_u32 v10, v2, 20
	v_cmp_gt_i64_e32 vcc, 0, v[3:4]
	v_not_b32_e32 v2, v4
	v_ashrrev_i32_e32 v2, 31, v2
	v_and_b32_e32 v1, v1, v14
	v_xor_b32_e32 v4, vcc_hi, v2
	v_xor_b32_e32 v14, vcc_lo, v2
	v_and_b32_e32 v2, v1, v4
	v_and_b32_e32 v1, v11, v14
	v_mbcnt_lo_u32_b32 v4, v1, 0
	v_mbcnt_hi_u32_b32 v11, v2, v4
	v_cmp_ne_u64_e32 vcc, 0, v[1:2]
	v_cmp_eq_u32_e64 s[0:1], 0, v11
	v_lshl_add_u32 v10, v19, 2, v10
	s_and_b64 s[4:5], vcc, s[0:1]
	s_and_saveexec_b64 s[0:1], s[4:5]
; %bb.154:
	v_bcnt_u32_b32 v1, v1, 0
	v_bcnt_u32_b32 v1, v2, v1
	ds_write_b32 v10, v1 offset:16
; %bb.155:
	s_or_b64 exec, exec, s[0:1]
	v_cmp_lt_i32_e32 vcc, -1, v12
	v_cndmask_b32_e32 v1, -1, v13, vcc
	v_xor_b32_e32 v12, v1, v12
	v_cmp_ne_u32_e32 vcc, s2, v12
	v_cndmask_b32_e32 v1, v13, v12, vcc
	v_lshrrev_b32_e32 v1, s68, v1
	v_and_b32_e32 v1, s9, v1
	v_mul_lo_u32 v2, v1, 20
	; wave barrier
	v_lshl_add_u32 v14, v19, 2, v2
	v_and_b32_e32 v2, 1, v1
	v_add_co_u32_e32 v4, vcc, -1, v2
	v_addc_co_u32_e64 v15, s[0:1], 0, -1, vcc
	v_cmp_ne_u32_e32 vcc, 0, v2
	v_xor_b32_e32 v4, vcc_lo, v4
	v_xor_b32_e32 v2, vcc_hi, v15
	v_and_b32_e32 v15, exec_lo, v4
	v_lshlrev_b32_e32 v4, 30, v1
	v_cmp_gt_i64_e32 vcc, 0, v[3:4]
	v_not_b32_e32 v4, v4
	v_ashrrev_i32_e32 v4, 31, v4
	v_xor_b32_e32 v18, vcc_hi, v4
	v_xor_b32_e32 v4, vcc_lo, v4
	v_and_b32_e32 v15, v15, v4
	v_lshlrev_b32_e32 v4, 29, v1
	v_cmp_gt_i64_e32 vcc, 0, v[3:4]
	v_not_b32_e32 v4, v4
	v_and_b32_e32 v2, exec_hi, v2
	v_ashrrev_i32_e32 v4, 31, v4
	v_and_b32_e32 v2, v2, v18
	v_xor_b32_e32 v18, vcc_hi, v4
	v_xor_b32_e32 v4, vcc_lo, v4
	v_and_b32_e32 v15, v15, v4
	v_lshlrev_b32_e32 v4, 28, v1
	v_cmp_gt_i64_e32 vcc, 0, v[3:4]
	v_not_b32_e32 v4, v4
	v_ashrrev_i32_e32 v4, 31, v4
	v_and_b32_e32 v2, v2, v18
	v_xor_b32_e32 v18, vcc_hi, v4
	v_xor_b32_e32 v4, vcc_lo, v4
	v_and_b32_e32 v15, v15, v4
	v_lshlrev_b32_e32 v4, 27, v1
	v_cmp_gt_i64_e32 vcc, 0, v[3:4]
	v_not_b32_e32 v4, v4
	;; [unrolled: 8-line block ×5, first 2 shown]
	v_ashrrev_i32_e32 v1, 31, v1
	v_xor_b32_e32 v3, vcc_hi, v1
	v_xor_b32_e32 v1, vcc_lo, v1
	ds_read_b32 v13, v14 offset:16
	v_and_b32_e32 v2, v2, v18
	v_and_b32_e32 v1, v15, v1
	v_and_b32_e32 v2, v2, v3
	v_mbcnt_lo_u32_b32 v3, v1, 0
	v_mbcnt_hi_u32_b32 v15, v2, v3
	v_cmp_ne_u64_e32 vcc, 0, v[1:2]
	v_cmp_eq_u32_e64 s[0:1], 0, v15
	s_and_b64 s[2:3], vcc, s[0:1]
	; wave barrier
	s_and_saveexec_b64 s[0:1], s[2:3]
	s_cbranch_execz .LBB139_157
; %bb.156:
	v_bcnt_u32_b32 v1, v1, 0
	v_bcnt_u32_b32 v1, v2, v1
	s_waitcnt lgkmcnt(0)
	v_add_u32_e32 v1, v13, v1
	ds_write_b32 v14, v1 offset:16
.LBB139_157:
	s_or_b64 exec, exec, s[0:1]
	v_bfrev_b32_e32 v4, 1
	v_cmp_lt_i32_e32 vcc, -1, v16
	v_cndmask_b32_e32 v1, -1, v4, vcc
	v_xor_b32_e32 v16, v1, v16
	s_brev_b32 s2, -2
	v_cmp_ne_u32_e32 vcc, s2, v16
	v_cndmask_b32_e32 v1, v4, v16, vcc
	v_lshrrev_b32_e32 v1, s68, v1
	v_and_b32_e32 v3, s9, v1
	v_mul_lo_u32 v1, v3, 20
	v_and_b32_e32 v2, 1, v3
	v_add_co_u32_e32 v22, vcc, -1, v2
	v_addc_co_u32_e64 v24, s[0:1], 0, -1, vcc
	v_cmp_ne_u32_e32 vcc, 0, v2
	v_xor_b32_e32 v2, vcc_hi, v24
	v_lshl_add_u32 v20, v19, 2, v1
	v_mov_b32_e32 v1, 0
	v_and_b32_e32 v24, exec_hi, v2
	v_lshlrev_b32_e32 v2, 30, v3
	v_xor_b32_e32 v22, vcc_lo, v22
	v_cmp_gt_i64_e32 vcc, 0, v[1:2]
	v_not_b32_e32 v2, v2
	v_ashrrev_i32_e32 v2, 31, v2
	v_and_b32_e32 v22, exec_lo, v22
	v_xor_b32_e32 v25, vcc_hi, v2
	v_xor_b32_e32 v2, vcc_lo, v2
	v_and_b32_e32 v22, v22, v2
	v_lshlrev_b32_e32 v2, 29, v3
	v_cmp_gt_i64_e32 vcc, 0, v[1:2]
	v_not_b32_e32 v2, v2
	v_ashrrev_i32_e32 v2, 31, v2
	v_and_b32_e32 v24, v24, v25
	v_xor_b32_e32 v25, vcc_hi, v2
	v_xor_b32_e32 v2, vcc_lo, v2
	v_and_b32_e32 v22, v22, v2
	v_lshlrev_b32_e32 v2, 28, v3
	v_cmp_gt_i64_e32 vcc, 0, v[1:2]
	v_not_b32_e32 v2, v2
	v_ashrrev_i32_e32 v2, 31, v2
	v_and_b32_e32 v24, v24, v25
	;; [unrolled: 8-line block ×5, first 2 shown]
	v_xor_b32_e32 v25, vcc_hi, v2
	v_xor_b32_e32 v2, vcc_lo, v2
	v_and_b32_e32 v22, v22, v2
	v_lshlrev_b32_e32 v2, 24, v3
	v_cmp_gt_i64_e32 vcc, 0, v[1:2]
	v_not_b32_e32 v2, v2
	v_ashrrev_i32_e32 v2, 31, v2
	v_xor_b32_e32 v3, vcc_hi, v2
	v_xor_b32_e32 v2, vcc_lo, v2
	; wave barrier
	ds_read_b32 v18, v20 offset:16
	v_and_b32_e32 v24, v24, v25
	v_and_b32_e32 v2, v22, v2
	;; [unrolled: 1-line block ×3, first 2 shown]
	v_mbcnt_lo_u32_b32 v22, v2, 0
	v_mbcnt_hi_u32_b32 v22, v3, v22
	v_cmp_ne_u64_e32 vcc, 0, v[2:3]
	v_cmp_eq_u32_e64 s[0:1], 0, v22
	s_and_b64 s[4:5], vcc, s[0:1]
	; wave barrier
	s_and_saveexec_b64 s[0:1], s[4:5]
	s_cbranch_execz .LBB139_159
; %bb.158:
	v_bcnt_u32_b32 v2, v2, 0
	v_bcnt_u32_b32 v2, v3, v2
	s_waitcnt lgkmcnt(0)
	v_add_u32_e32 v2, v18, v2
	ds_write_b32 v20, v2 offset:16
.LBB139_159:
	s_or_b64 exec, exec, s[0:1]
	v_cmp_lt_i32_e32 vcc, -1, v21
	v_cndmask_b32_e32 v2, -1, v4, vcc
	v_xor_b32_e32 v21, v2, v21
	v_cmp_ne_u32_e32 vcc, s2, v21
	v_cndmask_b32_e32 v2, v4, v21, vcc
	v_lshrrev_b32_e32 v2, s68, v2
	v_and_b32_e32 v3, s9, v2
	v_mul_lo_u32 v2, v3, 20
	; wave barrier
	v_lshl_add_u32 v25, v19, 2, v2
	v_and_b32_e32 v2, 1, v3
	v_add_co_u32_e32 v4, vcc, -1, v2
	v_addc_co_u32_e64 v26, s[0:1], 0, -1, vcc
	v_cmp_ne_u32_e32 vcc, 0, v2
	v_xor_b32_e32 v2, vcc_hi, v26
	v_and_b32_e32 v26, exec_hi, v2
	v_lshlrev_b32_e32 v2, 30, v3
	v_xor_b32_e32 v4, vcc_lo, v4
	v_cmp_gt_i64_e32 vcc, 0, v[1:2]
	v_not_b32_e32 v2, v2
	v_ashrrev_i32_e32 v2, 31, v2
	v_and_b32_e32 v4, exec_lo, v4
	v_xor_b32_e32 v29, vcc_hi, v2
	v_xor_b32_e32 v2, vcc_lo, v2
	v_and_b32_e32 v4, v4, v2
	v_lshlrev_b32_e32 v2, 29, v3
	v_cmp_gt_i64_e32 vcc, 0, v[1:2]
	v_not_b32_e32 v2, v2
	v_ashrrev_i32_e32 v2, 31, v2
	v_and_b32_e32 v26, v26, v29
	v_xor_b32_e32 v29, vcc_hi, v2
	v_xor_b32_e32 v2, vcc_lo, v2
	v_and_b32_e32 v4, v4, v2
	v_lshlrev_b32_e32 v2, 28, v3
	v_cmp_gt_i64_e32 vcc, 0, v[1:2]
	v_not_b32_e32 v2, v2
	v_ashrrev_i32_e32 v2, 31, v2
	v_and_b32_e32 v26, v26, v29
	;; [unrolled: 8-line block ×5, first 2 shown]
	v_xor_b32_e32 v29, vcc_hi, v2
	v_xor_b32_e32 v2, vcc_lo, v2
	v_and_b32_e32 v4, v4, v2
	v_lshlrev_b32_e32 v2, 24, v3
	v_cmp_gt_i64_e32 vcc, 0, v[1:2]
	v_not_b32_e32 v1, v2
	v_ashrrev_i32_e32 v1, 31, v1
	v_xor_b32_e32 v2, vcc_hi, v1
	v_xor_b32_e32 v1, vcc_lo, v1
	ds_read_b32 v24, v25 offset:16
	v_and_b32_e32 v26, v26, v29
	v_and_b32_e32 v1, v4, v1
	;; [unrolled: 1-line block ×3, first 2 shown]
	v_mbcnt_lo_u32_b32 v3, v1, 0
	v_mbcnt_hi_u32_b32 v26, v2, v3
	v_cmp_ne_u64_e32 vcc, 0, v[1:2]
	v_cmp_eq_u32_e64 s[0:1], 0, v26
	s_and_b64 s[2:3], vcc, s[0:1]
	; wave barrier
	s_and_saveexec_b64 s[0:1], s[2:3]
	s_cbranch_execz .LBB139_161
; %bb.160:
	v_bcnt_u32_b32 v1, v1, 0
	v_bcnt_u32_b32 v1, v2, v1
	s_waitcnt lgkmcnt(0)
	v_add_u32_e32 v1, v24, v1
	ds_write_b32 v25, v1 offset:16
.LBB139_161:
	s_or_b64 exec, exec, s[0:1]
	v_bfrev_b32_e32 v4, 1
	v_cmp_lt_i32_e32 vcc, -1, v27
	v_cndmask_b32_e32 v1, -1, v4, vcc
	v_xor_b32_e32 v27, v1, v27
	s_brev_b32 s2, -2
	v_cmp_ne_u32_e32 vcc, s2, v27
	v_cndmask_b32_e32 v1, v4, v27, vcc
	v_lshrrev_b32_e32 v1, s68, v1
	v_and_b32_e32 v3, s9, v1
	v_mul_lo_u32 v1, v3, 20
	v_and_b32_e32 v2, 1, v3
	v_add_co_u32_e32 v32, vcc, -1, v2
	v_addc_co_u32_e64 v34, s[0:1], 0, -1, vcc
	v_cmp_ne_u32_e32 vcc, 0, v2
	v_xor_b32_e32 v2, vcc_hi, v34
	v_lshl_add_u32 v30, v19, 2, v1
	v_mov_b32_e32 v1, 0
	v_and_b32_e32 v34, exec_hi, v2
	v_lshlrev_b32_e32 v2, 30, v3
	v_xor_b32_e32 v32, vcc_lo, v32
	v_cmp_gt_i64_e32 vcc, 0, v[1:2]
	v_not_b32_e32 v2, v2
	v_ashrrev_i32_e32 v2, 31, v2
	v_and_b32_e32 v32, exec_lo, v32
	v_xor_b32_e32 v35, vcc_hi, v2
	v_xor_b32_e32 v2, vcc_lo, v2
	v_and_b32_e32 v32, v32, v2
	v_lshlrev_b32_e32 v2, 29, v3
	v_cmp_gt_i64_e32 vcc, 0, v[1:2]
	v_not_b32_e32 v2, v2
	v_ashrrev_i32_e32 v2, 31, v2
	v_and_b32_e32 v34, v34, v35
	v_xor_b32_e32 v35, vcc_hi, v2
	v_xor_b32_e32 v2, vcc_lo, v2
	v_and_b32_e32 v32, v32, v2
	v_lshlrev_b32_e32 v2, 28, v3
	v_cmp_gt_i64_e32 vcc, 0, v[1:2]
	v_not_b32_e32 v2, v2
	v_ashrrev_i32_e32 v2, 31, v2
	v_and_b32_e32 v34, v34, v35
	;; [unrolled: 8-line block ×5, first 2 shown]
	v_xor_b32_e32 v35, vcc_hi, v2
	v_xor_b32_e32 v2, vcc_lo, v2
	v_and_b32_e32 v32, v32, v2
	v_lshlrev_b32_e32 v2, 24, v3
	v_cmp_gt_i64_e32 vcc, 0, v[1:2]
	v_not_b32_e32 v2, v2
	v_ashrrev_i32_e32 v2, 31, v2
	v_xor_b32_e32 v3, vcc_hi, v2
	v_xor_b32_e32 v2, vcc_lo, v2
	; wave barrier
	ds_read_b32 v29, v30 offset:16
	v_and_b32_e32 v34, v34, v35
	v_and_b32_e32 v2, v32, v2
	;; [unrolled: 1-line block ×3, first 2 shown]
	v_mbcnt_lo_u32_b32 v32, v2, 0
	v_mbcnt_hi_u32_b32 v32, v3, v32
	v_cmp_ne_u64_e32 vcc, 0, v[2:3]
	v_cmp_eq_u32_e64 s[0:1], 0, v32
	s_and_b64 s[4:5], vcc, s[0:1]
	; wave barrier
	s_and_saveexec_b64 s[0:1], s[4:5]
	s_cbranch_execz .LBB139_163
; %bb.162:
	v_bcnt_u32_b32 v2, v2, 0
	v_bcnt_u32_b32 v2, v3, v2
	s_waitcnt lgkmcnt(0)
	v_add_u32_e32 v2, v29, v2
	ds_write_b32 v30, v2 offset:16
.LBB139_163:
	s_or_b64 exec, exec, s[0:1]
	v_cmp_lt_i32_e32 vcc, -1, v31
	v_cndmask_b32_e32 v2, -1, v4, vcc
	v_xor_b32_e32 v31, v2, v31
	v_cmp_ne_u32_e32 vcc, s2, v31
	v_cndmask_b32_e32 v2, v4, v31, vcc
	v_lshrrev_b32_e32 v2, s68, v2
	v_and_b32_e32 v3, s9, v2
	v_mul_lo_u32 v2, v3, 20
	; wave barrier
	v_lshl_add_u32 v35, v19, 2, v2
	v_and_b32_e32 v2, 1, v3
	v_add_co_u32_e32 v4, vcc, -1, v2
	v_addc_co_u32_e64 v37, s[0:1], 0, -1, vcc
	v_cmp_ne_u32_e32 vcc, 0, v2
	v_xor_b32_e32 v2, vcc_hi, v37
	v_and_b32_e32 v37, exec_hi, v2
	v_lshlrev_b32_e32 v2, 30, v3
	v_xor_b32_e32 v4, vcc_lo, v4
	v_cmp_gt_i64_e32 vcc, 0, v[1:2]
	v_not_b32_e32 v2, v2
	v_ashrrev_i32_e32 v2, 31, v2
	v_and_b32_e32 v4, exec_lo, v4
	v_xor_b32_e32 v39, vcc_hi, v2
	v_xor_b32_e32 v2, vcc_lo, v2
	v_and_b32_e32 v4, v4, v2
	v_lshlrev_b32_e32 v2, 29, v3
	v_cmp_gt_i64_e32 vcc, 0, v[1:2]
	v_not_b32_e32 v2, v2
	v_ashrrev_i32_e32 v2, 31, v2
	v_and_b32_e32 v37, v37, v39
	v_xor_b32_e32 v39, vcc_hi, v2
	v_xor_b32_e32 v2, vcc_lo, v2
	v_and_b32_e32 v4, v4, v2
	v_lshlrev_b32_e32 v2, 28, v3
	v_cmp_gt_i64_e32 vcc, 0, v[1:2]
	v_not_b32_e32 v2, v2
	v_ashrrev_i32_e32 v2, 31, v2
	v_and_b32_e32 v37, v37, v39
	;; [unrolled: 8-line block ×5, first 2 shown]
	v_xor_b32_e32 v39, vcc_hi, v2
	v_xor_b32_e32 v2, vcc_lo, v2
	v_and_b32_e32 v4, v4, v2
	v_lshlrev_b32_e32 v2, 24, v3
	v_cmp_gt_i64_e32 vcc, 0, v[1:2]
	v_not_b32_e32 v1, v2
	v_ashrrev_i32_e32 v1, 31, v1
	v_xor_b32_e32 v2, vcc_hi, v1
	v_xor_b32_e32 v1, vcc_lo, v1
	ds_read_b32 v34, v35 offset:16
	v_and_b32_e32 v37, v37, v39
	v_and_b32_e32 v1, v4, v1
	;; [unrolled: 1-line block ×3, first 2 shown]
	v_mbcnt_lo_u32_b32 v3, v1, 0
	v_mbcnt_hi_u32_b32 v37, v2, v3
	v_cmp_ne_u64_e32 vcc, 0, v[1:2]
	v_cmp_eq_u32_e64 s[0:1], 0, v37
	s_and_b64 s[2:3], vcc, s[0:1]
	; wave barrier
	s_and_saveexec_b64 s[0:1], s[2:3]
	s_cbranch_execz .LBB139_165
; %bb.164:
	v_bcnt_u32_b32 v1, v1, 0
	v_bcnt_u32_b32 v1, v2, v1
	s_waitcnt lgkmcnt(0)
	v_add_u32_e32 v1, v34, v1
	ds_write_b32 v35, v1 offset:16
.LBB139_165:
	s_or_b64 exec, exec, s[0:1]
	v_bfrev_b32_e32 v4, 1
	v_cmp_lt_i32_e32 vcc, -1, v36
	v_cndmask_b32_e32 v1, -1, v4, vcc
	v_xor_b32_e32 v36, v1, v36
	s_brev_b32 s2, -2
	v_cmp_ne_u32_e32 vcc, s2, v36
	v_cndmask_b32_e32 v1, v4, v36, vcc
	v_lshrrev_b32_e32 v1, s68, v1
	v_and_b32_e32 v3, s9, v1
	v_mul_lo_u32 v1, v3, 20
	v_and_b32_e32 v2, 1, v3
	v_add_co_u32_e32 v41, vcc, -1, v2
	v_addc_co_u32_e64 v42, s[0:1], 0, -1, vcc
	v_cmp_ne_u32_e32 vcc, 0, v2
	v_xor_b32_e32 v2, vcc_hi, v42
	v_lshl_add_u32 v40, v19, 2, v1
	v_mov_b32_e32 v1, 0
	v_and_b32_e32 v42, exec_hi, v2
	v_lshlrev_b32_e32 v2, 30, v3
	v_xor_b32_e32 v41, vcc_lo, v41
	v_cmp_gt_i64_e32 vcc, 0, v[1:2]
	v_not_b32_e32 v2, v2
	v_ashrrev_i32_e32 v2, 31, v2
	v_and_b32_e32 v41, exec_lo, v41
	v_xor_b32_e32 v43, vcc_hi, v2
	v_xor_b32_e32 v2, vcc_lo, v2
	v_and_b32_e32 v41, v41, v2
	v_lshlrev_b32_e32 v2, 29, v3
	v_cmp_gt_i64_e32 vcc, 0, v[1:2]
	v_not_b32_e32 v2, v2
	v_ashrrev_i32_e32 v2, 31, v2
	v_and_b32_e32 v42, v42, v43
	v_xor_b32_e32 v43, vcc_hi, v2
	v_xor_b32_e32 v2, vcc_lo, v2
	v_and_b32_e32 v41, v41, v2
	v_lshlrev_b32_e32 v2, 28, v3
	v_cmp_gt_i64_e32 vcc, 0, v[1:2]
	v_not_b32_e32 v2, v2
	v_ashrrev_i32_e32 v2, 31, v2
	v_and_b32_e32 v42, v42, v43
	;; [unrolled: 8-line block ×5, first 2 shown]
	v_xor_b32_e32 v43, vcc_hi, v2
	v_xor_b32_e32 v2, vcc_lo, v2
	v_and_b32_e32 v41, v41, v2
	v_lshlrev_b32_e32 v2, 24, v3
	v_cmp_gt_i64_e32 vcc, 0, v[1:2]
	v_not_b32_e32 v2, v2
	v_ashrrev_i32_e32 v2, 31, v2
	v_xor_b32_e32 v3, vcc_hi, v2
	v_xor_b32_e32 v2, vcc_lo, v2
	; wave barrier
	ds_read_b32 v39, v40 offset:16
	v_and_b32_e32 v42, v42, v43
	v_and_b32_e32 v2, v41, v2
	;; [unrolled: 1-line block ×3, first 2 shown]
	v_mbcnt_lo_u32_b32 v41, v2, 0
	v_mbcnt_hi_u32_b32 v41, v3, v41
	v_cmp_ne_u64_e32 vcc, 0, v[2:3]
	v_cmp_eq_u32_e64 s[0:1], 0, v41
	s_and_b64 s[4:5], vcc, s[0:1]
	; wave barrier
	s_and_saveexec_b64 s[0:1], s[4:5]
	s_cbranch_execz .LBB139_167
; %bb.166:
	v_bcnt_u32_b32 v2, v2, 0
	v_bcnt_u32_b32 v2, v3, v2
	s_waitcnt lgkmcnt(0)
	v_add_u32_e32 v2, v39, v2
	ds_write_b32 v40, v2 offset:16
.LBB139_167:
	s_or_b64 exec, exec, s[0:1]
	v_cmp_lt_i32_e32 vcc, -1, v38
	v_cndmask_b32_e32 v2, -1, v4, vcc
	v_xor_b32_e32 v38, v2, v38
	v_cmp_ne_u32_e32 vcc, s2, v38
	v_cndmask_b32_e32 v2, v4, v38, vcc
	v_lshrrev_b32_e32 v2, s68, v2
	v_and_b32_e32 v3, s9, v2
	v_mul_lo_u32 v2, v3, 20
	; wave barrier
	v_lshl_add_u32 v43, v19, 2, v2
	v_and_b32_e32 v2, 1, v3
	v_add_co_u32_e32 v4, vcc, -1, v2
	v_addc_co_u32_e64 v44, s[0:1], 0, -1, vcc
	v_cmp_ne_u32_e32 vcc, 0, v2
	v_xor_b32_e32 v2, vcc_hi, v44
	v_and_b32_e32 v44, exec_hi, v2
	v_lshlrev_b32_e32 v2, 30, v3
	v_xor_b32_e32 v4, vcc_lo, v4
	v_cmp_gt_i64_e32 vcc, 0, v[1:2]
	v_not_b32_e32 v2, v2
	v_ashrrev_i32_e32 v2, 31, v2
	v_and_b32_e32 v4, exec_lo, v4
	v_xor_b32_e32 v45, vcc_hi, v2
	v_xor_b32_e32 v2, vcc_lo, v2
	v_and_b32_e32 v4, v4, v2
	v_lshlrev_b32_e32 v2, 29, v3
	v_cmp_gt_i64_e32 vcc, 0, v[1:2]
	v_not_b32_e32 v2, v2
	v_ashrrev_i32_e32 v2, 31, v2
	v_and_b32_e32 v44, v44, v45
	v_xor_b32_e32 v45, vcc_hi, v2
	v_xor_b32_e32 v2, vcc_lo, v2
	v_and_b32_e32 v4, v4, v2
	v_lshlrev_b32_e32 v2, 28, v3
	v_cmp_gt_i64_e32 vcc, 0, v[1:2]
	v_not_b32_e32 v2, v2
	v_ashrrev_i32_e32 v2, 31, v2
	v_and_b32_e32 v44, v44, v45
	;; [unrolled: 8-line block ×5, first 2 shown]
	v_xor_b32_e32 v45, vcc_hi, v2
	v_xor_b32_e32 v2, vcc_lo, v2
	v_and_b32_e32 v4, v4, v2
	v_lshlrev_b32_e32 v2, 24, v3
	v_cmp_gt_i64_e32 vcc, 0, v[1:2]
	v_not_b32_e32 v1, v2
	v_ashrrev_i32_e32 v1, 31, v1
	v_xor_b32_e32 v2, vcc_hi, v1
	v_xor_b32_e32 v1, vcc_lo, v1
	ds_read_b32 v42, v43 offset:16
	v_and_b32_e32 v44, v44, v45
	v_and_b32_e32 v1, v4, v1
	;; [unrolled: 1-line block ×3, first 2 shown]
	v_mbcnt_lo_u32_b32 v3, v1, 0
	v_mbcnt_hi_u32_b32 v44, v2, v3
	v_cmp_ne_u64_e32 vcc, 0, v[1:2]
	v_cmp_eq_u32_e64 s[0:1], 0, v44
	s_and_b64 s[2:3], vcc, s[0:1]
	; wave barrier
	s_and_saveexec_b64 s[0:1], s[2:3]
	s_cbranch_execz .LBB139_169
; %bb.168:
	v_bcnt_u32_b32 v1, v1, 0
	v_bcnt_u32_b32 v1, v2, v1
	s_waitcnt lgkmcnt(0)
	v_add_u32_e32 v1, v42, v1
	ds_write_b32 v43, v1 offset:16
.LBB139_169:
	s_or_b64 exec, exec, s[0:1]
	v_bfrev_b32_e32 v4, 1
	v_cmp_lt_i32_e32 vcc, -1, v33
	v_cndmask_b32_e32 v1, -1, v4, vcc
	v_xor_b32_e32 v33, v1, v33
	s_brev_b32 s2, -2
	v_cmp_ne_u32_e32 vcc, s2, v33
	v_cndmask_b32_e32 v1, v4, v33, vcc
	v_lshrrev_b32_e32 v1, s68, v1
	v_and_b32_e32 v3, s9, v1
	v_mul_lo_u32 v1, v3, 20
	v_and_b32_e32 v2, 1, v3
	v_add_co_u32_e32 v47, vcc, -1, v2
	v_addc_co_u32_e64 v48, s[0:1], 0, -1, vcc
	v_cmp_ne_u32_e32 vcc, 0, v2
	v_xor_b32_e32 v2, vcc_hi, v48
	v_lshl_add_u32 v46, v19, 2, v1
	v_mov_b32_e32 v1, 0
	v_and_b32_e32 v48, exec_hi, v2
	v_lshlrev_b32_e32 v2, 30, v3
	v_xor_b32_e32 v47, vcc_lo, v47
	v_cmp_gt_i64_e32 vcc, 0, v[1:2]
	v_not_b32_e32 v2, v2
	v_ashrrev_i32_e32 v2, 31, v2
	v_and_b32_e32 v47, exec_lo, v47
	v_xor_b32_e32 v49, vcc_hi, v2
	v_xor_b32_e32 v2, vcc_lo, v2
	v_and_b32_e32 v47, v47, v2
	v_lshlrev_b32_e32 v2, 29, v3
	v_cmp_gt_i64_e32 vcc, 0, v[1:2]
	v_not_b32_e32 v2, v2
	v_ashrrev_i32_e32 v2, 31, v2
	v_and_b32_e32 v48, v48, v49
	v_xor_b32_e32 v49, vcc_hi, v2
	v_xor_b32_e32 v2, vcc_lo, v2
	v_and_b32_e32 v47, v47, v2
	v_lshlrev_b32_e32 v2, 28, v3
	v_cmp_gt_i64_e32 vcc, 0, v[1:2]
	v_not_b32_e32 v2, v2
	v_ashrrev_i32_e32 v2, 31, v2
	v_and_b32_e32 v48, v48, v49
	;; [unrolled: 8-line block ×5, first 2 shown]
	v_xor_b32_e32 v49, vcc_hi, v2
	v_xor_b32_e32 v2, vcc_lo, v2
	v_and_b32_e32 v47, v47, v2
	v_lshlrev_b32_e32 v2, 24, v3
	v_cmp_gt_i64_e32 vcc, 0, v[1:2]
	v_not_b32_e32 v2, v2
	v_ashrrev_i32_e32 v2, 31, v2
	v_xor_b32_e32 v3, vcc_hi, v2
	v_xor_b32_e32 v2, vcc_lo, v2
	; wave barrier
	ds_read_b32 v45, v46 offset:16
	v_and_b32_e32 v48, v48, v49
	v_and_b32_e32 v2, v47, v2
	;; [unrolled: 1-line block ×3, first 2 shown]
	v_mbcnt_lo_u32_b32 v47, v2, 0
	v_mbcnt_hi_u32_b32 v48, v3, v47
	v_cmp_ne_u64_e32 vcc, 0, v[2:3]
	v_cmp_eq_u32_e64 s[0:1], 0, v48
	s_and_b64 s[4:5], vcc, s[0:1]
	; wave barrier
	s_and_saveexec_b64 s[0:1], s[4:5]
	s_cbranch_execz .LBB139_171
; %bb.170:
	v_bcnt_u32_b32 v2, v2, 0
	v_bcnt_u32_b32 v2, v3, v2
	s_waitcnt lgkmcnt(0)
	v_add_u32_e32 v2, v45, v2
	ds_write_b32 v46, v2 offset:16
.LBB139_171:
	s_or_b64 exec, exec, s[0:1]
	v_cmp_lt_i32_e32 vcc, -1, v28
	v_cndmask_b32_e32 v2, -1, v4, vcc
	v_xor_b32_e32 v47, v2, v28
	v_cmp_ne_u32_e32 vcc, s2, v47
	v_cndmask_b32_e32 v2, v4, v47, vcc
	v_lshrrev_b32_e32 v2, s68, v2
	v_and_b32_e32 v3, s9, v2
	v_mul_lo_u32 v2, v3, 20
	; wave barrier
	v_lshl_add_u32 v28, v19, 2, v2
	v_and_b32_e32 v2, 1, v3
	v_add_co_u32_e32 v4, vcc, -1, v2
	v_addc_co_u32_e64 v50, s[0:1], 0, -1, vcc
	v_cmp_ne_u32_e32 vcc, 0, v2
	v_xor_b32_e32 v2, vcc_hi, v50
	v_and_b32_e32 v50, exec_hi, v2
	v_lshlrev_b32_e32 v2, 30, v3
	v_xor_b32_e32 v4, vcc_lo, v4
	v_cmp_gt_i64_e32 vcc, 0, v[1:2]
	v_not_b32_e32 v2, v2
	v_ashrrev_i32_e32 v2, 31, v2
	v_and_b32_e32 v4, exec_lo, v4
	v_xor_b32_e32 v51, vcc_hi, v2
	v_xor_b32_e32 v2, vcc_lo, v2
	v_and_b32_e32 v4, v4, v2
	v_lshlrev_b32_e32 v2, 29, v3
	v_cmp_gt_i64_e32 vcc, 0, v[1:2]
	v_not_b32_e32 v2, v2
	v_ashrrev_i32_e32 v2, 31, v2
	v_and_b32_e32 v50, v50, v51
	v_xor_b32_e32 v51, vcc_hi, v2
	v_xor_b32_e32 v2, vcc_lo, v2
	v_and_b32_e32 v4, v4, v2
	v_lshlrev_b32_e32 v2, 28, v3
	v_cmp_gt_i64_e32 vcc, 0, v[1:2]
	v_not_b32_e32 v2, v2
	v_ashrrev_i32_e32 v2, 31, v2
	v_and_b32_e32 v50, v50, v51
	;; [unrolled: 8-line block ×5, first 2 shown]
	v_xor_b32_e32 v51, vcc_hi, v2
	v_xor_b32_e32 v2, vcc_lo, v2
	v_and_b32_e32 v4, v4, v2
	v_lshlrev_b32_e32 v2, 24, v3
	v_cmp_gt_i64_e32 vcc, 0, v[1:2]
	v_not_b32_e32 v1, v2
	v_ashrrev_i32_e32 v1, 31, v1
	v_xor_b32_e32 v2, vcc_hi, v1
	v_xor_b32_e32 v1, vcc_lo, v1
	ds_read_b32 v49, v28 offset:16
	v_and_b32_e32 v50, v50, v51
	v_and_b32_e32 v1, v4, v1
	;; [unrolled: 1-line block ×3, first 2 shown]
	v_mbcnt_lo_u32_b32 v3, v1, 0
	v_mbcnt_hi_u32_b32 v51, v2, v3
	v_cmp_ne_u64_e32 vcc, 0, v[1:2]
	v_cmp_eq_u32_e64 s[0:1], 0, v51
	s_and_b64 s[2:3], vcc, s[0:1]
	; wave barrier
	s_and_saveexec_b64 s[0:1], s[2:3]
	s_cbranch_execz .LBB139_173
; %bb.172:
	v_bcnt_u32_b32 v1, v1, 0
	v_bcnt_u32_b32 v1, v2, v1
	s_waitcnt lgkmcnt(0)
	v_add_u32_e32 v1, v49, v1
	ds_write_b32 v28, v1 offset:16
.LBB139_173:
	s_or_b64 exec, exec, s[0:1]
	v_bfrev_b32_e32 v4, 1
	v_cmp_lt_i32_e32 vcc, -1, v23
	v_cndmask_b32_e32 v1, -1, v4, vcc
	v_xor_b32_e32 v50, v1, v23
	s_brev_b32 s2, -2
	v_cmp_ne_u32_e32 vcc, s2, v50
	v_cndmask_b32_e32 v1, v4, v50, vcc
	v_lshrrev_b32_e32 v1, s68, v1
	v_and_b32_e32 v3, s9, v1
	v_mul_lo_u32 v1, v3, 20
	v_and_b32_e32 v2, 1, v3
	v_add_co_u32_e32 v52, vcc, -1, v2
	v_addc_co_u32_e64 v54, s[0:1], 0, -1, vcc
	v_cmp_ne_u32_e32 vcc, 0, v2
	v_xor_b32_e32 v2, vcc_hi, v54
	v_lshl_add_u32 v23, v19, 2, v1
	v_mov_b32_e32 v1, 0
	v_and_b32_e32 v54, exec_hi, v2
	v_lshlrev_b32_e32 v2, 30, v3
	v_xor_b32_e32 v52, vcc_lo, v52
	v_cmp_gt_i64_e32 vcc, 0, v[1:2]
	v_not_b32_e32 v2, v2
	v_ashrrev_i32_e32 v2, 31, v2
	v_and_b32_e32 v52, exec_lo, v52
	v_xor_b32_e32 v55, vcc_hi, v2
	v_xor_b32_e32 v2, vcc_lo, v2
	v_and_b32_e32 v52, v52, v2
	v_lshlrev_b32_e32 v2, 29, v3
	v_cmp_gt_i64_e32 vcc, 0, v[1:2]
	v_not_b32_e32 v2, v2
	v_ashrrev_i32_e32 v2, 31, v2
	v_and_b32_e32 v54, v54, v55
	v_xor_b32_e32 v55, vcc_hi, v2
	v_xor_b32_e32 v2, vcc_lo, v2
	v_and_b32_e32 v52, v52, v2
	v_lshlrev_b32_e32 v2, 28, v3
	v_cmp_gt_i64_e32 vcc, 0, v[1:2]
	v_not_b32_e32 v2, v2
	v_ashrrev_i32_e32 v2, 31, v2
	v_and_b32_e32 v54, v54, v55
	;; [unrolled: 8-line block ×5, first 2 shown]
	v_xor_b32_e32 v55, vcc_hi, v2
	v_xor_b32_e32 v2, vcc_lo, v2
	v_and_b32_e32 v52, v52, v2
	v_lshlrev_b32_e32 v2, 24, v3
	v_cmp_gt_i64_e32 vcc, 0, v[1:2]
	v_not_b32_e32 v2, v2
	v_ashrrev_i32_e32 v2, 31, v2
	v_xor_b32_e32 v3, vcc_hi, v2
	v_xor_b32_e32 v2, vcc_lo, v2
	; wave barrier
	ds_read_b32 v53, v23 offset:16
	v_and_b32_e32 v54, v54, v55
	v_and_b32_e32 v2, v52, v2
	;; [unrolled: 1-line block ×3, first 2 shown]
	v_mbcnt_lo_u32_b32 v52, v2, 0
	v_mbcnt_hi_u32_b32 v55, v3, v52
	v_cmp_ne_u64_e32 vcc, 0, v[2:3]
	v_cmp_eq_u32_e64 s[0:1], 0, v55
	s_and_b64 s[4:5], vcc, s[0:1]
	; wave barrier
	s_and_saveexec_b64 s[0:1], s[4:5]
	s_cbranch_execz .LBB139_175
; %bb.174:
	v_bcnt_u32_b32 v2, v2, 0
	v_bcnt_u32_b32 v2, v3, v2
	s_waitcnt lgkmcnt(0)
	v_add_u32_e32 v2, v53, v2
	ds_write_b32 v23, v2 offset:16
.LBB139_175:
	s_or_b64 exec, exec, s[0:1]
	v_cmp_lt_i32_e32 vcc, -1, v17
	v_cndmask_b32_e32 v2, -1, v4, vcc
	v_xor_b32_e32 v54, v2, v17
	v_cmp_ne_u32_e32 vcc, s2, v54
	v_cndmask_b32_e32 v2, v4, v54, vcc
	v_lshrrev_b32_e32 v2, s68, v2
	v_and_b32_e32 v3, s9, v2
	v_mul_lo_u32 v2, v3, 20
	; wave barrier
	v_lshl_add_u32 v17, v19, 2, v2
	v_and_b32_e32 v2, 1, v3
	v_add_co_u32_e32 v4, vcc, -1, v2
	v_addc_co_u32_e64 v19, s[0:1], 0, -1, vcc
	v_cmp_ne_u32_e32 vcc, 0, v2
	v_xor_b32_e32 v2, vcc_hi, v19
	v_and_b32_e32 v19, exec_hi, v2
	v_lshlrev_b32_e32 v2, 30, v3
	v_xor_b32_e32 v4, vcc_lo, v4
	v_cmp_gt_i64_e32 vcc, 0, v[1:2]
	v_not_b32_e32 v2, v2
	v_ashrrev_i32_e32 v2, 31, v2
	v_and_b32_e32 v4, exec_lo, v4
	v_xor_b32_e32 v52, vcc_hi, v2
	v_xor_b32_e32 v2, vcc_lo, v2
	v_and_b32_e32 v4, v4, v2
	v_lshlrev_b32_e32 v2, 29, v3
	v_cmp_gt_i64_e32 vcc, 0, v[1:2]
	v_not_b32_e32 v2, v2
	v_ashrrev_i32_e32 v2, 31, v2
	v_and_b32_e32 v19, v19, v52
	v_xor_b32_e32 v52, vcc_hi, v2
	v_xor_b32_e32 v2, vcc_lo, v2
	v_and_b32_e32 v4, v4, v2
	v_lshlrev_b32_e32 v2, 28, v3
	v_cmp_gt_i64_e32 vcc, 0, v[1:2]
	v_not_b32_e32 v2, v2
	v_ashrrev_i32_e32 v2, 31, v2
	v_and_b32_e32 v19, v19, v52
	;; [unrolled: 8-line block ×5, first 2 shown]
	v_xor_b32_e32 v52, vcc_hi, v2
	v_xor_b32_e32 v2, vcc_lo, v2
	v_and_b32_e32 v4, v4, v2
	v_lshlrev_b32_e32 v2, 24, v3
	v_cmp_gt_i64_e32 vcc, 0, v[1:2]
	v_not_b32_e32 v1, v2
	v_ashrrev_i32_e32 v1, 31, v1
	v_xor_b32_e32 v2, vcc_hi, v1
	v_xor_b32_e32 v1, vcc_lo, v1
	ds_read_b32 v56, v17 offset:16
	v_and_b32_e32 v19, v19, v52
	v_and_b32_e32 v1, v4, v1
	;; [unrolled: 1-line block ×3, first 2 shown]
	v_mbcnt_lo_u32_b32 v3, v1, 0
	v_mbcnt_hi_u32_b32 v57, v2, v3
	v_cmp_ne_u64_e32 vcc, 0, v[1:2]
	v_cmp_eq_u32_e64 s[0:1], 0, v57
	s_and_b64 s[2:3], vcc, s[0:1]
	; wave barrier
	s_and_saveexec_b64 s[0:1], s[2:3]
	s_cbranch_execz .LBB139_177
; %bb.176:
	v_bcnt_u32_b32 v1, v1, 0
	v_bcnt_u32_b32 v1, v2, v1
	s_waitcnt lgkmcnt(0)
	v_add_u32_e32 v1, v56, v1
	ds_write_b32 v17, v1 offset:16
.LBB139_177:
	s_or_b64 exec, exec, s[0:1]
	; wave barrier
	s_waitcnt lgkmcnt(0)
	s_barrier
	ds_read2_b32 v[3:4], v6 offset0:4 offset1:5
	ds_read2_b32 v[1:2], v6 offset0:6 offset1:7
	ds_read_b32 v19, v6 offset:32
	v_min_u32_e32 v9, 0xc0, v9
	v_or_b32_e32 v9, 63, v9
	s_waitcnt lgkmcnt(1)
	v_add3_u32 v52, v4, v3, v1
	s_waitcnt lgkmcnt(0)
	v_add3_u32 v19, v52, v2, v19
	v_and_b32_e32 v52, 15, v8
	v_cmp_ne_u32_e32 vcc, 0, v52
	v_mov_b32_dpp v58, v19 row_shr:1 row_mask:0xf bank_mask:0xf
	v_cndmask_b32_e32 v58, 0, v58, vcc
	v_add_u32_e32 v19, v58, v19
	v_cmp_lt_u32_e32 vcc, 1, v52
	s_nop 0
	v_mov_b32_dpp v58, v19 row_shr:2 row_mask:0xf bank_mask:0xf
	v_cndmask_b32_e32 v58, 0, v58, vcc
	v_add_u32_e32 v19, v19, v58
	v_cmp_lt_u32_e32 vcc, 3, v52
	s_nop 0
	;; [unrolled: 5-line block ×3, first 2 shown]
	v_mov_b32_dpp v58, v19 row_shr:8 row_mask:0xf bank_mask:0xf
	v_cndmask_b32_e32 v52, 0, v58, vcc
	v_add_u32_e32 v19, v19, v52
	v_bfe_i32 v58, v8, 4, 1
	v_cmp_lt_u32_e32 vcc, 31, v8
	v_mov_b32_dpp v52, v19 row_bcast:15 row_mask:0xf bank_mask:0xf
	v_and_b32_e32 v52, v58, v52
	v_add_u32_e32 v19, v19, v52
	v_lshrrev_b32_e32 v58, 6, v0
	s_nop 0
	v_mov_b32_dpp v52, v19 row_bcast:31 row_mask:0xf bank_mask:0xf
	v_cndmask_b32_e32 v52, 0, v52, vcc
	v_add_u32_e32 v19, v19, v52
	v_cmp_eq_u32_e32 vcc, v0, v9
	s_and_saveexec_b64 s[0:1], vcc
; %bb.178:
	v_lshlrev_b32_e32 v9, 2, v58
	ds_write_b32 v9, v19
; %bb.179:
	s_or_b64 exec, exec, s[0:1]
	v_cmp_gt_u32_e32 vcc, 4, v0
	v_lshlrev_b32_e32 v52, 2, v0
	s_waitcnt lgkmcnt(0)
	s_barrier
	s_and_saveexec_b64 s[0:1], vcc
	s_cbranch_execz .LBB139_181
; %bb.180:
	ds_read_b32 v9, v52
	v_and_b32_e32 v59, 3, v8
	v_cmp_ne_u32_e32 vcc, 0, v59
	s_waitcnt lgkmcnt(0)
	v_mov_b32_dpp v60, v9 row_shr:1 row_mask:0xf bank_mask:0xf
	v_cndmask_b32_e32 v60, 0, v60, vcc
	v_add_u32_e32 v9, v60, v9
	v_cmp_lt_u32_e32 vcc, 1, v59
	s_nop 0
	v_mov_b32_dpp v60, v9 row_shr:2 row_mask:0xf bank_mask:0xf
	v_cndmask_b32_e32 v59, 0, v60, vcc
	v_add_u32_e32 v9, v9, v59
	ds_write_b32 v52, v9
.LBB139_181:
	s_or_b64 exec, exec, s[0:1]
	v_cmp_lt_u32_e32 vcc, 63, v0
	v_mov_b32_e32 v9, 0
	s_waitcnt lgkmcnt(0)
	s_barrier
	s_and_saveexec_b64 s[0:1], vcc
; %bb.182:
	v_lshl_add_u32 v9, v58, 2, -4
	ds_read_b32 v9, v9
; %bb.183:
	s_or_b64 exec, exec, s[0:1]
	v_add_u32_e32 v58, -1, v8
	v_and_b32_e32 v59, 64, v8
	v_cmp_lt_i32_e32 vcc, v58, v59
	v_cndmask_b32_e32 v58, v58, v8, vcc
	s_waitcnt lgkmcnt(0)
	v_add_u32_e32 v19, v9, v19
	v_lshlrev_b32_e32 v58, 2, v58
	ds_bpermute_b32 v19, v58, v19
	v_cmp_eq_u32_e32 vcc, 0, v8
	s_movk_i32 s0, 0x100
	s_waitcnt lgkmcnt(0)
	v_cndmask_b32_e32 v9, v19, v9, vcc
	v_cmp_ne_u32_e32 vcc, 0, v0
	v_cndmask_b32_e32 v9, 0, v9, vcc
	v_add_u32_e32 v3, v9, v3
	v_add_u32_e32 v4, v3, v4
	;; [unrolled: 1-line block ×4, first 2 shown]
	ds_write2_b32 v6, v9, v3 offset0:4 offset1:5
	ds_write2_b32 v6, v4, v1 offset0:6 offset1:7
	ds_write_b32 v6, v2 offset:32
	s_waitcnt lgkmcnt(0)
	s_barrier
	ds_read_b32 v2, v43 offset:16
	ds_read_b32 v3, v46 offset:16
	;; [unrolled: 1-line block ×13, first 2 shown]
	v_add_u32_e32 v6, 1, v0
	v_cmp_ne_u32_e32 vcc, s0, v6
	v_mov_b32_e32 v1, 0xc00
	s_and_saveexec_b64 s[0:1], vcc
; %bb.184:
	v_mul_u32_u24_e32 v1, 20, v6
	ds_read_b32 v1, v1 offset:16
; %bb.185:
	s_or_b64 exec, exec, s[0:1]
	s_waitcnt lgkmcnt(7)
	v_add_u32_e32 v28, v10, v11
	s_waitcnt lgkmcnt(6)
	v_add3_u32 v25, v15, v13, v14
	s_waitcnt lgkmcnt(5)
	v_add3_u32 v23, v22, v18, v17
	v_add3_u32 v17, v44, v42, v2
	v_lshlrev_b32_e32 v2, 2, v28
	s_waitcnt lgkmcnt(0)
	s_barrier
	ds_write_b32 v2, v5 offset:2048
	v_lshlrev_b32_e32 v2, 2, v25
	v_add3_u32 v22, v26, v24, v19
	ds_write_b32 v2, v12 offset:2048
	v_lshlrev_b32_e32 v2, 2, v23
	v_add3_u32 v20, v32, v29, v20
	;; [unrolled: 3-line block ×4, first 2 shown]
	ds_write_b32 v2, v27 offset:2048
	v_lshlrev_b32_e32 v2, 2, v19
	ds_write_b32 v2, v31 offset:2048
	v_lshlrev_b32_e32 v2, 2, v18
	v_add3_u32 v15, v48, v45, v3
	ds_write_b32 v2, v36 offset:2048
	v_lshlrev_b32_e32 v2, 2, v17
	v_add3_u32 v14, v51, v49, v4
	;; [unrolled: 3-line block ×4, first 2 shown]
	ds_write_b32 v2, v47 offset:2048
	v_lshlrev_b32_e32 v2, 2, v13
	ds_write_b32 v2, v50 offset:2048
	v_lshlrev_b32_e32 v2, 2, v11
	ds_write_b32 v2, v54 offset:2048
	v_sub_u32_e32 v10, v1, v9
	v_lshl_or_b32 v1, s6, 8, v0
	v_mov_b32_e32 v2, 0
	v_lshlrev_b64 v[3:4], 2, v[1:2]
	v_mov_b32_e32 v12, s73
	v_add_co_u32_e32 v3, vcc, s72, v3
	v_addc_co_u32_e32 v4, vcc, v12, v4, vcc
	v_or_b32_e32 v1, 2.0, v10
	s_mov_b64 s[0:1], 0
	s_brev_b32 s10, -4
	v_mov_b32_e32 v16, 0
	s_waitcnt lgkmcnt(0)
	s_barrier
	global_store_dword v[3:4], v1, off
                                        ; implicit-def: $sgpr2_sgpr3
	s_branch .LBB139_188
.LBB139_186:                            ;   in Loop: Header=BB139_188 Depth=1
	s_or_b64 exec, exec, s[4:5]
.LBB139_187:                            ;   in Loop: Header=BB139_188 Depth=1
	s_or_b64 exec, exec, s[2:3]
	v_and_b32_e32 v5, 0x3fffffff, v1
	v_add_u32_e32 v16, v5, v16
	v_cmp_gt_i32_e64 s[2:3], -2.0, v1
	s_and_b64 s[4:5], exec, s[2:3]
	s_or_b64 s[0:1], s[4:5], s[0:1]
	s_andn2_b64 exec, exec, s[0:1]
	s_cbranch_execz .LBB139_193
.LBB139_188:                            ; =>This Loop Header: Depth=1
                                        ;     Child Loop BB139_191 Depth 2
	s_or_b64 s[2:3], s[2:3], exec
	s_cmp_eq_u32 s7, 0
	s_cbranch_scc1 .LBB139_192
; %bb.189:                              ;   in Loop: Header=BB139_188 Depth=1
	s_add_i32 s7, s7, -1
	v_lshl_or_b32 v1, s7, 8, v0
	v_lshlrev_b64 v[5:6], 2, v[1:2]
	v_add_co_u32_e32 v5, vcc, s72, v5
	v_addc_co_u32_e32 v6, vcc, v12, v6, vcc
	global_load_dword v1, v[5:6], off glc
	s_waitcnt vmcnt(0)
	v_cmp_gt_u32_e32 vcc, 2.0, v1
	s_and_saveexec_b64 s[2:3], vcc
	s_cbranch_execz .LBB139_187
; %bb.190:                              ;   in Loop: Header=BB139_188 Depth=1
	s_mov_b64 s[4:5], 0
.LBB139_191:                            ;   Parent Loop BB139_188 Depth=1
                                        ; =>  This Inner Loop Header: Depth=2
	global_load_dword v1, v[5:6], off glc
	s_waitcnt vmcnt(0)
	v_cmp_lt_u32_e32 vcc, s10, v1
	s_or_b64 s[4:5], vcc, s[4:5]
	s_andn2_b64 exec, exec, s[4:5]
	s_cbranch_execnz .LBB139_191
	s_branch .LBB139_186
.LBB139_192:                            ;   in Loop: Header=BB139_188 Depth=1
                                        ; implicit-def: $sgpr7
	s_and_b64 s[4:5], exec, s[2:3]
	s_or_b64 s[0:1], s[4:5], s[0:1]
	s_andn2_b64 exec, exec, s[0:1]
	s_cbranch_execnz .LBB139_188
.LBB139_193:
	s_or_b64 exec, exec, s[0:1]
	v_add_u32_e32 v2, v16, v10
	v_or_b32_e32 v2, 0x80000000, v2
	v_lshlrev_b32_e32 v1, 3, v0
	global_store_dword v[3:4], v2, off
	global_load_dwordx2 v[2:3], v1, s[64:65]
	v_sub_co_u32_e32 v4, vcc, v16, v9
	v_subb_co_u32_e64 v5, s[0:1], 0, 0, vcc
	v_sub_u32_e32 v21, v1, v52
	s_brev_b32 s0, -2
	v_bfrev_b32_e32 v12, 1
	v_mov_b32_e32 v6, s59
	v_mov_b32_e32 v16, s59
	;; [unrolled: 1-line block ×4, first 2 shown]
	v_or_b32_e32 v65, 0x500, v0
	v_or_b32_e32 v66, 0x600, v0
	v_or_b32_e32 v67, 0x700, v0
	v_lshlrev_b32_e32 v7, 3, v7
	v_or_b32_e32 v68, 0x800, v0
	v_lshlrev_b32_e32 v55, 2, v68
	s_waitcnt vmcnt(0)
	v_add_co_u32_e32 v2, vcc, v4, v2
	v_addc_co_u32_e32 v3, vcc, v5, v3, vcc
	ds_write_b64 v1, v[2:3]
	s_waitcnt lgkmcnt(0)
	s_barrier
	ds_read2st64_b32 v[2:3], v21 offset0:8 offset1:12
	ds_read2st64_b32 v[4:5], v21 offset0:16 offset1:20
	;; [unrolled: 1-line block ×3, first 2 shown]
	s_waitcnt lgkmcnt(2)
	v_cmp_ne_u32_e32 vcc, s0, v2
	v_cndmask_b32_e32 v29, v12, v2, vcc
	v_cmp_lt_i32_e32 vcc, -1, v2
	v_cndmask_b32_e64 v30, v12, -1, vcc
	v_cmp_ne_u32_e32 vcc, s0, v3
	v_cndmask_b32_e32 v31, v12, v3, vcc
	v_cmp_lt_i32_e32 vcc, -1, v3
	v_cndmask_b32_e64 v32, v12, -1, vcc
	s_waitcnt lgkmcnt(1)
	v_cmp_ne_u32_e32 vcc, s0, v4
	v_cndmask_b32_e32 v33, v12, v4, vcc
	v_cmp_lt_i32_e32 vcc, -1, v4
	v_cndmask_b32_e64 v34, v12, -1, vcc
	v_cmp_ne_u32_e32 vcc, s0, v5
	v_cndmask_b32_e32 v36, v12, v5, vcc
	v_lshrrev_b32_e32 v29, s68, v29
	v_xor_b32_e32 v38, v30, v2
	v_lshrrev_b32_e32 v2, s68, v31
	v_xor_b32_e32 v39, v32, v3
	;; [unrolled: 2-line block ×3, first 2 shown]
	v_lshrrev_b32_e32 v4, s68, v36
	v_and_b32_e32 v29, s9, v29
	v_and_b32_e32 v2, s9, v2
	;; [unrolled: 1-line block ×4, first 2 shown]
	v_lshlrev_b32_e32 v57, 3, v29
	v_lshlrev_b32_e32 v58, 3, v2
	;; [unrolled: 1-line block ×4, first 2 shown]
	ds_read_b64 v[2:3], v57
	ds_read_b64 v[29:30], v58
	;; [unrolled: 1-line block ×4, first 2 shown]
	v_cmp_lt_i32_e32 vcc, -1, v5
	s_waitcnt lgkmcnt(3)
	v_lshlrev_b64 v[2:3], 2, v[2:3]
	v_cndmask_b32_e64 v37, v12, -1, vcc
	v_xor_b32_e32 v36, v37, v5
	s_waitcnt lgkmcnt(2)
	v_lshlrev_b64 v[4:5], 2, v[29:30]
	v_add_co_u32_e32 v2, vcc, s58, v2
	v_addc_co_u32_e32 v3, vcc, v6, v3, vcc
	s_waitcnt lgkmcnt(1)
	v_lshlrev_b64 v[29:30], 2, v[31:32]
	v_add_co_u32_e32 v4, vcc, s58, v4
	v_addc_co_u32_e32 v5, vcc, v16, v5, vcc
	s_waitcnt lgkmcnt(0)
	v_lshlrev_b64 v[31:32], 2, v[33:34]
	v_add_co_u32_e32 v6, vcc, s58, v29
	v_addc_co_u32_e32 v16, vcc, v24, v30, vcc
	v_add_co_u32_e32 v24, vcc, s58, v31
	v_addc_co_u32_e32 v32, vcc, v35, v32, vcc
	v_add_co_u32_e32 v2, vcc, v2, v52
	v_addc_co_u32_e32 v3, vcc, 0, v3, vcc
	;; [unrolled: 2-line block ×5, first 2 shown]
	v_cmp_ne_u32_e32 vcc, s0, v26
	global_store_dword v[2:3], v38, off
	global_store_dword v[4:5], v39, off offset:1024
	global_store_dword v[29:30], v40, off offset:2048
	;; [unrolled: 1-line block ×3, first 2 shown]
	v_cndmask_b32_e32 v2, v12, v26, vcc
	v_lshrrev_b32_e32 v2, s68, v2
	v_and_b32_e32 v2, s9, v2
	v_cmp_lt_i32_e32 vcc, -1, v26
	v_cndmask_b32_e64 v3, v12, -1, vcc
	v_lshlrev_b32_e32 v61, 3, v2
	v_xor_b32_e32 v6, v3, v26
	ds_read_b64 v[2:3], v61
	ds_read2st64_b32 v[4:5], v21 offset0:32 offset1:36
	v_cmp_ne_u32_e32 vcc, s0, v27
	v_cndmask_b32_e32 v16, v12, v27, vcc
	v_lshrrev_b32_e32 v16, s68, v16
	v_and_b32_e32 v16, s9, v16
	s_waitcnt lgkmcnt(0)
	v_cmp_ne_u32_e32 vcc, s0, v4
	v_lshlrev_b32_e32 v62, 3, v16
	v_cndmask_b32_e32 v16, v12, v4, vcc
	v_lshrrev_b32_e32 v16, s68, v16
	v_and_b32_e32 v16, s9, v16
	v_cmp_ne_u32_e32 vcc, s0, v5
	v_lshlrev_b32_e32 v63, 3, v16
	v_cndmask_b32_e32 v16, v12, v5, vcc
	v_lshrrev_b32_e32 v16, s68, v16
	v_lshlrev_b64 v[2:3], 2, v[2:3]
	v_and_b32_e32 v16, s9, v16
	v_or_b32_e32 v24, 0x400, v0
	v_lshlrev_b32_e32 v64, 3, v16
	v_mov_b32_e32 v16, s59
	v_add_co_u32_e32 v2, vcc, s58, v2
	v_addc_co_u32_e32 v3, vcc, v16, v3, vcc
	v_lshlrev_b32_e32 v16, 2, v24
	v_add_co_u32_e32 v2, vcc, v2, v16
	ds_read_b64 v[29:30], v62
	ds_read_b64 v[31:32], v63
	;; [unrolled: 1-line block ×3, first 2 shown]
	v_addc_co_u32_e32 v3, vcc, 0, v3, vcc
	v_cmp_lt_i32_e32 vcc, -1, v27
	global_store_dword v[2:3], v6, off
	v_cndmask_b32_e64 v2, v12, -1, vcc
	v_xor_b32_e32 v6, v2, v27
	s_waitcnt lgkmcnt(2)
	v_lshlrev_b64 v[2:3], 2, v[29:30]
	v_mov_b32_e32 v16, s59
	v_add_co_u32_e32 v2, vcc, s58, v2
	v_addc_co_u32_e32 v3, vcc, v16, v3, vcc
	v_lshlrev_b32_e32 v16, 2, v65
	v_add_co_u32_e32 v2, vcc, v2, v16
	v_addc_co_u32_e32 v3, vcc, 0, v3, vcc
	v_cmp_lt_i32_e32 vcc, -1, v4
	global_store_dword v[2:3], v6, off
	v_cndmask_b32_e64 v2, v12, -1, vcc
	v_xor_b32_e32 v4, v2, v4
	s_waitcnt lgkmcnt(1)
	v_lshlrev_b64 v[2:3], 2, v[31:32]
	v_mov_b32_e32 v6, s59
	v_add_co_u32_e32 v2, vcc, s58, v2
	v_addc_co_u32_e32 v3, vcc, v6, v3, vcc
	v_lshlrev_b32_e32 v6, 2, v66
	v_add_co_u32_e32 v2, vcc, v2, v6
	v_addc_co_u32_e32 v3, vcc, 0, v3, vcc
	v_cmp_lt_i32_e32 vcc, -1, v5
	global_store_dword v[2:3], v4, off
	v_cndmask_b32_e64 v2, v12, -1, vcc
	v_xor_b32_e32 v6, v2, v5
	s_waitcnt lgkmcnt(0)
	v_lshlrev_b64 v[2:3], 2, v[33:34]
	v_mov_b32_e32 v4, s59
	v_add_co_u32_e32 v5, vcc, s58, v2
	v_addc_co_u32_e32 v16, vcc, v4, v3, vcc
	ds_read2st64_b32 v[2:3], v21 offset0:40 offset1:44
	v_lshlrev_b32_e32 v4, 2, v67
	v_add_co_u32_e32 v4, vcc, v5, v4
	v_addc_co_u32_e32 v5, vcc, 0, v16, vcc
	s_waitcnt lgkmcnt(0)
	v_cmp_ne_u32_e32 vcc, s0, v2
	global_store_dword v[4:5], v6, off
	v_cndmask_b32_e32 v4, v12, v2, vcc
	v_lshrrev_b32_e32 v4, s68, v4
	v_and_b32_e32 v4, s9, v4
	v_cmp_lt_i32_e32 vcc, -1, v2
	v_cndmask_b32_e64 v5, v12, -1, vcc
	v_lshlrev_b32_e32 v69, 3, v4
	v_xor_b32_e32 v2, v5, v2
	ds_read_b64 v[4:5], v69
	ds_read2st64_b32 v[26:27], v21 offset0:48 offset1:52
	v_cmp_ne_u32_e32 vcc, s0, v3
	v_cndmask_b32_e32 v6, v12, v3, vcc
	v_lshrrev_b32_e32 v6, s68, v6
	v_and_b32_e32 v6, s9, v6
	s_waitcnt lgkmcnt(0)
	v_cmp_ne_u32_e32 vcc, s0, v26
	v_lshlrev_b32_e32 v21, 3, v6
	v_cndmask_b32_e32 v6, v12, v26, vcc
	v_lshrrev_b32_e32 v6, s68, v6
	v_and_b32_e32 v6, s9, v6
	v_cmp_ne_u32_e32 vcc, s0, v27
	v_lshlrev_b32_e32 v70, 3, v6
	v_cndmask_b32_e32 v6, v12, v27, vcc
	v_lshrrev_b32_e32 v6, s68, v6
	s_lshl_b64 s[0:1], s[54:55], 3
	v_and_b32_e32 v6, s9, v6
	s_add_u32 s0, s60, s0
	v_lshlrev_b32_e32 v71, 3, v6
	s_addc_u32 s1, s61, s1
	v_lshlrev_b32_e32 v6, 3, v8
	v_mov_b32_e32 v8, s1
	v_add_co_u32_e32 v6, vcc, s0, v6
	v_addc_co_u32_e32 v8, vcc, 0, v8, vcc
	v_add_co_u32_e32 v6, vcc, v6, v7
	v_addc_co_u32_e32 v7, vcc, 0, v8, vcc
	ds_read_b64 v[29:30], v21
	ds_read_b64 v[31:32], v70
	;; [unrolled: 1-line block ×3, first 2 shown]
	global_load_dwordx2 v[35:36], v[6:7], off
	s_movk_i32 s0, 0x1000
	v_lshlrev_b64 v[4:5], 2, v[4:5]
	global_load_dwordx2 v[37:38], v[6:7], off offset:512
	global_load_dwordx2 v[39:40], v[6:7], off offset:1024
	;; [unrolled: 1-line block ×7, first 2 shown]
	v_add_co_u32_e32 v6, vcc, s0, v6
	v_addc_co_u32_e32 v7, vcc, 0, v7, vcc
	v_mov_b32_e32 v8, s59
	global_load_dwordx2 v[51:52], v[6:7], off
	global_load_dwordx2 v[53:54], v[6:7], off offset:512
	v_add_co_u32_e32 v16, vcc, s58, v4
	v_addc_co_u32_e32 v8, vcc, v8, v5, vcc
	global_load_dwordx2 v[4:5], v[6:7], off offset:1024
	v_add_co_u32_e32 v55, vcc, v16, v55
	global_load_dwordx2 v[6:7], v[6:7], off offset:1536
	v_addc_co_u32_e32 v56, vcc, 0, v8, vcc
	v_cmp_lt_i32_e32 vcc, -1, v3
	global_store_dword v[55:56], v2, off
	v_cndmask_b32_e64 v2, v12, -1, vcc
	v_xor_b32_e32 v16, v2, v3
	s_waitcnt lgkmcnt(2)
	v_lshlrev_b64 v[2:3], 2, v[29:30]
	v_or_b32_e32 v8, 0x900, v0
	v_mov_b32_e32 v29, s59
	v_add_co_u32_e32 v2, vcc, s58, v2
	v_addc_co_u32_e32 v3, vcc, v29, v3, vcc
	v_lshlrev_b32_e32 v29, 2, v8
	v_add_co_u32_e32 v2, vcc, v2, v29
	v_addc_co_u32_e32 v3, vcc, 0, v3, vcc
	v_cmp_lt_i32_e32 vcc, -1, v26
	global_store_dword v[2:3], v16, off
	v_cndmask_b32_e64 v2, v12, -1, vcc
	v_xor_b32_e32 v16, v2, v26
	s_waitcnt lgkmcnt(1)
	v_lshlrev_b64 v[2:3], 2, v[31:32]
	v_or_b32_e32 v29, 0xa00, v0
	v_mov_b32_e32 v26, s59
	v_add_co_u32_e32 v2, vcc, s58, v2
	v_addc_co_u32_e32 v3, vcc, v26, v3, vcc
	v_lshlrev_b32_e32 v26, 2, v29
	v_add_co_u32_e32 v2, vcc, v2, v26
	v_addc_co_u32_e32 v3, vcc, 0, v3, vcc
	v_cmp_lt_i32_e32 vcc, -1, v27
	global_store_dword v[2:3], v16, off
	v_cndmask_b32_e64 v2, v12, -1, vcc
	v_xor_b32_e32 v12, v2, v27
	s_waitcnt lgkmcnt(0)
	v_lshlrev_b64 v[2:3], 2, v[33:34]
	v_or_b32_e32 v0, 0xb00, v0
	v_mov_b32_e32 v16, s59
	v_add_co_u32_e32 v2, vcc, s58, v2
	v_addc_co_u32_e32 v3, vcc, v16, v3, vcc
	v_lshlrev_b32_e32 v16, 2, v0
	v_add_co_u32_e32 v2, vcc, v2, v16
	v_addc_co_u32_e32 v3, vcc, 0, v3, vcc
	global_store_dword v[2:3], v12, off
	v_lshlrev_b32_e32 v2, 3, v28
	s_waitcnt vmcnt(0)
	s_barrier
	v_lshlrev_b32_e32 v0, 3, v0
	s_add_i32 s8, s8, -1
	s_cmp_lg_u32 s6, s8
	ds_write_b64 v2, v[35:36] offset:2048
	v_lshlrev_b32_e32 v2, 3, v25
	ds_write_b64 v2, v[37:38] offset:2048
	v_lshlrev_b32_e32 v2, 3, v23
	;; [unrolled: 2-line block ×11, first 2 shown]
	ds_write_b64 v2, v[6:7] offset:2048
	s_waitcnt lgkmcnt(0)
	s_barrier
	ds_read_b64 v[6:7], v57
	ds_read2st64_b64 v[2:5], v1 offset0:4 offset1:8
	ds_read_b64 v[11:12], v58
	ds_read_b64 v[13:14], v59
	;; [unrolled: 1-line block ×3, first 2 shown]
	s_waitcnt lgkmcnt(4)
	v_lshlrev_b64 v[6:7], 3, v[6:7]
	v_mov_b32_e32 v17, s63
	v_add_co_u32_e32 v6, vcc, s62, v6
	v_addc_co_u32_e32 v7, vcc, v17, v7, vcc
	v_add_co_u32_e32 v6, vcc, v6, v1
	v_addc_co_u32_e32 v7, vcc, 0, v7, vcc
	s_waitcnt lgkmcnt(3)
	global_store_dwordx2 v[6:7], v[2:3], off
	s_waitcnt lgkmcnt(2)
	v_lshlrev_b64 v[2:3], 3, v[11:12]
	v_mov_b32_e32 v6, s63
	v_add_co_u32_e32 v2, vcc, s62, v2
	v_addc_co_u32_e32 v3, vcc, v6, v3, vcc
	v_add_co_u32_e32 v2, vcc, v2, v1
	v_addc_co_u32_e32 v3, vcc, 0, v3, vcc
	s_waitcnt lgkmcnt(1)
	v_lshlrev_b64 v[6:7], 3, v[13:14]
	global_store_dwordx2 v[2:3], v[4:5], off offset:2048
	ds_read2st64_b64 v[2:5], v1 offset0:12 offset1:16
	v_mov_b32_e32 v11, s63
	v_add_co_u32_e32 v6, vcc, s62, v6
	v_addc_co_u32_e32 v7, vcc, v11, v7, vcc
	v_or_b32_e32 v11, 0x1000, v1
	v_add_co_u32_e32 v6, vcc, v6, v11
	v_addc_co_u32_e32 v7, vcc, 0, v7, vcc
	s_waitcnt lgkmcnt(0)
	global_store_dwordx2 v[6:7], v[2:3], off
	v_lshlrev_b64 v[2:3], 3, v[15:16]
	v_mov_b32_e32 v6, s63
	v_add_co_u32_e32 v2, vcc, s62, v2
	v_addc_co_u32_e32 v3, vcc, v6, v3, vcc
	v_or_b32_e32 v6, 0x1800, v1
	v_add_co_u32_e32 v2, vcc, v2, v6
	v_addc_co_u32_e32 v3, vcc, 0, v3, vcc
	global_store_dwordx2 v[2:3], v[4:5], off
	ds_read_b64 v[6:7], v61
	ds_read2st64_b64 v[2:5], v1 offset0:20 offset1:24
	ds_read_b64 v[11:12], v62
	ds_read_b64 v[13:14], v63
	;; [unrolled: 1-line block ×3, first 2 shown]
	s_waitcnt lgkmcnt(4)
	v_lshlrev_b64 v[6:7], 3, v[6:7]
	v_add_co_u32_e32 v6, vcc, s62, v6
	v_addc_co_u32_e32 v7, vcc, v17, v7, vcc
	v_lshlrev_b32_e32 v17, 3, v24
	v_add_co_u32_e32 v6, vcc, v6, v17
	v_addc_co_u32_e32 v7, vcc, 0, v7, vcc
	s_waitcnt lgkmcnt(3)
	global_store_dwordx2 v[6:7], v[2:3], off
	s_waitcnt lgkmcnt(2)
	v_lshlrev_b64 v[2:3], 3, v[11:12]
	v_mov_b32_e32 v6, s63
	v_add_co_u32_e32 v2, vcc, s62, v2
	v_addc_co_u32_e32 v3, vcc, v6, v3, vcc
	v_lshlrev_b32_e32 v6, 3, v65
	v_add_co_u32_e32 v2, vcc, v2, v6
	v_addc_co_u32_e32 v3, vcc, 0, v3, vcc
	s_waitcnt lgkmcnt(1)
	v_lshlrev_b64 v[6:7], 3, v[13:14]
	global_store_dwordx2 v[2:3], v[4:5], off
	ds_read2st64_b64 v[2:5], v1 offset0:28 offset1:32
	v_mov_b32_e32 v11, s63
	v_add_co_u32_e32 v6, vcc, s62, v6
	v_addc_co_u32_e32 v7, vcc, v11, v7, vcc
	v_lshlrev_b32_e32 v11, 3, v66
	v_add_co_u32_e32 v6, vcc, v6, v11
	v_addc_co_u32_e32 v7, vcc, 0, v7, vcc
	s_waitcnt lgkmcnt(0)
	global_store_dwordx2 v[6:7], v[2:3], off
	v_lshlrev_b64 v[2:3], 3, v[15:16]
	v_mov_b32_e32 v6, s63
	v_add_co_u32_e32 v2, vcc, s62, v2
	v_addc_co_u32_e32 v3, vcc, v6, v3, vcc
	v_lshlrev_b32_e32 v6, 3, v67
	v_add_co_u32_e32 v2, vcc, v2, v6
	v_addc_co_u32_e32 v3, vcc, 0, v3, vcc
	global_store_dwordx2 v[2:3], v[4:5], off
	ds_read_b64 v[6:7], v69
	ds_read2st64_b64 v[2:5], v1 offset0:36 offset1:40
	ds_read_b64 v[11:12], v21
	ds_read_b64 v[13:14], v70
	;; [unrolled: 1-line block ×3, first 2 shown]
	s_waitcnt lgkmcnt(4)
	v_lshlrev_b64 v[6:7], 3, v[6:7]
	v_mov_b32_e32 v17, s63
	v_add_co_u32_e32 v6, vcc, s62, v6
	v_addc_co_u32_e32 v7, vcc, v17, v7, vcc
	v_lshlrev_b32_e32 v17, 3, v68
	v_add_co_u32_e32 v6, vcc, v6, v17
	v_addc_co_u32_e32 v7, vcc, 0, v7, vcc
	s_waitcnt lgkmcnt(3)
	global_store_dwordx2 v[6:7], v[2:3], off
	s_waitcnt lgkmcnt(2)
	v_lshlrev_b64 v[2:3], 3, v[11:12]
	v_mov_b32_e32 v6, s63
	v_add_co_u32_e32 v2, vcc, s62, v2
	v_addc_co_u32_e32 v3, vcc, v6, v3, vcc
	v_lshlrev_b32_e32 v6, 3, v8
	v_add_co_u32_e32 v2, vcc, v2, v6
	v_addc_co_u32_e32 v3, vcc, 0, v3, vcc
	s_waitcnt lgkmcnt(1)
	v_lshlrev_b64 v[6:7], 3, v[13:14]
	global_store_dwordx2 v[2:3], v[4:5], off
	ds_read2st64_b64 v[2:5], v1 offset0:44 offset1:48
	v_mov_b32_e32 v8, s63
	v_add_co_u32_e32 v6, vcc, s62, v6
	v_addc_co_u32_e32 v7, vcc, v8, v7, vcc
	v_lshlrev_b32_e32 v8, 3, v29
	v_add_co_u32_e32 v6, vcc, v6, v8
	v_addc_co_u32_e32 v7, vcc, 0, v7, vcc
	s_waitcnt lgkmcnt(0)
	global_store_dwordx2 v[6:7], v[2:3], off
	v_lshlrev_b64 v[2:3], 3, v[15:16]
	v_mov_b32_e32 v6, s63
	v_add_co_u32_e32 v2, vcc, s62, v2
	v_addc_co_u32_e32 v3, vcc, v6, v3, vcc
	v_add_co_u32_e32 v2, vcc, v2, v0
	v_addc_co_u32_e32 v3, vcc, 0, v3, vcc
	global_store_dwordx2 v[2:3], v[4:5], off
	s_cbranch_scc1 .LBB139_195
; %bb.194:
	ds_read_b64 v[2:3], v1
	v_add_co_u32_e32 v0, vcc, v10, v9
	v_addc_co_u32_e64 v4, s[0:1], 0, 0, vcc
	s_waitcnt lgkmcnt(0)
	v_add_co_u32_e32 v2, vcc, v0, v2
	v_addc_co_u32_e32 v3, vcc, v4, v3, vcc
	global_store_dwordx2 v1, v[2:3], s[66:67]
.LBB139_195:
	s_endpgm
.LBB139_196:
	s_or_b64 exec, exec, s[0:1]
	s_and_saveexec_b64 s[0:1], s[26:27]
	s_cbranch_execz .LBB139_139
.LBB139_197:
	v_lshlrev_b32_e32 v3, 3, v60
	ds_read_b64 v[3:4], v3
	ds_read_b64 v[5:6], v32 offset:4096
	v_mov_b32_e32 v7, s63
	s_waitcnt lgkmcnt(1)
	v_lshlrev_b64 v[3:4], 3, v[3:4]
	v_add_co_u32_e32 v3, vcc, s62, v3
	v_addc_co_u32_e32 v4, vcc, v7, v4, vcc
	v_add_co_u32_e32 v3, vcc, v3, v32
	v_addc_co_u32_e32 v4, vcc, 0, v4, vcc
	s_waitcnt lgkmcnt(0)
	global_store_dwordx2 v[3:4], v[5:6], off offset:2048
	s_or_b64 exec, exec, s[0:1]
	s_and_saveexec_b64 s[0:1], s[28:29]
	s_cbranch_execnz .LBB139_140
.LBB139_198:
	s_or_b64 exec, exec, s[0:1]
	s_and_saveexec_b64 s[0:1], s[30:31]
	s_cbranch_execz .LBB139_141
.LBB139_199:
	v_lshlrev_b32_e32 v3, 3, v58
	ds_read_b64 v[3:4], v3
	ds_read_b64 v[5:6], v32 offset:8192
	v_mov_b32_e32 v7, s63
	s_waitcnt lgkmcnt(1)
	v_lshlrev_b64 v[3:4], 3, v[3:4]
	v_add_co_u32_e32 v3, vcc, s62, v3
	v_addc_co_u32_e32 v4, vcc, v7, v4, vcc
	v_lshlrev_b32_e32 v7, 3, v46
	v_add_co_u32_e32 v3, vcc, v3, v7
	v_addc_co_u32_e32 v4, vcc, 0, v4, vcc
	s_waitcnt lgkmcnt(0)
	global_store_dwordx2 v[3:4], v[5:6], off
	s_or_b64 exec, exec, s[0:1]
	s_and_saveexec_b64 s[0:1], s[34:35]
	s_cbranch_execnz .LBB139_142
.LBB139_200:
	s_or_b64 exec, exec, s[0:1]
	s_and_saveexec_b64 s[0:1], s[36:37]
	s_cbranch_execz .LBB139_143
.LBB139_201:
	v_lshlrev_b32_e32 v3, 3, v56
	ds_read_b64 v[3:4], v3
	ds_read_b64 v[5:6], v32 offset:12288
	v_mov_b32_e32 v7, s63
	s_waitcnt lgkmcnt(1)
	v_lshlrev_b64 v[3:4], 3, v[3:4]
	v_add_co_u32_e32 v3, vcc, s62, v3
	v_addc_co_u32_e32 v4, vcc, v7, v4, vcc
	v_lshlrev_b32_e32 v7, 3, v48
	v_add_co_u32_e32 v3, vcc, v3, v7
	v_addc_co_u32_e32 v4, vcc, 0, v4, vcc
	s_waitcnt lgkmcnt(0)
	global_store_dwordx2 v[3:4], v[5:6], off
	s_or_b64 exec, exec, s[0:1]
	s_and_saveexec_b64 s[0:1], s[38:39]
	s_cbranch_execnz .LBB139_144
.LBB139_202:
	s_or_b64 exec, exec, s[0:1]
	s_and_saveexec_b64 s[0:1], s[40:41]
	s_cbranch_execz .LBB139_145
.LBB139_203:
	v_lshlrev_b32_e32 v3, 3, v55
	ds_read_b64 v[3:4], v3
	ds_read_b64 v[5:6], v32 offset:16384
	v_mov_b32_e32 v7, s63
	s_waitcnt lgkmcnt(1)
	v_lshlrev_b64 v[3:4], 3, v[3:4]
	v_add_co_u32_e32 v3, vcc, s62, v3
	v_addc_co_u32_e32 v4, vcc, v7, v4, vcc
	v_lshlrev_b32_e32 v7, 3, v50
	v_add_co_u32_e32 v3, vcc, v3, v7
	v_addc_co_u32_e32 v4, vcc, 0, v4, vcc
	s_waitcnt lgkmcnt(0)
	global_store_dwordx2 v[3:4], v[5:6], off
	s_or_b64 exec, exec, s[0:1]
	s_and_saveexec_b64 s[0:1], s[42:43]
	s_cbranch_execnz .LBB139_146
.LBB139_204:
	s_or_b64 exec, exec, s[0:1]
	s_and_saveexec_b64 s[0:1], s[44:45]
	s_cbranch_execz .LBB139_147
.LBB139_205:
	v_lshlrev_b32_e32 v3, 3, v28
	ds_read_b64 v[3:4], v3
	ds_read_b64 v[5:6], v32 offset:20480
	v_mov_b32_e32 v7, s63
	s_waitcnt lgkmcnt(1)
	v_lshlrev_b64 v[3:4], 3, v[3:4]
	v_add_co_u32_e32 v3, vcc, s62, v3
	v_addc_co_u32_e32 v4, vcc, v7, v4, vcc
	v_lshlrev_b32_e32 v7, 3, v52
	v_add_co_u32_e32 v3, vcc, v3, v7
	v_addc_co_u32_e32 v4, vcc, 0, v4, vcc
	s_waitcnt lgkmcnt(0)
	global_store_dwordx2 v[3:4], v[5:6], off
	s_or_b64 exec, exec, s[0:1]
	s_and_saveexec_b64 s[0:1], s[46:47]
	s_cbranch_execnz .LBB139_148
.LBB139_206:
	s_or_b64 exec, exec, s[0:1]
	s_and_saveexec_b64 s[0:1], s[48:49]
	s_cbranch_execz .LBB139_149
.LBB139_207:
	v_lshlrev_b32_e32 v3, 3, v27
	ds_read_b64 v[3:4], v3
	ds_read_b64 v[5:6], v32 offset:24576
	v_mov_b32_e32 v7, s63
	s_waitcnt lgkmcnt(1)
	v_lshlrev_b64 v[3:4], 3, v[3:4]
	v_add_co_u32_e32 v3, vcc, s62, v3
	v_addc_co_u32_e32 v4, vcc, v7, v4, vcc
	v_lshlrev_b32_e32 v7, 3, v54
	v_add_co_u32_e32 v3, vcc, v3, v7
	v_addc_co_u32_e32 v4, vcc, 0, v4, vcc
	s_waitcnt lgkmcnt(0)
	global_store_dwordx2 v[3:4], v[5:6], off
	s_or_b64 exec, exec, s[0:1]
	s_add_i32 s33, s33, -1
	s_cmp_eq_u32 s6, s33
	s_cbranch_scc1 .LBB139_150
	s_branch .LBB139_151
	.section	.rodata,"a",@progbits
	.p2align	6, 0x0
	.amdhsa_kernel _ZN7rocprim17ROCPRIM_304000_NS6detail25onesweep_iteration_kernelINS1_34wrapped_radix_sort_onesweep_configINS0_14default_configEfN2at4cuda3cub6detail10OpaqueTypeILi8EEEEELb0EPfSC_PSA_SD_mNS0_19identity_decomposerEEEvT1_T2_T3_T4_jPT5_SK_PNS1_23onesweep_lookback_stateET6_jjj
		.amdhsa_group_segment_fixed_size 26624
		.amdhsa_private_segment_fixed_size 0
		.amdhsa_kernarg_size 336
		.amdhsa_user_sgpr_count 6
		.amdhsa_user_sgpr_private_segment_buffer 1
		.amdhsa_user_sgpr_dispatch_ptr 0
		.amdhsa_user_sgpr_queue_ptr 0
		.amdhsa_user_sgpr_kernarg_segment_ptr 1
		.amdhsa_user_sgpr_dispatch_id 0
		.amdhsa_user_sgpr_flat_scratch_init 0
		.amdhsa_user_sgpr_private_segment_size 0
		.amdhsa_uses_dynamic_stack 0
		.amdhsa_system_sgpr_private_segment_wavefront_offset 0
		.amdhsa_system_sgpr_workgroup_id_x 1
		.amdhsa_system_sgpr_workgroup_id_y 0
		.amdhsa_system_sgpr_workgroup_id_z 0
		.amdhsa_system_sgpr_workgroup_info 0
		.amdhsa_system_vgpr_workitem_id 2
		.amdhsa_next_free_vgpr 85
		.amdhsa_next_free_sgpr 98
		.amdhsa_reserve_vcc 1
		.amdhsa_reserve_flat_scratch 0
		.amdhsa_float_round_mode_32 0
		.amdhsa_float_round_mode_16_64 0
		.amdhsa_float_denorm_mode_32 3
		.amdhsa_float_denorm_mode_16_64 3
		.amdhsa_dx10_clamp 1
		.amdhsa_ieee_mode 1
		.amdhsa_fp16_overflow 0
		.amdhsa_exception_fp_ieee_invalid_op 0
		.amdhsa_exception_fp_denorm_src 0
		.amdhsa_exception_fp_ieee_div_zero 0
		.amdhsa_exception_fp_ieee_overflow 0
		.amdhsa_exception_fp_ieee_underflow 0
		.amdhsa_exception_fp_ieee_inexact 0
		.amdhsa_exception_int_div_zero 0
	.end_amdhsa_kernel
	.section	.text._ZN7rocprim17ROCPRIM_304000_NS6detail25onesweep_iteration_kernelINS1_34wrapped_radix_sort_onesweep_configINS0_14default_configEfN2at4cuda3cub6detail10OpaqueTypeILi8EEEEELb0EPfSC_PSA_SD_mNS0_19identity_decomposerEEEvT1_T2_T3_T4_jPT5_SK_PNS1_23onesweep_lookback_stateET6_jjj,"axG",@progbits,_ZN7rocprim17ROCPRIM_304000_NS6detail25onesweep_iteration_kernelINS1_34wrapped_radix_sort_onesweep_configINS0_14default_configEfN2at4cuda3cub6detail10OpaqueTypeILi8EEEEELb0EPfSC_PSA_SD_mNS0_19identity_decomposerEEEvT1_T2_T3_T4_jPT5_SK_PNS1_23onesweep_lookback_stateET6_jjj,comdat
.Lfunc_end139:
	.size	_ZN7rocprim17ROCPRIM_304000_NS6detail25onesweep_iteration_kernelINS1_34wrapped_radix_sort_onesweep_configINS0_14default_configEfN2at4cuda3cub6detail10OpaqueTypeILi8EEEEELb0EPfSC_PSA_SD_mNS0_19identity_decomposerEEEvT1_T2_T3_T4_jPT5_SK_PNS1_23onesweep_lookback_stateET6_jjj, .Lfunc_end139-_ZN7rocprim17ROCPRIM_304000_NS6detail25onesweep_iteration_kernelINS1_34wrapped_radix_sort_onesweep_configINS0_14default_configEfN2at4cuda3cub6detail10OpaqueTypeILi8EEEEELb0EPfSC_PSA_SD_mNS0_19identity_decomposerEEEvT1_T2_T3_T4_jPT5_SK_PNS1_23onesweep_lookback_stateET6_jjj
                                        ; -- End function
	.set _ZN7rocprim17ROCPRIM_304000_NS6detail25onesweep_iteration_kernelINS1_34wrapped_radix_sort_onesweep_configINS0_14default_configEfN2at4cuda3cub6detail10OpaqueTypeILi8EEEEELb0EPfSC_PSA_SD_mNS0_19identity_decomposerEEEvT1_T2_T3_T4_jPT5_SK_PNS1_23onesweep_lookback_stateET6_jjj.num_vgpr, 72
	.set _ZN7rocprim17ROCPRIM_304000_NS6detail25onesweep_iteration_kernelINS1_34wrapped_radix_sort_onesweep_configINS0_14default_configEfN2at4cuda3cub6detail10OpaqueTypeILi8EEEEELb0EPfSC_PSA_SD_mNS0_19identity_decomposerEEEvT1_T2_T3_T4_jPT5_SK_PNS1_23onesweep_lookback_stateET6_jjj.num_agpr, 0
	.set _ZN7rocprim17ROCPRIM_304000_NS6detail25onesweep_iteration_kernelINS1_34wrapped_radix_sort_onesweep_configINS0_14default_configEfN2at4cuda3cub6detail10OpaqueTypeILi8EEEEELb0EPfSC_PSA_SD_mNS0_19identity_decomposerEEEvT1_T2_T3_T4_jPT5_SK_PNS1_23onesweep_lookback_stateET6_jjj.numbered_sgpr, 75
	.set _ZN7rocprim17ROCPRIM_304000_NS6detail25onesweep_iteration_kernelINS1_34wrapped_radix_sort_onesweep_configINS0_14default_configEfN2at4cuda3cub6detail10OpaqueTypeILi8EEEEELb0EPfSC_PSA_SD_mNS0_19identity_decomposerEEEvT1_T2_T3_T4_jPT5_SK_PNS1_23onesweep_lookback_stateET6_jjj.num_named_barrier, 0
	.set _ZN7rocprim17ROCPRIM_304000_NS6detail25onesweep_iteration_kernelINS1_34wrapped_radix_sort_onesweep_configINS0_14default_configEfN2at4cuda3cub6detail10OpaqueTypeILi8EEEEELb0EPfSC_PSA_SD_mNS0_19identity_decomposerEEEvT1_T2_T3_T4_jPT5_SK_PNS1_23onesweep_lookback_stateET6_jjj.private_seg_size, 0
	.set _ZN7rocprim17ROCPRIM_304000_NS6detail25onesweep_iteration_kernelINS1_34wrapped_radix_sort_onesweep_configINS0_14default_configEfN2at4cuda3cub6detail10OpaqueTypeILi8EEEEELb0EPfSC_PSA_SD_mNS0_19identity_decomposerEEEvT1_T2_T3_T4_jPT5_SK_PNS1_23onesweep_lookback_stateET6_jjj.uses_vcc, 1
	.set _ZN7rocprim17ROCPRIM_304000_NS6detail25onesweep_iteration_kernelINS1_34wrapped_radix_sort_onesweep_configINS0_14default_configEfN2at4cuda3cub6detail10OpaqueTypeILi8EEEEELb0EPfSC_PSA_SD_mNS0_19identity_decomposerEEEvT1_T2_T3_T4_jPT5_SK_PNS1_23onesweep_lookback_stateET6_jjj.uses_flat_scratch, 0
	.set _ZN7rocprim17ROCPRIM_304000_NS6detail25onesweep_iteration_kernelINS1_34wrapped_radix_sort_onesweep_configINS0_14default_configEfN2at4cuda3cub6detail10OpaqueTypeILi8EEEEELb0EPfSC_PSA_SD_mNS0_19identity_decomposerEEEvT1_T2_T3_T4_jPT5_SK_PNS1_23onesweep_lookback_stateET6_jjj.has_dyn_sized_stack, 0
	.set _ZN7rocprim17ROCPRIM_304000_NS6detail25onesweep_iteration_kernelINS1_34wrapped_radix_sort_onesweep_configINS0_14default_configEfN2at4cuda3cub6detail10OpaqueTypeILi8EEEEELb0EPfSC_PSA_SD_mNS0_19identity_decomposerEEEvT1_T2_T3_T4_jPT5_SK_PNS1_23onesweep_lookback_stateET6_jjj.has_recursion, 0
	.set _ZN7rocprim17ROCPRIM_304000_NS6detail25onesweep_iteration_kernelINS1_34wrapped_radix_sort_onesweep_configINS0_14default_configEfN2at4cuda3cub6detail10OpaqueTypeILi8EEEEELb0EPfSC_PSA_SD_mNS0_19identity_decomposerEEEvT1_T2_T3_T4_jPT5_SK_PNS1_23onesweep_lookback_stateET6_jjj.has_indirect_call, 0
	.section	.AMDGPU.csdata,"",@progbits
; Kernel info:
; codeLenInByte = 20344
; TotalNumSgprs: 79
; NumVgprs: 72
; ScratchSize: 0
; MemoryBound: 0
; FloatMode: 240
; IeeeMode: 1
; LDSByteSize: 26624 bytes/workgroup (compile time only)
; SGPRBlocks: 12
; VGPRBlocks: 21
; NumSGPRsForWavesPerEU: 102
; NumVGPRsForWavesPerEU: 85
; Occupancy: 2
; WaveLimiterHint : 1
; COMPUTE_PGM_RSRC2:SCRATCH_EN: 0
; COMPUTE_PGM_RSRC2:USER_SGPR: 6
; COMPUTE_PGM_RSRC2:TRAP_HANDLER: 0
; COMPUTE_PGM_RSRC2:TGID_X_EN: 1
; COMPUTE_PGM_RSRC2:TGID_Y_EN: 0
; COMPUTE_PGM_RSRC2:TGID_Z_EN: 0
; COMPUTE_PGM_RSRC2:TIDIG_COMP_CNT: 2
	.section	.text._ZN7rocprim17ROCPRIM_304000_NS6detail28radix_sort_block_sort_kernelINS1_36wrapped_radix_sort_block_sort_configINS0_13kernel_configILj256ELj4ELj4294967295EEEdN2at4cuda3cub6detail10OpaqueTypeILi8EEEEELb1EPKdPdPKSB_PSB_NS0_19identity_decomposerEEEvT1_T2_T3_T4_jT5_jj,"axG",@progbits,_ZN7rocprim17ROCPRIM_304000_NS6detail28radix_sort_block_sort_kernelINS1_36wrapped_radix_sort_block_sort_configINS0_13kernel_configILj256ELj4ELj4294967295EEEdN2at4cuda3cub6detail10OpaqueTypeILi8EEEEELb1EPKdPdPKSB_PSB_NS0_19identity_decomposerEEEvT1_T2_T3_T4_jT5_jj,comdat
	.protected	_ZN7rocprim17ROCPRIM_304000_NS6detail28radix_sort_block_sort_kernelINS1_36wrapped_radix_sort_block_sort_configINS0_13kernel_configILj256ELj4ELj4294967295EEEdN2at4cuda3cub6detail10OpaqueTypeILi8EEEEELb1EPKdPdPKSB_PSB_NS0_19identity_decomposerEEEvT1_T2_T3_T4_jT5_jj ; -- Begin function _ZN7rocprim17ROCPRIM_304000_NS6detail28radix_sort_block_sort_kernelINS1_36wrapped_radix_sort_block_sort_configINS0_13kernel_configILj256ELj4ELj4294967295EEEdN2at4cuda3cub6detail10OpaqueTypeILi8EEEEELb1EPKdPdPKSB_PSB_NS0_19identity_decomposerEEEvT1_T2_T3_T4_jT5_jj
	.globl	_ZN7rocprim17ROCPRIM_304000_NS6detail28radix_sort_block_sort_kernelINS1_36wrapped_radix_sort_block_sort_configINS0_13kernel_configILj256ELj4ELj4294967295EEEdN2at4cuda3cub6detail10OpaqueTypeILi8EEEEELb1EPKdPdPKSB_PSB_NS0_19identity_decomposerEEEvT1_T2_T3_T4_jT5_jj
	.p2align	8
	.type	_ZN7rocprim17ROCPRIM_304000_NS6detail28radix_sort_block_sort_kernelINS1_36wrapped_radix_sort_block_sort_configINS0_13kernel_configILj256ELj4ELj4294967295EEEdN2at4cuda3cub6detail10OpaqueTypeILi8EEEEELb1EPKdPdPKSB_PSB_NS0_19identity_decomposerEEEvT1_T2_T3_T4_jT5_jj,@function
_ZN7rocprim17ROCPRIM_304000_NS6detail28radix_sort_block_sort_kernelINS1_36wrapped_radix_sort_block_sort_configINS0_13kernel_configILj256ELj4ELj4294967295EEEdN2at4cuda3cub6detail10OpaqueTypeILi8EEEEELb1EPKdPdPKSB_PSB_NS0_19identity_decomposerEEEvT1_T2_T3_T4_jT5_jj: ; @_ZN7rocprim17ROCPRIM_304000_NS6detail28radix_sort_block_sort_kernelINS1_36wrapped_radix_sort_block_sort_configINS0_13kernel_configILj256ELj4ELj4294967295EEEdN2at4cuda3cub6detail10OpaqueTypeILi8EEEEELb1EPKdPdPKSB_PSB_NS0_19identity_decomposerEEEvT1_T2_T3_T4_jT5_jj
; %bb.0:
	s_load_dword s7, s[4:5], 0x20
	s_load_dwordx8 s[36:43], s[4:5], 0x0
	s_lshl_b32 s0, s6, 10
	s_mov_b32 s1, 0
	v_mbcnt_lo_u32_b32 v3, -1, 0
	s_waitcnt lgkmcnt(0)
	s_lshr_b32 s2, s7, 10
	s_cmp_lg_u32 s6, s2
	s_cselect_b64 s[30:31], -1, 0
	s_lshl_b64 s[28:29], s[0:1], 3
	s_add_u32 s1, s36, s28
	v_mbcnt_hi_u32_b32 v19, -1, v3
	s_addc_u32 s3, s37, s29
	v_lshlrev_b32_e32 v21, 2, v0
	v_lshlrev_b32_e32 v22, 3, v19
	v_and_b32_e32 v23, 0x300, v21
	v_mov_b32_e32 v3, s3
	v_add_co_u32_e32 v4, vcc, s1, v22
	v_addc_co_u32_e32 v3, vcc, 0, v3, vcc
	v_lshlrev_b32_e32 v20, 3, v23
	v_add_co_u32_e32 v17, vcc, v4, v20
	s_cmp_eq_u32 s6, s2
	v_addc_co_u32_e32 v18, vcc, 0, v3, vcc
	s_cbranch_scc1 .LBB140_2
; %bb.1:
	s_add_u32 s1, s40, s28
	s_addc_u32 s2, s41, s29
	v_mov_b32_e32 v11, s2
	v_add_co_u32_e32 v12, vcc, s1, v22
	v_addc_co_u32_e32 v11, vcc, 0, v11, vcc
	v_add_co_u32_e32 v24, vcc, v12, v20
	global_load_dwordx2 v[3:4], v[17:18], off
	global_load_dwordx2 v[5:6], v[17:18], off offset:512
	global_load_dwordx2 v[7:8], v[17:18], off offset:1024
	;; [unrolled: 1-line block ×3, first 2 shown]
	v_addc_co_u32_e32 v25, vcc, 0, v11, vcc
	global_load_dwordx2 v[11:12], v[24:25], off
	global_load_dwordx2 v[13:14], v[24:25], off offset:512
	global_load_dwordx2 v[15:16], v[24:25], off offset:1024
	s_mov_b64 s[8:9], -1
	s_sub_i32 s33, s7, s0
	s_cbranch_execz .LBB140_3
	s_branch .LBB140_16
.LBB140_2:
	s_mov_b64 s[8:9], 0
                                        ; implicit-def: $vgpr3_vgpr4_vgpr5_vgpr6_vgpr7_vgpr8_vgpr9_vgpr10
                                        ; implicit-def: $vgpr11_vgpr12
                                        ; implicit-def: $vgpr15_vgpr16
	s_sub_i32 s33, s7, s0
.LBB140_3:
	s_waitcnt vmcnt(2)
	v_add_u32_e32 v11, v19, v23
	v_mov_b32_e32 v3, -1
	v_cmp_gt_u32_e32 vcc, s33, v11
	v_mov_b32_e32 v4, v3
	v_mov_b32_e32 v5, v3
	;; [unrolled: 1-line block ×7, first 2 shown]
	s_and_saveexec_b64 s[0:1], vcc
	s_cbranch_execz .LBB140_5
; %bb.4:
	global_load_dwordx2 v[23:24], v[17:18], off
	v_mov_b32_e32 v25, v3
	v_mov_b32_e32 v26, v3
	;; [unrolled: 1-line block ×6, first 2 shown]
	s_waitcnt vmcnt(0)
	v_mov_b32_e32 v3, v23
	v_mov_b32_e32 v4, v24
	;; [unrolled: 1-line block ×8, first 2 shown]
.LBB140_5:
	s_or_b64 exec, exec, s[0:1]
	v_add_u32_e32 v12, 64, v11
	v_cmp_gt_u32_e64 s[0:1], s33, v12
	s_and_saveexec_b64 s[2:3], s[0:1]
	s_cbranch_execz .LBB140_7
; %bb.6:
	global_load_dwordx2 v[5:6], v[17:18], off offset:512
.LBB140_7:
	s_or_b64 exec, exec, s[2:3]
	v_add_u32_e32 v12, 0x80, v11
	v_cmp_gt_u32_e64 s[2:3], s33, v12
	s_and_saveexec_b64 s[6:7], s[2:3]
	s_cbranch_execz .LBB140_9
; %bb.8:
	global_load_dwordx2 v[7:8], v[17:18], off offset:1024
.LBB140_9:
	;; [unrolled: 8-line block ×3, first 2 shown]
	s_or_b64 exec, exec, s[6:7]
	s_add_u32 s6, s40, s28
	s_addc_u32 s7, s41, s29
	v_mov_b32_e32 v11, s7
	v_add_co_u32_e64 v12, s[6:7], s6, v22
	v_addc_co_u32_e64 v11, s[6:7], 0, v11, s[6:7]
	v_add_co_u32_e64 v17, s[6:7], v12, v20
	v_addc_co_u32_e64 v18, s[6:7], 0, v11, s[6:7]
                                        ; implicit-def: $vgpr11_vgpr12
	s_and_saveexec_b64 s[6:7], vcc
	s_cbranch_execnz .LBB140_55
; %bb.12:
	s_or_b64 exec, exec, s[6:7]
	s_and_saveexec_b64 s[6:7], s[0:1]
	s_cbranch_execnz .LBB140_56
.LBB140_13:
	s_or_b64 exec, exec, s[6:7]
                                        ; implicit-def: $vgpr15_vgpr16
	s_and_saveexec_b64 s[0:1], s[2:3]
	s_cbranch_execz .LBB140_15
.LBB140_14:
	global_load_dwordx2 v[15:16], v[17:18], off offset:1024
.LBB140_15:
	s_or_b64 exec, exec, s[0:1]
.LBB140_16:
	s_and_saveexec_b64 s[0:1], s[8:9]
	s_cbranch_execz .LBB140_18
; %bb.17:
	s_add_u32 s2, s40, s28
	s_addc_u32 s3, s41, s29
	v_mov_b32_e32 v17, s3
	v_add_co_u32_e32 v18, vcc, s2, v22
	v_addc_co_u32_e32 v22, vcc, 0, v17, vcc
	v_add_co_u32_e32 v17, vcc, v18, v20
	v_addc_co_u32_e32 v18, vcc, 0, v22, vcc
	global_load_dwordx2 v[17:18], v[17:18], off offset:1536
.LBB140_18:
	s_or_b64 exec, exec, s[0:1]
	s_load_dwordx2 s[34:35], s[4:5], 0x28
	s_load_dword s0, s[4:5], 0x3c
	s_waitcnt vmcnt(6)
	v_cmp_gt_i64_e32 vcc, 0, v[3:4]
	v_bfrev_b32_e32 v41, -2
	v_cndmask_b32_e64 v22, v41, 0, vcc
	s_waitcnt vmcnt(0)
	v_cmp_gt_i64_e32 vcc, 0, v[5:6]
	s_waitcnt lgkmcnt(0)
	s_lshr_b32 s1, s0, 16
	s_and_b32 s0, s0, 0xffff
	v_mad_u32_u24 v1, v2, s1, v1
	v_mad_u64_u32 v[1:2], s[0:1], v1, s0, v[0:1]
	v_ashrrev_i32_e32 v23, 31, v4
	v_xor_b32_e32 v4, v22, v4
	v_lshrrev_b32_e32 v1, 4, v1
	v_cndmask_b32_e64 v22, v41, 0, vcc
	v_cmp_gt_i64_e32 vcc, 0, v[7:8]
	v_and_b32_e32 v43, 0xffffffc, v1
	v_and_b32_e32 v1, 15, v19
	v_not_b32_e32 v23, v23
	v_cmp_eq_u32_e64 s[0:1], 0, v1
	v_cmp_lt_u32_e64 s[2:3], 1, v1
	v_cmp_lt_u32_e64 s[4:5], 3, v1
	;; [unrolled: 1-line block ×3, first 2 shown]
	v_and_b32_e32 v1, 16, v19
	v_xor_b32_e32 v3, v23, v3
	v_ashrrev_i32_e32 v23, 31, v6
	v_xor_b32_e32 v6, v22, v6
	v_cndmask_b32_e64 v22, v41, 0, vcc
	v_cmp_gt_i64_e32 vcc, 0, v[9:10]
	v_cmp_eq_u32_e64 s[8:9], 0, v1
	v_or_b32_e32 v1, 63, v0
	v_not_b32_e32 v23, v23
	v_cmp_eq_u32_e64 s[12:13], v0, v1
	v_subrev_co_u32_e64 v1, s[18:19], 1, v19
	v_and_b32_e32 v2, 64, v19
	v_xor_b32_e32 v5, v23, v5
	v_ashrrev_i32_e32 v23, 31, v8
	v_xor_b32_e32 v8, v22, v8
	v_cndmask_b32_e64 v22, v41, 0, vcc
	v_cmp_lt_i32_e32 vcc, v1, v2
	s_mov_b32 s36, 0
	v_not_b32_e32 v23, v23
	v_cndmask_b32_e32 v1, v1, v19, vcc
	v_xor_b32_e32 v7, v23, v7
	v_ashrrev_i32_e32 v23, 31, v10
	v_lshlrev_b32_e32 v44, 2, v1
	v_lshrrev_b32_e32 v1, 4, v0
	s_mov_b32 s26, s36
	v_not_b32_e32 v23, v23
	v_xor_b32_e32 v10, v22, v10
	v_lshlrev_b32_e32 v42, 2, v21
	v_cmp_lt_u32_e64 s[10:11], 31, v19
	v_and_b32_e32 v45, 12, v1
	v_mul_i32_i24_e32 v1, -12, v0
	v_and_b32_e32 v2, 3, v19
	v_lshl_add_u32 v47, v19, 3, v20
	s_mov_b32 s37, s36
	s_mov_b32 s27, s36
	v_mov_b32_e32 v19, s36
	v_mov_b32_e32 v21, s26
	s_add_i32 s40, s35, s34
	v_xor_b32_e32 v9, v23, v9
	v_cmp_gt_u32_e64 s[14:15], 4, v0
	v_cmp_lt_u32_e64 s[16:17], 63, v0
	v_cmp_eq_u32_e64 s[20:21], 0, v0
	v_cmp_eq_u32_e64 s[22:23], 0, v2
	v_cmp_lt_u32_e64 s[24:25], 1, v2
	v_add_u32_e32 v46, -4, v45
	v_mov_b32_e32 v20, s37
	v_mov_b32_e32 v22, s27
	s_brev_b32 s37, 1
	v_mov_b32_e32 v31, 0
	v_add_u32_e32 v48, v42, v1
	s_branch .LBB140_20
.LBB140_19:                             ;   in Loop: Header=BB140_20 Depth=1
	s_andn2_b64 vcc, exec, s[26:27]
	s_cbranch_vccz .LBB140_36
.LBB140_20:                             ; =>This Inner Loop Header: Depth=1
	v_mov_b32_e32 v40, v4
	v_mov_b32_e32 v39, v3
	v_cmp_ne_u64_e32 vcc, s[36:37], v[39:40]
	s_min_u32 s26, s35, 8
	v_cndmask_b32_e32 v2, v41, v40, vcc
	v_cndmask_b32_e32 v1, -1, v39, vcc
	s_lshl_b32 s26, -1, s26
	v_lshrrev_b64 v[1:2], s34, v[1:2]
	s_not_b32 s41, s26
	v_and_b32_e32 v3, s41, v1
	v_and_b32_e32 v1, 1, v3
	v_cmp_ne_u32_e32 vcc, 0, v1
	v_add_co_u32_e64 v1, s[26:27], -1, v1
	v_addc_co_u32_e64 v2, s[26:27], 0, -1, s[26:27]
	v_lshlrev_b32_e32 v32, 30, v3
	v_cmp_gt_i64_e64 s[26:27], 0, v[31:32]
	v_not_b32_e32 v4, v32
	v_mov_b32_e32 v38, v6
	v_ashrrev_i32_e32 v4, 31, v4
	v_xor_b32_e32 v1, vcc_lo, v1
	v_mov_b32_e32 v37, v5
	v_xor_b32_e32 v5, s27, v4
	v_and_b32_e32 v1, exec_lo, v1
	v_xor_b32_e32 v4, s26, v4
	v_lshlrev_b32_e32 v32, 29, v3
	v_xor_b32_e32 v2, vcc_hi, v2
	v_and_b32_e32 v1, v1, v4
	v_cmp_gt_i64_e32 vcc, 0, v[31:32]
	v_not_b32_e32 v4, v32
	v_and_b32_e32 v2, exec_hi, v2
	v_ashrrev_i32_e32 v4, 31, v4
	v_and_b32_e32 v2, v2, v5
	v_xor_b32_e32 v5, vcc_hi, v4
	v_xor_b32_e32 v4, vcc_lo, v4
	v_lshlrev_b32_e32 v32, 28, v3
	v_and_b32_e32 v1, v1, v4
	v_cmp_gt_i64_e32 vcc, 0, v[31:32]
	v_not_b32_e32 v4, v32
	v_ashrrev_i32_e32 v4, 31, v4
	v_and_b32_e32 v2, v2, v5
	v_xor_b32_e32 v5, vcc_hi, v4
	v_xor_b32_e32 v4, vcc_lo, v4
	v_lshlrev_b32_e32 v32, 27, v3
	v_and_b32_e32 v1, v1, v4
	v_cmp_gt_i64_e32 vcc, 0, v[31:32]
	v_not_b32_e32 v4, v32
	;; [unrolled: 8-line block ×5, first 2 shown]
	v_ashrrev_i32_e32 v4, 31, v4
	v_and_b32_e32 v2, v2, v5
	v_xor_b32_e32 v5, vcc_hi, v4
	v_xor_b32_e32 v4, vcc_lo, v4
	v_and_b32_e32 v1, v1, v4
	v_and_b32_e32 v2, v2, v5
	v_mbcnt_lo_u32_b32 v4, v1, 0
	v_mbcnt_hi_u32_b32 v5, v2, v4
	v_cmp_ne_u64_e32 vcc, 0, v[1:2]
	v_mov_b32_e32 v34, v10
	v_mov_b32_e32 v36, v8
	;; [unrolled: 1-line block ×6, first 2 shown]
	v_lshlrev_b32_e32 v3, 4, v3
	v_cmp_eq_u32_e64 s[26:27], 0, v5
	v_mov_b32_e32 v33, v9
	v_mov_b32_e32 v35, v7
	;; [unrolled: 1-line block ×6, first 2 shown]
	s_and_b64 s[44:45], vcc, s[26:27]
	v_add_u32_e32 v6, v43, v3
	ds_write2_b64 v42, v[19:20], v[21:22] offset0:2 offset1:3
	s_waitcnt lgkmcnt(0)
	s_barrier
	; wave barrier
	s_and_saveexec_b64 s[26:27], s[44:45]
; %bb.21:                               ;   in Loop: Header=BB140_20 Depth=1
	v_bcnt_u32_b32 v1, v1, 0
	v_bcnt_u32_b32 v1, v2, v1
	ds_write_b32 v6, v1 offset:16
; %bb.22:                               ;   in Loop: Header=BB140_20 Depth=1
	s_or_b64 exec, exec, s[26:27]
	v_cmp_ne_u64_e32 vcc, s[36:37], v[37:38]
	v_cndmask_b32_e32 v2, v41, v38, vcc
	v_cndmask_b32_e32 v1, -1, v37, vcc
	v_lshrrev_b64 v[1:2], s34, v[1:2]
	; wave barrier
	v_and_b32_e32 v1, s41, v1
	v_lshlrev_b32_e32 v2, 4, v1
	v_add_u32_e32 v8, v43, v2
	v_and_b32_e32 v2, 1, v1
	v_add_co_u32_e32 v3, vcc, -1, v2
	v_addc_co_u32_e64 v4, s[26:27], 0, -1, vcc
	v_cmp_ne_u32_e32 vcc, 0, v2
	v_lshlrev_b32_e32 v32, 30, v1
	v_xor_b32_e32 v2, vcc_hi, v4
	v_xor_b32_e32 v3, vcc_lo, v3
	v_cmp_gt_i64_e32 vcc, 0, v[31:32]
	v_not_b32_e32 v4, v32
	v_ashrrev_i32_e32 v4, 31, v4
	v_and_b32_e32 v3, exec_lo, v3
	v_xor_b32_e32 v9, vcc_hi, v4
	v_xor_b32_e32 v4, vcc_lo, v4
	v_lshlrev_b32_e32 v32, 29, v1
	v_and_b32_e32 v3, v3, v4
	v_cmp_gt_i64_e32 vcc, 0, v[31:32]
	v_not_b32_e32 v4, v32
	v_and_b32_e32 v2, exec_hi, v2
	v_ashrrev_i32_e32 v4, 31, v4
	v_and_b32_e32 v2, v2, v9
	v_xor_b32_e32 v9, vcc_hi, v4
	v_xor_b32_e32 v4, vcc_lo, v4
	v_lshlrev_b32_e32 v32, 28, v1
	v_and_b32_e32 v3, v3, v4
	v_cmp_gt_i64_e32 vcc, 0, v[31:32]
	v_not_b32_e32 v4, v32
	v_ashrrev_i32_e32 v4, 31, v4
	v_and_b32_e32 v2, v2, v9
	v_xor_b32_e32 v9, vcc_hi, v4
	v_xor_b32_e32 v4, vcc_lo, v4
	v_lshlrev_b32_e32 v32, 27, v1
	v_and_b32_e32 v3, v3, v4
	v_cmp_gt_i64_e32 vcc, 0, v[31:32]
	v_not_b32_e32 v4, v32
	;; [unrolled: 8-line block ×4, first 2 shown]
	v_ashrrev_i32_e32 v4, 31, v4
	v_lshlrev_b32_e32 v32, 24, v1
	v_and_b32_e32 v2, v2, v9
	v_xor_b32_e32 v9, vcc_hi, v4
	v_xor_b32_e32 v4, vcc_lo, v4
	v_cmp_gt_i64_e32 vcc, 0, v[31:32]
	v_not_b32_e32 v1, v32
	v_ashrrev_i32_e32 v1, 31, v1
	v_and_b32_e32 v3, v3, v4
	v_xor_b32_e32 v4, vcc_hi, v1
	v_xor_b32_e32 v1, vcc_lo, v1
	ds_read_b32 v7, v8 offset:16
	v_and_b32_e32 v2, v2, v9
	v_and_b32_e32 v1, v3, v1
	;; [unrolled: 1-line block ×3, first 2 shown]
	v_mbcnt_lo_u32_b32 v3, v1, 0
	v_mbcnt_hi_u32_b32 v9, v2, v3
	v_cmp_ne_u64_e32 vcc, 0, v[1:2]
	v_cmp_eq_u32_e64 s[26:27], 0, v9
	s_and_b64 s[44:45], vcc, s[26:27]
	; wave barrier
	s_and_saveexec_b64 s[26:27], s[44:45]
	s_cbranch_execz .LBB140_24
; %bb.23:                               ;   in Loop: Header=BB140_20 Depth=1
	v_bcnt_u32_b32 v1, v1, 0
	v_bcnt_u32_b32 v1, v2, v1
	s_waitcnt lgkmcnt(0)
	v_add_u32_e32 v1, v7, v1
	ds_write_b32 v8, v1 offset:16
.LBB140_24:                             ;   in Loop: Header=BB140_20 Depth=1
	s_or_b64 exec, exec, s[26:27]
	v_cmp_ne_u64_e32 vcc, s[36:37], v[35:36]
	v_cndmask_b32_e32 v2, v41, v36, vcc
	v_cndmask_b32_e32 v1, -1, v35, vcc
	v_lshrrev_b64 v[1:2], s34, v[1:2]
	; wave barrier
	v_and_b32_e32 v1, s41, v1
	v_lshlrev_b32_e32 v2, 4, v1
	v_add_u32_e32 v11, v43, v2
	v_and_b32_e32 v2, 1, v1
	v_add_co_u32_e32 v3, vcc, -1, v2
	v_addc_co_u32_e64 v4, s[26:27], 0, -1, vcc
	v_cmp_ne_u32_e32 vcc, 0, v2
	v_lshlrev_b32_e32 v32, 30, v1
	v_xor_b32_e32 v2, vcc_hi, v4
	v_xor_b32_e32 v3, vcc_lo, v3
	v_cmp_gt_i64_e32 vcc, 0, v[31:32]
	v_not_b32_e32 v4, v32
	v_ashrrev_i32_e32 v4, 31, v4
	v_and_b32_e32 v3, exec_lo, v3
	v_xor_b32_e32 v12, vcc_hi, v4
	v_xor_b32_e32 v4, vcc_lo, v4
	v_lshlrev_b32_e32 v32, 29, v1
	v_and_b32_e32 v3, v3, v4
	v_cmp_gt_i64_e32 vcc, 0, v[31:32]
	v_not_b32_e32 v4, v32
	v_and_b32_e32 v2, exec_hi, v2
	v_ashrrev_i32_e32 v4, 31, v4
	v_and_b32_e32 v2, v2, v12
	v_xor_b32_e32 v12, vcc_hi, v4
	v_xor_b32_e32 v4, vcc_lo, v4
	v_lshlrev_b32_e32 v32, 28, v1
	v_and_b32_e32 v3, v3, v4
	v_cmp_gt_i64_e32 vcc, 0, v[31:32]
	v_not_b32_e32 v4, v32
	v_ashrrev_i32_e32 v4, 31, v4
	v_and_b32_e32 v2, v2, v12
	v_xor_b32_e32 v12, vcc_hi, v4
	v_xor_b32_e32 v4, vcc_lo, v4
	v_lshlrev_b32_e32 v32, 27, v1
	v_and_b32_e32 v3, v3, v4
	v_cmp_gt_i64_e32 vcc, 0, v[31:32]
	v_not_b32_e32 v4, v32
	;; [unrolled: 8-line block ×4, first 2 shown]
	v_ashrrev_i32_e32 v4, 31, v4
	v_lshlrev_b32_e32 v32, 24, v1
	v_and_b32_e32 v2, v2, v12
	v_xor_b32_e32 v12, vcc_hi, v4
	v_xor_b32_e32 v4, vcc_lo, v4
	v_cmp_gt_i64_e32 vcc, 0, v[31:32]
	v_not_b32_e32 v1, v32
	v_ashrrev_i32_e32 v1, 31, v1
	v_and_b32_e32 v3, v3, v4
	v_xor_b32_e32 v4, vcc_hi, v1
	v_xor_b32_e32 v1, vcc_lo, v1
	ds_read_b32 v10, v11 offset:16
	v_and_b32_e32 v2, v2, v12
	v_and_b32_e32 v1, v3, v1
	;; [unrolled: 1-line block ×3, first 2 shown]
	v_mbcnt_lo_u32_b32 v3, v1, 0
	v_mbcnt_hi_u32_b32 v12, v2, v3
	v_cmp_ne_u64_e32 vcc, 0, v[1:2]
	v_cmp_eq_u32_e64 s[26:27], 0, v12
	s_and_b64 s[44:45], vcc, s[26:27]
	; wave barrier
	s_and_saveexec_b64 s[26:27], s[44:45]
	s_cbranch_execz .LBB140_26
; %bb.25:                               ;   in Loop: Header=BB140_20 Depth=1
	v_bcnt_u32_b32 v1, v1, 0
	v_bcnt_u32_b32 v1, v2, v1
	s_waitcnt lgkmcnt(0)
	v_add_u32_e32 v1, v10, v1
	ds_write_b32 v11, v1 offset:16
.LBB140_26:                             ;   in Loop: Header=BB140_20 Depth=1
	s_or_b64 exec, exec, s[26:27]
	v_cmp_ne_u64_e32 vcc, s[36:37], v[33:34]
	v_cndmask_b32_e32 v2, v41, v34, vcc
	v_cndmask_b32_e32 v1, -1, v33, vcc
	v_lshrrev_b64 v[1:2], s34, v[1:2]
	; wave barrier
	v_and_b32_e32 v1, s41, v1
	v_lshlrev_b32_e32 v2, 4, v1
	v_add_u32_e32 v14, v43, v2
	v_and_b32_e32 v2, 1, v1
	v_add_co_u32_e32 v3, vcc, -1, v2
	v_addc_co_u32_e64 v4, s[26:27], 0, -1, vcc
	v_cmp_ne_u32_e32 vcc, 0, v2
	v_lshlrev_b32_e32 v32, 30, v1
	v_xor_b32_e32 v2, vcc_hi, v4
	v_xor_b32_e32 v3, vcc_lo, v3
	v_cmp_gt_i64_e32 vcc, 0, v[31:32]
	v_not_b32_e32 v4, v32
	v_ashrrev_i32_e32 v4, 31, v4
	v_and_b32_e32 v3, exec_lo, v3
	v_xor_b32_e32 v15, vcc_hi, v4
	v_xor_b32_e32 v4, vcc_lo, v4
	v_lshlrev_b32_e32 v32, 29, v1
	v_and_b32_e32 v3, v3, v4
	v_cmp_gt_i64_e32 vcc, 0, v[31:32]
	v_not_b32_e32 v4, v32
	v_and_b32_e32 v2, exec_hi, v2
	v_ashrrev_i32_e32 v4, 31, v4
	v_and_b32_e32 v2, v2, v15
	v_xor_b32_e32 v15, vcc_hi, v4
	v_xor_b32_e32 v4, vcc_lo, v4
	v_lshlrev_b32_e32 v32, 28, v1
	v_and_b32_e32 v3, v3, v4
	v_cmp_gt_i64_e32 vcc, 0, v[31:32]
	v_not_b32_e32 v4, v32
	v_ashrrev_i32_e32 v4, 31, v4
	v_and_b32_e32 v2, v2, v15
	v_xor_b32_e32 v15, vcc_hi, v4
	v_xor_b32_e32 v4, vcc_lo, v4
	v_lshlrev_b32_e32 v32, 27, v1
	v_and_b32_e32 v3, v3, v4
	v_cmp_gt_i64_e32 vcc, 0, v[31:32]
	v_not_b32_e32 v4, v32
	;; [unrolled: 8-line block ×4, first 2 shown]
	v_ashrrev_i32_e32 v4, 31, v4
	v_lshlrev_b32_e32 v32, 24, v1
	v_and_b32_e32 v2, v2, v15
	v_xor_b32_e32 v15, vcc_hi, v4
	v_xor_b32_e32 v4, vcc_lo, v4
	v_cmp_gt_i64_e32 vcc, 0, v[31:32]
	v_not_b32_e32 v1, v32
	v_ashrrev_i32_e32 v1, 31, v1
	v_and_b32_e32 v3, v3, v4
	v_xor_b32_e32 v4, vcc_hi, v1
	v_xor_b32_e32 v1, vcc_lo, v1
	ds_read_b32 v13, v14 offset:16
	v_and_b32_e32 v2, v2, v15
	v_and_b32_e32 v1, v3, v1
	;; [unrolled: 1-line block ×3, first 2 shown]
	v_mbcnt_lo_u32_b32 v3, v1, 0
	v_mbcnt_hi_u32_b32 v15, v2, v3
	v_cmp_ne_u64_e32 vcc, 0, v[1:2]
	v_cmp_eq_u32_e64 s[26:27], 0, v15
	s_and_b64 s[44:45], vcc, s[26:27]
	; wave barrier
	s_and_saveexec_b64 s[26:27], s[44:45]
	s_cbranch_execz .LBB140_28
; %bb.27:                               ;   in Loop: Header=BB140_20 Depth=1
	v_bcnt_u32_b32 v1, v1, 0
	v_bcnt_u32_b32 v1, v2, v1
	s_waitcnt lgkmcnt(0)
	v_add_u32_e32 v1, v13, v1
	ds_write_b32 v14, v1 offset:16
.LBB140_28:                             ;   in Loop: Header=BB140_20 Depth=1
	s_or_b64 exec, exec, s[26:27]
	; wave barrier
	s_waitcnt lgkmcnt(0)
	s_barrier
	ds_read2_b64 v[1:4], v42 offset0:2 offset1:3
	s_waitcnt lgkmcnt(0)
	v_add_u32_e32 v16, v2, v1
	v_add3_u32 v4, v16, v3, v4
	s_nop 1
	v_mov_b32_dpp v16, v4 row_shr:1 row_mask:0xf bank_mask:0xf
	v_cndmask_b32_e64 v16, v16, 0, s[0:1]
	v_add_u32_e32 v4, v16, v4
	s_nop 1
	v_mov_b32_dpp v16, v4 row_shr:2 row_mask:0xf bank_mask:0xf
	v_cndmask_b32_e64 v16, 0, v16, s[2:3]
	v_add_u32_e32 v4, v4, v16
	;; [unrolled: 4-line block ×4, first 2 shown]
	s_nop 1
	v_mov_b32_dpp v16, v4 row_bcast:15 row_mask:0xf bank_mask:0xf
	v_cndmask_b32_e64 v16, v16, 0, s[8:9]
	v_add_u32_e32 v4, v4, v16
	s_nop 1
	v_mov_b32_dpp v16, v4 row_bcast:31 row_mask:0xf bank_mask:0xf
	v_cndmask_b32_e64 v16, 0, v16, s[10:11]
	v_add_u32_e32 v4, v4, v16
	s_and_saveexec_b64 s[26:27], s[12:13]
; %bb.29:                               ;   in Loop: Header=BB140_20 Depth=1
	ds_write_b32 v45, v4
; %bb.30:                               ;   in Loop: Header=BB140_20 Depth=1
	s_or_b64 exec, exec, s[26:27]
	s_waitcnt lgkmcnt(0)
	s_barrier
	s_and_saveexec_b64 s[26:27], s[14:15]
	s_cbranch_execz .LBB140_32
; %bb.31:                               ;   in Loop: Header=BB140_20 Depth=1
	ds_read_b32 v16, v48
	s_waitcnt lgkmcnt(0)
	s_nop 0
	v_mov_b32_dpp v17, v16 row_shr:1 row_mask:0xf bank_mask:0xf
	v_cndmask_b32_e64 v17, v17, 0, s[22:23]
	v_add_u32_e32 v16, v17, v16
	s_nop 1
	v_mov_b32_dpp v17, v16 row_shr:2 row_mask:0xf bank_mask:0xf
	v_cndmask_b32_e64 v17, 0, v17, s[24:25]
	v_add_u32_e32 v16, v16, v17
	ds_write_b32 v48, v16
.LBB140_32:                             ;   in Loop: Header=BB140_20 Depth=1
	s_or_b64 exec, exec, s[26:27]
	v_mov_b32_e32 v16, 0
	s_waitcnt lgkmcnt(0)
	s_barrier
	s_and_saveexec_b64 s[26:27], s[16:17]
; %bb.33:                               ;   in Loop: Header=BB140_20 Depth=1
	ds_read_b32 v16, v46
; %bb.34:                               ;   in Loop: Header=BB140_20 Depth=1
	s_or_b64 exec, exec, s[26:27]
	s_waitcnt lgkmcnt(0)
	v_add_u32_e32 v4, v16, v4
	ds_bpermute_b32 v4, v44, v4
	v_lshlrev_b32_e32 v5, 3, v5
	s_add_i32 s34, s34, 8
	s_cmp_ge_u32 s34, s40
	s_mov_b64 s[26:27], -1
	s_waitcnt lgkmcnt(0)
	v_cndmask_b32_e64 v4, v4, v16, s[18:19]
	v_cndmask_b32_e64 v16, v4, 0, s[20:21]
	v_add_u32_e32 v17, v16, v1
	v_add_u32_e32 v1, v17, v2
	;; [unrolled: 1-line block ×3, first 2 shown]
	ds_write2_b64 v42, v[16:17], v[1:2] offset0:2 offset1:3
	s_waitcnt lgkmcnt(0)
	s_barrier
	ds_read_b32 v1, v6 offset:16
	ds_read_b32 v2, v8 offset:16
	;; [unrolled: 1-line block ×4, first 2 shown]
	v_lshlrev_b32_e32 v6, 3, v7
	s_waitcnt lgkmcnt(3)
	v_lshl_add_u32 v1, v1, 3, v5
	v_lshlrev_b32_e32 v5, 3, v9
	s_waitcnt lgkmcnt(2)
	v_lshlrev_b32_e32 v2, 3, v2
	v_add3_u32 v2, v5, v6, v2
	v_lshlrev_b32_e32 v5, 3, v12
	v_lshlrev_b32_e32 v6, 3, v10
	s_waitcnt lgkmcnt(1)
	v_lshlrev_b32_e32 v3, 3, v3
	v_add3_u32 v32, v5, v6, v3
	v_lshlrev_b32_e32 v3, 3, v15
	v_lshlrev_b32_e32 v5, 3, v13
	s_waitcnt lgkmcnt(0)
	v_lshlrev_b32_e32 v4, 3, v4
	v_add3_u32 v49, v3, v5, v4
                                        ; implicit-def: $vgpr9_vgpr10
                                        ; implicit-def: $vgpr5_vgpr6
                                        ; implicit-def: $vgpr11_vgpr12
                                        ; implicit-def: $vgpr15_vgpr16
	s_cbranch_scc1 .LBB140_19
; %bb.35:                               ;   in Loop: Header=BB140_20 Depth=1
	s_barrier
	ds_write_b64 v1, v[39:40]
	ds_write_b64 v2, v[37:38]
	;; [unrolled: 1-line block ×4, first 2 shown]
	s_waitcnt lgkmcnt(0)
	s_barrier
	ds_read2st64_b64 v[3:6], v47 offset1:1
	ds_read2st64_b64 v[7:10], v47 offset0:2 offset1:3
	s_waitcnt lgkmcnt(0)
	s_barrier
	ds_write_b64 v1, v[29:30]
	ds_write_b64 v2, v[27:28]
	;; [unrolled: 1-line block ×4, first 2 shown]
	s_waitcnt lgkmcnt(0)
	s_barrier
	ds_read2st64_b64 v[11:14], v47 offset1:1
	ds_read2st64_b64 v[15:18], v47 offset0:2 offset1:3
	s_add_i32 s35, s35, -8
	s_mov_b64 s[26:27], 0
	s_waitcnt lgkmcnt(0)
	s_barrier
	s_branch .LBB140_19
.LBB140_36:
	v_lshlrev_b32_e32 v19, 3, v0
	s_barrier
	ds_write_b64 v1, v[39:40]
	ds_write_b64 v2, v[37:38]
	;; [unrolled: 1-line block ×4, first 2 shown]
	s_waitcnt lgkmcnt(0)
	s_barrier
	ds_read2st64_b64 v[9:12], v19 offset1:4
	ds_read2st64_b64 v[33:36], v19 offset0:8 offset1:12
	v_bfrev_b32_e32 v13, -2
	s_waitcnt lgkmcnt(0)
	s_barrier
	v_cmp_gt_i64_e32 vcc, 0, v[9:10]
	v_ashrrev_i32_e32 v15, 31, v10
	v_cndmask_b32_e64 v14, v13, 0, vcc
	v_cmp_gt_i64_e32 vcc, 0, v[11:12]
	v_not_b32_e32 v15, v15
	v_xor_b32_e32 v18, v14, v10
	v_ashrrev_i32_e32 v10, 31, v12
	v_xor_b32_e32 v17, v15, v9
	v_cndmask_b32_e64 v9, v13, 0, vcc
	v_not_b32_e32 v10, v10
	v_cmp_gt_i64_e32 vcc, 0, v[33:34]
	v_xor_b32_e32 v15, v10, v11
	v_ashrrev_i32_e32 v10, 31, v34
	v_xor_b32_e32 v16, v9, v12
	v_cndmask_b32_e64 v9, v13, 0, vcc
	v_not_b32_e32 v10, v10
	v_cmp_gt_i64_e32 vcc, 0, v[35:36]
	ds_write_b64 v1, v[29:30]
	ds_write_b64 v2, v[27:28]
	;; [unrolled: 1-line block ×4, first 2 shown]
	s_waitcnt lgkmcnt(0)
	s_barrier
	ds_read2st64_b64 v[5:8], v19 offset1:4
	ds_read2st64_b64 v[1:4], v19 offset0:8 offset1:12
	v_xor_b32_e32 v11, v10, v33
	v_ashrrev_i32_e32 v10, 31, v36
	s_add_u32 s0, s38, s28
	v_xor_b32_e32 v12, v9, v34
	v_cndmask_b32_e64 v9, v13, 0, vcc
	v_not_b32_e32 v13, v10
	s_addc_u32 s1, s39, s29
	v_xor_b32_e32 v10, v9, v36
	v_xor_b32_e32 v9, v13, v35
	v_mov_b32_e32 v14, s1
	v_add_co_u32_e32 v13, vcc, s0, v19
	v_addc_co_u32_e32 v14, vcc, 0, v14, vcc
	s_mov_b64 s[6:7], 0
	s_andn2_b64 vcc, exec, s[30:31]
	s_mov_b64 s[0:1], -1
	s_cbranch_vccz .LBB140_40
; %bb.37:
	s_andn2_b64 vcc, exec, s[0:1]
	s_cbranch_vccz .LBB140_41
.LBB140_38:
	s_and_saveexec_b64 s[0:1], s[6:7]
	s_cbranch_execnz .LBB140_54
.LBB140_39:
	s_endpgm
.LBB140_40:
	v_add_co_u32_e32 v20, vcc, 0x1000, v13
	s_add_u32 s0, s42, s28
	v_addc_co_u32_e32 v21, vcc, 0, v14, vcc
	s_addc_u32 s1, s43, s29
	global_store_dwordx2 v[13:14], v[17:18], off
	global_store_dwordx2 v[13:14], v[15:16], off offset:2048
	global_store_dwordx2 v[20:21], v[11:12], off
	global_store_dwordx2 v[20:21], v[9:10], off offset:2048
	v_mov_b32_e32 v20, s1
	v_add_co_u32_e32 v21, vcc, s0, v19
	v_addc_co_u32_e32 v22, vcc, 0, v20, vcc
	v_add_co_u32_e32 v20, vcc, 0x1000, v21
	s_waitcnt lgkmcnt(1)
	global_store_dwordx2 v19, v[5:6], s[0:1]
	global_store_dwordx2 v19, v[7:8], s[0:1] offset:2048
	v_addc_co_u32_e32 v21, vcc, 0, v22, vcc
	s_mov_b64 s[6:7], -1
	s_waitcnt lgkmcnt(0)
	global_store_dwordx2 v[20:21], v[1:2], off
	s_cbranch_execnz .LBB140_38
.LBB140_41:
	v_cmp_gt_u32_e64 s[0:1], s33, v0
	s_and_saveexec_b64 s[2:3], s[0:1]
	s_cbranch_execz .LBB140_43
; %bb.42:
	global_store_dwordx2 v[13:14], v[17:18], off
.LBB140_43:
	s_or_b64 exec, exec, s[2:3]
	v_or_b32_e32 v17, 0x100, v0
	v_cmp_gt_u32_e64 s[2:3], s33, v17
	s_and_saveexec_b64 s[4:5], s[2:3]
	s_cbranch_execz .LBB140_45
; %bb.44:
	global_store_dwordx2 v[13:14], v[15:16], off offset:2048
.LBB140_45:
	s_or_b64 exec, exec, s[4:5]
	v_or_b32_e32 v15, 0x200, v0
	v_cmp_gt_u32_e64 s[4:5], s33, v15
	s_and_saveexec_b64 s[6:7], s[4:5]
	s_cbranch_execz .LBB140_47
; %bb.46:
	v_add_co_u32_e32 v15, vcc, 0x1000, v13
	v_addc_co_u32_e32 v16, vcc, 0, v14, vcc
	global_store_dwordx2 v[15:16], v[11:12], off
.LBB140_47:
	s_or_b64 exec, exec, s[6:7]
	v_or_b32_e32 v0, 0x300, v0
	v_cmp_gt_u32_e64 s[6:7], s33, v0
	s_and_saveexec_b64 s[8:9], s[6:7]
	s_cbranch_execz .LBB140_49
; %bb.48:
	v_add_co_u32_e32 v11, vcc, 0x1000, v13
	v_addc_co_u32_e32 v12, vcc, 0, v14, vcc
	global_store_dwordx2 v[11:12], v[9:10], off offset:2048
.LBB140_49:
	s_or_b64 exec, exec, s[8:9]
	s_add_u32 s8, s42, s28
	s_addc_u32 s9, s43, s29
	v_mov_b32_e32 v0, s9
	v_add_co_u32_e32 v9, vcc, s8, v19
	v_addc_co_u32_e32 v10, vcc, 0, v0, vcc
	s_and_saveexec_b64 s[8:9], s[0:1]
	s_cbranch_execnz .LBB140_57
; %bb.50:
	s_or_b64 exec, exec, s[8:9]
	s_and_saveexec_b64 s[0:1], s[2:3]
	s_cbranch_execnz .LBB140_58
.LBB140_51:
	s_or_b64 exec, exec, s[0:1]
	s_and_saveexec_b64 s[0:1], s[4:5]
	s_cbranch_execz .LBB140_53
.LBB140_52:
	s_waitcnt lgkmcnt(1)
	v_add_co_u32_e32 v5, vcc, 0x1000, v9
	v_addc_co_u32_e32 v6, vcc, 0, v10, vcc
	s_waitcnt lgkmcnt(0)
	global_store_dwordx2 v[5:6], v[1:2], off
.LBB140_53:
	s_or_b64 exec, exec, s[0:1]
	s_and_saveexec_b64 s[0:1], s[6:7]
	s_cbranch_execz .LBB140_39
.LBB140_54:
	s_add_u32 s0, s42, s28
	s_addc_u32 s1, s43, s29
	v_mov_b32_e32 v0, s1
	s_waitcnt lgkmcnt(0)
	v_add_co_u32_e32 v1, vcc, s0, v19
	v_addc_co_u32_e32 v2, vcc, 0, v0, vcc
	v_add_co_u32_e32 v0, vcc, 0x1000, v1
	v_addc_co_u32_e32 v1, vcc, 0, v2, vcc
	global_store_dwordx2 v[0:1], v[3:4], off offset:2048
	s_endpgm
.LBB140_55:
	global_load_dwordx2 v[11:12], v[17:18], off
	s_or_b64 exec, exec, s[6:7]
	s_and_saveexec_b64 s[6:7], s[0:1]
	s_cbranch_execz .LBB140_13
.LBB140_56:
	global_load_dwordx2 v[13:14], v[17:18], off offset:512
	s_or_b64 exec, exec, s[6:7]
                                        ; implicit-def: $vgpr15_vgpr16
	s_and_saveexec_b64 s[0:1], s[2:3]
	s_cbranch_execnz .LBB140_14
	s_branch .LBB140_15
.LBB140_57:
	s_waitcnt lgkmcnt(1)
	global_store_dwordx2 v[9:10], v[5:6], off
	s_or_b64 exec, exec, s[8:9]
	s_and_saveexec_b64 s[0:1], s[2:3]
	s_cbranch_execz .LBB140_51
.LBB140_58:
	s_waitcnt lgkmcnt(1)
	global_store_dwordx2 v[9:10], v[7:8], off offset:2048
	s_or_b64 exec, exec, s[0:1]
	s_and_saveexec_b64 s[0:1], s[4:5]
	s_cbranch_execnz .LBB140_52
	s_branch .LBB140_53
	.section	.rodata,"a",@progbits
	.p2align	6, 0x0
	.amdhsa_kernel _ZN7rocprim17ROCPRIM_304000_NS6detail28radix_sort_block_sort_kernelINS1_36wrapped_radix_sort_block_sort_configINS0_13kernel_configILj256ELj4ELj4294967295EEEdN2at4cuda3cub6detail10OpaqueTypeILi8EEEEELb1EPKdPdPKSB_PSB_NS0_19identity_decomposerEEEvT1_T2_T3_T4_jT5_jj
		.amdhsa_group_segment_fixed_size 8192
		.amdhsa_private_segment_fixed_size 0
		.amdhsa_kernarg_size 304
		.amdhsa_user_sgpr_count 6
		.amdhsa_user_sgpr_private_segment_buffer 1
		.amdhsa_user_sgpr_dispatch_ptr 0
		.amdhsa_user_sgpr_queue_ptr 0
		.amdhsa_user_sgpr_kernarg_segment_ptr 1
		.amdhsa_user_sgpr_dispatch_id 0
		.amdhsa_user_sgpr_flat_scratch_init 0
		.amdhsa_user_sgpr_private_segment_size 0
		.amdhsa_uses_dynamic_stack 0
		.amdhsa_system_sgpr_private_segment_wavefront_offset 0
		.amdhsa_system_sgpr_workgroup_id_x 1
		.amdhsa_system_sgpr_workgroup_id_y 0
		.amdhsa_system_sgpr_workgroup_id_z 0
		.amdhsa_system_sgpr_workgroup_info 0
		.amdhsa_system_vgpr_workitem_id 2
		.amdhsa_next_free_vgpr 50
		.amdhsa_next_free_sgpr 61
		.amdhsa_reserve_vcc 1
		.amdhsa_reserve_flat_scratch 0
		.amdhsa_float_round_mode_32 0
		.amdhsa_float_round_mode_16_64 0
		.amdhsa_float_denorm_mode_32 3
		.amdhsa_float_denorm_mode_16_64 3
		.amdhsa_dx10_clamp 1
		.amdhsa_ieee_mode 1
		.amdhsa_fp16_overflow 0
		.amdhsa_exception_fp_ieee_invalid_op 0
		.amdhsa_exception_fp_denorm_src 0
		.amdhsa_exception_fp_ieee_div_zero 0
		.amdhsa_exception_fp_ieee_overflow 0
		.amdhsa_exception_fp_ieee_underflow 0
		.amdhsa_exception_fp_ieee_inexact 0
		.amdhsa_exception_int_div_zero 0
	.end_amdhsa_kernel
	.section	.text._ZN7rocprim17ROCPRIM_304000_NS6detail28radix_sort_block_sort_kernelINS1_36wrapped_radix_sort_block_sort_configINS0_13kernel_configILj256ELj4ELj4294967295EEEdN2at4cuda3cub6detail10OpaqueTypeILi8EEEEELb1EPKdPdPKSB_PSB_NS0_19identity_decomposerEEEvT1_T2_T3_T4_jT5_jj,"axG",@progbits,_ZN7rocprim17ROCPRIM_304000_NS6detail28radix_sort_block_sort_kernelINS1_36wrapped_radix_sort_block_sort_configINS0_13kernel_configILj256ELj4ELj4294967295EEEdN2at4cuda3cub6detail10OpaqueTypeILi8EEEEELb1EPKdPdPKSB_PSB_NS0_19identity_decomposerEEEvT1_T2_T3_T4_jT5_jj,comdat
.Lfunc_end140:
	.size	_ZN7rocprim17ROCPRIM_304000_NS6detail28radix_sort_block_sort_kernelINS1_36wrapped_radix_sort_block_sort_configINS0_13kernel_configILj256ELj4ELj4294967295EEEdN2at4cuda3cub6detail10OpaqueTypeILi8EEEEELb1EPKdPdPKSB_PSB_NS0_19identity_decomposerEEEvT1_T2_T3_T4_jT5_jj, .Lfunc_end140-_ZN7rocprim17ROCPRIM_304000_NS6detail28radix_sort_block_sort_kernelINS1_36wrapped_radix_sort_block_sort_configINS0_13kernel_configILj256ELj4ELj4294967295EEEdN2at4cuda3cub6detail10OpaqueTypeILi8EEEEELb1EPKdPdPKSB_PSB_NS0_19identity_decomposerEEEvT1_T2_T3_T4_jT5_jj
                                        ; -- End function
	.set _ZN7rocprim17ROCPRIM_304000_NS6detail28radix_sort_block_sort_kernelINS1_36wrapped_radix_sort_block_sort_configINS0_13kernel_configILj256ELj4ELj4294967295EEEdN2at4cuda3cub6detail10OpaqueTypeILi8EEEEELb1EPKdPdPKSB_PSB_NS0_19identity_decomposerEEEvT1_T2_T3_T4_jT5_jj.num_vgpr, 50
	.set _ZN7rocprim17ROCPRIM_304000_NS6detail28radix_sort_block_sort_kernelINS1_36wrapped_radix_sort_block_sort_configINS0_13kernel_configILj256ELj4ELj4294967295EEEdN2at4cuda3cub6detail10OpaqueTypeILi8EEEEELb1EPKdPdPKSB_PSB_NS0_19identity_decomposerEEEvT1_T2_T3_T4_jT5_jj.num_agpr, 0
	.set _ZN7rocprim17ROCPRIM_304000_NS6detail28radix_sort_block_sort_kernelINS1_36wrapped_radix_sort_block_sort_configINS0_13kernel_configILj256ELj4ELj4294967295EEEdN2at4cuda3cub6detail10OpaqueTypeILi8EEEEELb1EPKdPdPKSB_PSB_NS0_19identity_decomposerEEEvT1_T2_T3_T4_jT5_jj.numbered_sgpr, 46
	.set _ZN7rocprim17ROCPRIM_304000_NS6detail28radix_sort_block_sort_kernelINS1_36wrapped_radix_sort_block_sort_configINS0_13kernel_configILj256ELj4ELj4294967295EEEdN2at4cuda3cub6detail10OpaqueTypeILi8EEEEELb1EPKdPdPKSB_PSB_NS0_19identity_decomposerEEEvT1_T2_T3_T4_jT5_jj.num_named_barrier, 0
	.set _ZN7rocprim17ROCPRIM_304000_NS6detail28radix_sort_block_sort_kernelINS1_36wrapped_radix_sort_block_sort_configINS0_13kernel_configILj256ELj4ELj4294967295EEEdN2at4cuda3cub6detail10OpaqueTypeILi8EEEEELb1EPKdPdPKSB_PSB_NS0_19identity_decomposerEEEvT1_T2_T3_T4_jT5_jj.private_seg_size, 0
	.set _ZN7rocprim17ROCPRIM_304000_NS6detail28radix_sort_block_sort_kernelINS1_36wrapped_radix_sort_block_sort_configINS0_13kernel_configILj256ELj4ELj4294967295EEEdN2at4cuda3cub6detail10OpaqueTypeILi8EEEEELb1EPKdPdPKSB_PSB_NS0_19identity_decomposerEEEvT1_T2_T3_T4_jT5_jj.uses_vcc, 1
	.set _ZN7rocprim17ROCPRIM_304000_NS6detail28radix_sort_block_sort_kernelINS1_36wrapped_radix_sort_block_sort_configINS0_13kernel_configILj256ELj4ELj4294967295EEEdN2at4cuda3cub6detail10OpaqueTypeILi8EEEEELb1EPKdPdPKSB_PSB_NS0_19identity_decomposerEEEvT1_T2_T3_T4_jT5_jj.uses_flat_scratch, 0
	.set _ZN7rocprim17ROCPRIM_304000_NS6detail28radix_sort_block_sort_kernelINS1_36wrapped_radix_sort_block_sort_configINS0_13kernel_configILj256ELj4ELj4294967295EEEdN2at4cuda3cub6detail10OpaqueTypeILi8EEEEELb1EPKdPdPKSB_PSB_NS0_19identity_decomposerEEEvT1_T2_T3_T4_jT5_jj.has_dyn_sized_stack, 0
	.set _ZN7rocprim17ROCPRIM_304000_NS6detail28radix_sort_block_sort_kernelINS1_36wrapped_radix_sort_block_sort_configINS0_13kernel_configILj256ELj4ELj4294967295EEEdN2at4cuda3cub6detail10OpaqueTypeILi8EEEEELb1EPKdPdPKSB_PSB_NS0_19identity_decomposerEEEvT1_T2_T3_T4_jT5_jj.has_recursion, 0
	.set _ZN7rocprim17ROCPRIM_304000_NS6detail28radix_sort_block_sort_kernelINS1_36wrapped_radix_sort_block_sort_configINS0_13kernel_configILj256ELj4ELj4294967295EEEdN2at4cuda3cub6detail10OpaqueTypeILi8EEEEELb1EPKdPdPKSB_PSB_NS0_19identity_decomposerEEEvT1_T2_T3_T4_jT5_jj.has_indirect_call, 0
	.section	.AMDGPU.csdata,"",@progbits
; Kernel info:
; codeLenInByte = 4044
; TotalNumSgprs: 50
; NumVgprs: 50
; ScratchSize: 0
; MemoryBound: 1
; FloatMode: 240
; IeeeMode: 1
; LDSByteSize: 8192 bytes/workgroup (compile time only)
; SGPRBlocks: 8
; VGPRBlocks: 12
; NumSGPRsForWavesPerEU: 65
; NumVGPRsForWavesPerEU: 50
; Occupancy: 4
; WaveLimiterHint : 1
; COMPUTE_PGM_RSRC2:SCRATCH_EN: 0
; COMPUTE_PGM_RSRC2:USER_SGPR: 6
; COMPUTE_PGM_RSRC2:TRAP_HANDLER: 0
; COMPUTE_PGM_RSRC2:TGID_X_EN: 1
; COMPUTE_PGM_RSRC2:TGID_Y_EN: 0
; COMPUTE_PGM_RSRC2:TGID_Z_EN: 0
; COMPUTE_PGM_RSRC2:TIDIG_COMP_CNT: 2
	.section	.text._ZN7rocprim17ROCPRIM_304000_NS6detail39device_merge_sort_compile_time_verifierINS1_36wrapped_merge_sort_block_sort_configINS1_28merge_sort_block_sort_configILj256ELj4ELNS0_20block_sort_algorithmE0EEEdN2at4cuda3cub6detail10OpaqueTypeILi8EEEEENS1_37wrapped_merge_sort_block_merge_configINS0_14default_configEdSC_EEEEvv,"axG",@progbits,_ZN7rocprim17ROCPRIM_304000_NS6detail39device_merge_sort_compile_time_verifierINS1_36wrapped_merge_sort_block_sort_configINS1_28merge_sort_block_sort_configILj256ELj4ELNS0_20block_sort_algorithmE0EEEdN2at4cuda3cub6detail10OpaqueTypeILi8EEEEENS1_37wrapped_merge_sort_block_merge_configINS0_14default_configEdSC_EEEEvv,comdat
	.protected	_ZN7rocprim17ROCPRIM_304000_NS6detail39device_merge_sort_compile_time_verifierINS1_36wrapped_merge_sort_block_sort_configINS1_28merge_sort_block_sort_configILj256ELj4ELNS0_20block_sort_algorithmE0EEEdN2at4cuda3cub6detail10OpaqueTypeILi8EEEEENS1_37wrapped_merge_sort_block_merge_configINS0_14default_configEdSC_EEEEvv ; -- Begin function _ZN7rocprim17ROCPRIM_304000_NS6detail39device_merge_sort_compile_time_verifierINS1_36wrapped_merge_sort_block_sort_configINS1_28merge_sort_block_sort_configILj256ELj4ELNS0_20block_sort_algorithmE0EEEdN2at4cuda3cub6detail10OpaqueTypeILi8EEEEENS1_37wrapped_merge_sort_block_merge_configINS0_14default_configEdSC_EEEEvv
	.globl	_ZN7rocprim17ROCPRIM_304000_NS6detail39device_merge_sort_compile_time_verifierINS1_36wrapped_merge_sort_block_sort_configINS1_28merge_sort_block_sort_configILj256ELj4ELNS0_20block_sort_algorithmE0EEEdN2at4cuda3cub6detail10OpaqueTypeILi8EEEEENS1_37wrapped_merge_sort_block_merge_configINS0_14default_configEdSC_EEEEvv
	.p2align	8
	.type	_ZN7rocprim17ROCPRIM_304000_NS6detail39device_merge_sort_compile_time_verifierINS1_36wrapped_merge_sort_block_sort_configINS1_28merge_sort_block_sort_configILj256ELj4ELNS0_20block_sort_algorithmE0EEEdN2at4cuda3cub6detail10OpaqueTypeILi8EEEEENS1_37wrapped_merge_sort_block_merge_configINS0_14default_configEdSC_EEEEvv,@function
_ZN7rocprim17ROCPRIM_304000_NS6detail39device_merge_sort_compile_time_verifierINS1_36wrapped_merge_sort_block_sort_configINS1_28merge_sort_block_sort_configILj256ELj4ELNS0_20block_sort_algorithmE0EEEdN2at4cuda3cub6detail10OpaqueTypeILi8EEEEENS1_37wrapped_merge_sort_block_merge_configINS0_14default_configEdSC_EEEEvv: ; @_ZN7rocprim17ROCPRIM_304000_NS6detail39device_merge_sort_compile_time_verifierINS1_36wrapped_merge_sort_block_sort_configINS1_28merge_sort_block_sort_configILj256ELj4ELNS0_20block_sort_algorithmE0EEEdN2at4cuda3cub6detail10OpaqueTypeILi8EEEEENS1_37wrapped_merge_sort_block_merge_configINS0_14default_configEdSC_EEEEvv
; %bb.0:
	s_endpgm
	.section	.rodata,"a",@progbits
	.p2align	6, 0x0
	.amdhsa_kernel _ZN7rocprim17ROCPRIM_304000_NS6detail39device_merge_sort_compile_time_verifierINS1_36wrapped_merge_sort_block_sort_configINS1_28merge_sort_block_sort_configILj256ELj4ELNS0_20block_sort_algorithmE0EEEdN2at4cuda3cub6detail10OpaqueTypeILi8EEEEENS1_37wrapped_merge_sort_block_merge_configINS0_14default_configEdSC_EEEEvv
		.amdhsa_group_segment_fixed_size 0
		.amdhsa_private_segment_fixed_size 0
		.amdhsa_kernarg_size 0
		.amdhsa_user_sgpr_count 4
		.amdhsa_user_sgpr_private_segment_buffer 1
		.amdhsa_user_sgpr_dispatch_ptr 0
		.amdhsa_user_sgpr_queue_ptr 0
		.amdhsa_user_sgpr_kernarg_segment_ptr 0
		.amdhsa_user_sgpr_dispatch_id 0
		.amdhsa_user_sgpr_flat_scratch_init 0
		.amdhsa_user_sgpr_private_segment_size 0
		.amdhsa_uses_dynamic_stack 0
		.amdhsa_system_sgpr_private_segment_wavefront_offset 0
		.amdhsa_system_sgpr_workgroup_id_x 1
		.amdhsa_system_sgpr_workgroup_id_y 0
		.amdhsa_system_sgpr_workgroup_id_z 0
		.amdhsa_system_sgpr_workgroup_info 0
		.amdhsa_system_vgpr_workitem_id 0
		.amdhsa_next_free_vgpr 1
		.amdhsa_next_free_sgpr 0
		.amdhsa_reserve_vcc 0
		.amdhsa_reserve_flat_scratch 0
		.amdhsa_float_round_mode_32 0
		.amdhsa_float_round_mode_16_64 0
		.amdhsa_float_denorm_mode_32 3
		.amdhsa_float_denorm_mode_16_64 3
		.amdhsa_dx10_clamp 1
		.amdhsa_ieee_mode 1
		.amdhsa_fp16_overflow 0
		.amdhsa_exception_fp_ieee_invalid_op 0
		.amdhsa_exception_fp_denorm_src 0
		.amdhsa_exception_fp_ieee_div_zero 0
		.amdhsa_exception_fp_ieee_overflow 0
		.amdhsa_exception_fp_ieee_underflow 0
		.amdhsa_exception_fp_ieee_inexact 0
		.amdhsa_exception_int_div_zero 0
	.end_amdhsa_kernel
	.section	.text._ZN7rocprim17ROCPRIM_304000_NS6detail39device_merge_sort_compile_time_verifierINS1_36wrapped_merge_sort_block_sort_configINS1_28merge_sort_block_sort_configILj256ELj4ELNS0_20block_sort_algorithmE0EEEdN2at4cuda3cub6detail10OpaqueTypeILi8EEEEENS1_37wrapped_merge_sort_block_merge_configINS0_14default_configEdSC_EEEEvv,"axG",@progbits,_ZN7rocprim17ROCPRIM_304000_NS6detail39device_merge_sort_compile_time_verifierINS1_36wrapped_merge_sort_block_sort_configINS1_28merge_sort_block_sort_configILj256ELj4ELNS0_20block_sort_algorithmE0EEEdN2at4cuda3cub6detail10OpaqueTypeILi8EEEEENS1_37wrapped_merge_sort_block_merge_configINS0_14default_configEdSC_EEEEvv,comdat
.Lfunc_end141:
	.size	_ZN7rocprim17ROCPRIM_304000_NS6detail39device_merge_sort_compile_time_verifierINS1_36wrapped_merge_sort_block_sort_configINS1_28merge_sort_block_sort_configILj256ELj4ELNS0_20block_sort_algorithmE0EEEdN2at4cuda3cub6detail10OpaqueTypeILi8EEEEENS1_37wrapped_merge_sort_block_merge_configINS0_14default_configEdSC_EEEEvv, .Lfunc_end141-_ZN7rocprim17ROCPRIM_304000_NS6detail39device_merge_sort_compile_time_verifierINS1_36wrapped_merge_sort_block_sort_configINS1_28merge_sort_block_sort_configILj256ELj4ELNS0_20block_sort_algorithmE0EEEdN2at4cuda3cub6detail10OpaqueTypeILi8EEEEENS1_37wrapped_merge_sort_block_merge_configINS0_14default_configEdSC_EEEEvv
                                        ; -- End function
	.set _ZN7rocprim17ROCPRIM_304000_NS6detail39device_merge_sort_compile_time_verifierINS1_36wrapped_merge_sort_block_sort_configINS1_28merge_sort_block_sort_configILj256ELj4ELNS0_20block_sort_algorithmE0EEEdN2at4cuda3cub6detail10OpaqueTypeILi8EEEEENS1_37wrapped_merge_sort_block_merge_configINS0_14default_configEdSC_EEEEvv.num_vgpr, 0
	.set _ZN7rocprim17ROCPRIM_304000_NS6detail39device_merge_sort_compile_time_verifierINS1_36wrapped_merge_sort_block_sort_configINS1_28merge_sort_block_sort_configILj256ELj4ELNS0_20block_sort_algorithmE0EEEdN2at4cuda3cub6detail10OpaqueTypeILi8EEEEENS1_37wrapped_merge_sort_block_merge_configINS0_14default_configEdSC_EEEEvv.num_agpr, 0
	.set _ZN7rocprim17ROCPRIM_304000_NS6detail39device_merge_sort_compile_time_verifierINS1_36wrapped_merge_sort_block_sort_configINS1_28merge_sort_block_sort_configILj256ELj4ELNS0_20block_sort_algorithmE0EEEdN2at4cuda3cub6detail10OpaqueTypeILi8EEEEENS1_37wrapped_merge_sort_block_merge_configINS0_14default_configEdSC_EEEEvv.numbered_sgpr, 0
	.set _ZN7rocprim17ROCPRIM_304000_NS6detail39device_merge_sort_compile_time_verifierINS1_36wrapped_merge_sort_block_sort_configINS1_28merge_sort_block_sort_configILj256ELj4ELNS0_20block_sort_algorithmE0EEEdN2at4cuda3cub6detail10OpaqueTypeILi8EEEEENS1_37wrapped_merge_sort_block_merge_configINS0_14default_configEdSC_EEEEvv.num_named_barrier, 0
	.set _ZN7rocprim17ROCPRIM_304000_NS6detail39device_merge_sort_compile_time_verifierINS1_36wrapped_merge_sort_block_sort_configINS1_28merge_sort_block_sort_configILj256ELj4ELNS0_20block_sort_algorithmE0EEEdN2at4cuda3cub6detail10OpaqueTypeILi8EEEEENS1_37wrapped_merge_sort_block_merge_configINS0_14default_configEdSC_EEEEvv.private_seg_size, 0
	.set _ZN7rocprim17ROCPRIM_304000_NS6detail39device_merge_sort_compile_time_verifierINS1_36wrapped_merge_sort_block_sort_configINS1_28merge_sort_block_sort_configILj256ELj4ELNS0_20block_sort_algorithmE0EEEdN2at4cuda3cub6detail10OpaqueTypeILi8EEEEENS1_37wrapped_merge_sort_block_merge_configINS0_14default_configEdSC_EEEEvv.uses_vcc, 0
	.set _ZN7rocprim17ROCPRIM_304000_NS6detail39device_merge_sort_compile_time_verifierINS1_36wrapped_merge_sort_block_sort_configINS1_28merge_sort_block_sort_configILj256ELj4ELNS0_20block_sort_algorithmE0EEEdN2at4cuda3cub6detail10OpaqueTypeILi8EEEEENS1_37wrapped_merge_sort_block_merge_configINS0_14default_configEdSC_EEEEvv.uses_flat_scratch, 0
	.set _ZN7rocprim17ROCPRIM_304000_NS6detail39device_merge_sort_compile_time_verifierINS1_36wrapped_merge_sort_block_sort_configINS1_28merge_sort_block_sort_configILj256ELj4ELNS0_20block_sort_algorithmE0EEEdN2at4cuda3cub6detail10OpaqueTypeILi8EEEEENS1_37wrapped_merge_sort_block_merge_configINS0_14default_configEdSC_EEEEvv.has_dyn_sized_stack, 0
	.set _ZN7rocprim17ROCPRIM_304000_NS6detail39device_merge_sort_compile_time_verifierINS1_36wrapped_merge_sort_block_sort_configINS1_28merge_sort_block_sort_configILj256ELj4ELNS0_20block_sort_algorithmE0EEEdN2at4cuda3cub6detail10OpaqueTypeILi8EEEEENS1_37wrapped_merge_sort_block_merge_configINS0_14default_configEdSC_EEEEvv.has_recursion, 0
	.set _ZN7rocprim17ROCPRIM_304000_NS6detail39device_merge_sort_compile_time_verifierINS1_36wrapped_merge_sort_block_sort_configINS1_28merge_sort_block_sort_configILj256ELj4ELNS0_20block_sort_algorithmE0EEEdN2at4cuda3cub6detail10OpaqueTypeILi8EEEEENS1_37wrapped_merge_sort_block_merge_configINS0_14default_configEdSC_EEEEvv.has_indirect_call, 0
	.section	.AMDGPU.csdata,"",@progbits
; Kernel info:
; codeLenInByte = 4
; TotalNumSgprs: 4
; NumVgprs: 0
; ScratchSize: 0
; MemoryBound: 0
; FloatMode: 240
; IeeeMode: 1
; LDSByteSize: 0 bytes/workgroup (compile time only)
; SGPRBlocks: 0
; VGPRBlocks: 0
; NumSGPRsForWavesPerEU: 4
; NumVGPRsForWavesPerEU: 1
; Occupancy: 10
; WaveLimiterHint : 0
; COMPUTE_PGM_RSRC2:SCRATCH_EN: 0
; COMPUTE_PGM_RSRC2:USER_SGPR: 4
; COMPUTE_PGM_RSRC2:TRAP_HANDLER: 0
; COMPUTE_PGM_RSRC2:TGID_X_EN: 1
; COMPUTE_PGM_RSRC2:TGID_Y_EN: 0
; COMPUTE_PGM_RSRC2:TGID_Z_EN: 0
; COMPUTE_PGM_RSRC2:TIDIG_COMP_CNT: 0
	.section	.text._ZN7rocprim17ROCPRIM_304000_NS6detail45device_block_merge_mergepath_partition_kernelINS1_37wrapped_merge_sort_block_merge_configINS0_14default_configEdN2at4cuda3cub6detail10OpaqueTypeILi8EEEEEPdjNS1_19radix_merge_compareILb1ELb0EdNS0_19identity_decomposerEEEEEvT0_T1_jPSH_T2_SH_,"axG",@progbits,_ZN7rocprim17ROCPRIM_304000_NS6detail45device_block_merge_mergepath_partition_kernelINS1_37wrapped_merge_sort_block_merge_configINS0_14default_configEdN2at4cuda3cub6detail10OpaqueTypeILi8EEEEEPdjNS1_19radix_merge_compareILb1ELb0EdNS0_19identity_decomposerEEEEEvT0_T1_jPSH_T2_SH_,comdat
	.protected	_ZN7rocprim17ROCPRIM_304000_NS6detail45device_block_merge_mergepath_partition_kernelINS1_37wrapped_merge_sort_block_merge_configINS0_14default_configEdN2at4cuda3cub6detail10OpaqueTypeILi8EEEEEPdjNS1_19radix_merge_compareILb1ELb0EdNS0_19identity_decomposerEEEEEvT0_T1_jPSH_T2_SH_ ; -- Begin function _ZN7rocprim17ROCPRIM_304000_NS6detail45device_block_merge_mergepath_partition_kernelINS1_37wrapped_merge_sort_block_merge_configINS0_14default_configEdN2at4cuda3cub6detail10OpaqueTypeILi8EEEEEPdjNS1_19radix_merge_compareILb1ELb0EdNS0_19identity_decomposerEEEEEvT0_T1_jPSH_T2_SH_
	.globl	_ZN7rocprim17ROCPRIM_304000_NS6detail45device_block_merge_mergepath_partition_kernelINS1_37wrapped_merge_sort_block_merge_configINS0_14default_configEdN2at4cuda3cub6detail10OpaqueTypeILi8EEEEEPdjNS1_19radix_merge_compareILb1ELb0EdNS0_19identity_decomposerEEEEEvT0_T1_jPSH_T2_SH_
	.p2align	8
	.type	_ZN7rocprim17ROCPRIM_304000_NS6detail45device_block_merge_mergepath_partition_kernelINS1_37wrapped_merge_sort_block_merge_configINS0_14default_configEdN2at4cuda3cub6detail10OpaqueTypeILi8EEEEEPdjNS1_19radix_merge_compareILb1ELb0EdNS0_19identity_decomposerEEEEEvT0_T1_jPSH_T2_SH_,@function
_ZN7rocprim17ROCPRIM_304000_NS6detail45device_block_merge_mergepath_partition_kernelINS1_37wrapped_merge_sort_block_merge_configINS0_14default_configEdN2at4cuda3cub6detail10OpaqueTypeILi8EEEEEPdjNS1_19radix_merge_compareILb1ELb0EdNS0_19identity_decomposerEEEEEvT0_T1_jPSH_T2_SH_: ; @_ZN7rocprim17ROCPRIM_304000_NS6detail45device_block_merge_mergepath_partition_kernelINS1_37wrapped_merge_sort_block_merge_configINS0_14default_configEdN2at4cuda3cub6detail10OpaqueTypeILi8EEEEEPdjNS1_19radix_merge_compareILb1ELb0EdNS0_19identity_decomposerEEEEEvT0_T1_jPSH_T2_SH_
; %bb.0:
	s_load_dwordx2 s[0:1], s[4:5], 0x8
	v_lshl_or_b32 v0, s6, 7, v0
	s_waitcnt lgkmcnt(0)
	v_cmp_gt_u32_e32 vcc, s1, v0
	s_and_saveexec_b64 s[2:3], vcc
	s_cbranch_execz .LBB142_6
; %bb.1:
	s_load_dword s1, s[4:5], 0x1c
	s_mov_b32 s2, 0
	s_waitcnt lgkmcnt(0)
	s_lshr_b32 s3, s1, 9
	s_and_b32 s3, s3, 0x7ffffe
	s_add_i32 s6, s3, -1
	s_sub_i32 s3, 0, s3
	v_and_b32_e32 v1, s3, v0
	v_lshlrev_b32_e32 v3, 10, v1
	v_min_u32_e32 v1, s0, v3
	v_add_u32_e32 v3, s1, v3
	v_min_u32_e32 v3, s0, v3
	v_add_u32_e32 v4, s1, v3
	v_and_b32_e32 v2, s6, v0
	v_min_u32_e32 v4, s0, v4
	v_sub_u32_e32 v5, v4, v1
	v_lshlrev_b32_e32 v2, 10, v2
	v_min_u32_e32 v6, v5, v2
	v_sub_u32_e32 v2, v3, v1
	v_sub_u32_e32 v4, v4, v3
	v_sub_u32_e64 v5, v6, v4 clamp
	v_min_u32_e32 v7, v6, v2
	v_cmp_lt_u32_e32 vcc, v5, v7
	s_and_saveexec_b64 s[6:7], vcc
	s_cbranch_execz .LBB142_5
; %bb.2:
	s_load_dwordx2 s[0:1], s[4:5], 0x0
	v_mov_b32_e32 v4, 0
	v_mov_b32_e32 v2, v4
	v_lshlrev_b64 v[8:9], 3, v[1:2]
	s_mov_b64 s[8:9], 0
	s_waitcnt lgkmcnt(0)
	v_mov_b32_e32 v11, s1
	v_add_co_u32_e32 v2, vcc, s0, v8
	v_addc_co_u32_e32 v8, vcc, v11, v9, vcc
	v_lshlrev_b64 v[9:10], 3, v[3:4]
	s_brev_b32 s3, 1
	v_add_co_u32_e32 v9, vcc, s0, v9
	v_addc_co_u32_e32 v10, vcc, v11, v10, vcc
	v_bfrev_b32_e32 v11, 1
.LBB142_3:                              ; =>This Inner Loop Header: Depth=1
	v_add_u32_e32 v3, v7, v5
	v_lshrrev_b32_e32 v3, 1, v3
	v_lshlrev_b64 v[14:15], 3, v[3:4]
	v_mov_b32_e32 v13, v4
	v_xad_u32 v12, v3, -1, v6
	v_lshlrev_b64 v[12:13], 3, v[12:13]
	v_add_co_u32_e32 v14, vcc, v2, v14
	v_addc_co_u32_e32 v15, vcc, v8, v15, vcc
	global_load_dwordx2 v[14:15], v[14:15], off
	v_add_co_u32_e32 v12, vcc, v9, v12
	v_addc_co_u32_e32 v13, vcc, v10, v13, vcc
	global_load_dwordx2 v[12:13], v[12:13], off
	v_add_u32_e32 v16, 1, v3
	s_waitcnt vmcnt(1)
	v_cmp_ne_u64_e32 vcc, s[2:3], v[14:15]
	v_cndmask_b32_e32 v15, 0, v15, vcc
	v_cndmask_b32_e32 v14, 0, v14, vcc
	v_cmp_lt_i64_e32 vcc, -1, v[14:15]
	s_waitcnt vmcnt(0)
	v_cmp_ne_u64_e64 s[0:1], s[2:3], v[12:13]
	v_cndmask_b32_e32 v19, -1, v11, vcc
	v_cndmask_b32_e64 v13, 0, v13, s[0:1]
	v_cndmask_b32_e64 v12, 0, v12, s[0:1]
	v_cmp_lt_i64_e32 vcc, -1, v[12:13]
	v_ashrrev_i32_e32 v17, 31, v15
	v_ashrrev_i32_e32 v18, 31, v13
	v_xor_b32_e32 v14, v17, v14
	v_cndmask_b32_e32 v17, -1, v11, vcc
	v_xor_b32_e32 v15, v19, v15
	v_xor_b32_e32 v12, v18, v12
	;; [unrolled: 1-line block ×3, first 2 shown]
	v_cmp_gt_u64_e32 vcc, v[12:13], v[14:15]
	v_cndmask_b32_e32 v7, v7, v3, vcc
	v_cndmask_b32_e32 v5, v16, v5, vcc
	v_cmp_ge_u32_e32 vcc, v5, v7
	s_or_b64 s[8:9], vcc, s[8:9]
	s_andn2_b64 exec, exec, s[8:9]
	s_cbranch_execnz .LBB142_3
; %bb.4:
	s_or_b64 exec, exec, s[8:9]
.LBB142_5:
	s_or_b64 exec, exec, s[6:7]
	s_load_dwordx2 s[0:1], s[4:5], 0x10
	v_add_u32_e32 v2, v5, v1
	v_mov_b32_e32 v1, 0
	v_lshlrev_b64 v[0:1], 2, v[0:1]
	s_waitcnt lgkmcnt(0)
	v_mov_b32_e32 v3, s1
	v_add_co_u32_e32 v0, vcc, s0, v0
	v_addc_co_u32_e32 v1, vcc, v3, v1, vcc
	global_store_dword v[0:1], v2, off
.LBB142_6:
	s_endpgm
	.section	.rodata,"a",@progbits
	.p2align	6, 0x0
	.amdhsa_kernel _ZN7rocprim17ROCPRIM_304000_NS6detail45device_block_merge_mergepath_partition_kernelINS1_37wrapped_merge_sort_block_merge_configINS0_14default_configEdN2at4cuda3cub6detail10OpaqueTypeILi8EEEEEPdjNS1_19radix_merge_compareILb1ELb0EdNS0_19identity_decomposerEEEEEvT0_T1_jPSH_T2_SH_
		.amdhsa_group_segment_fixed_size 0
		.amdhsa_private_segment_fixed_size 0
		.amdhsa_kernarg_size 32
		.amdhsa_user_sgpr_count 6
		.amdhsa_user_sgpr_private_segment_buffer 1
		.amdhsa_user_sgpr_dispatch_ptr 0
		.amdhsa_user_sgpr_queue_ptr 0
		.amdhsa_user_sgpr_kernarg_segment_ptr 1
		.amdhsa_user_sgpr_dispatch_id 0
		.amdhsa_user_sgpr_flat_scratch_init 0
		.amdhsa_user_sgpr_private_segment_size 0
		.amdhsa_uses_dynamic_stack 0
		.amdhsa_system_sgpr_private_segment_wavefront_offset 0
		.amdhsa_system_sgpr_workgroup_id_x 1
		.amdhsa_system_sgpr_workgroup_id_y 0
		.amdhsa_system_sgpr_workgroup_id_z 0
		.amdhsa_system_sgpr_workgroup_info 0
		.amdhsa_system_vgpr_workitem_id 0
		.amdhsa_next_free_vgpr 20
		.amdhsa_next_free_sgpr 10
		.amdhsa_reserve_vcc 1
		.amdhsa_reserve_flat_scratch 0
		.amdhsa_float_round_mode_32 0
		.amdhsa_float_round_mode_16_64 0
		.amdhsa_float_denorm_mode_32 3
		.amdhsa_float_denorm_mode_16_64 3
		.amdhsa_dx10_clamp 1
		.amdhsa_ieee_mode 1
		.amdhsa_fp16_overflow 0
		.amdhsa_exception_fp_ieee_invalid_op 0
		.amdhsa_exception_fp_denorm_src 0
		.amdhsa_exception_fp_ieee_div_zero 0
		.amdhsa_exception_fp_ieee_overflow 0
		.amdhsa_exception_fp_ieee_underflow 0
		.amdhsa_exception_fp_ieee_inexact 0
		.amdhsa_exception_int_div_zero 0
	.end_amdhsa_kernel
	.section	.text._ZN7rocprim17ROCPRIM_304000_NS6detail45device_block_merge_mergepath_partition_kernelINS1_37wrapped_merge_sort_block_merge_configINS0_14default_configEdN2at4cuda3cub6detail10OpaqueTypeILi8EEEEEPdjNS1_19radix_merge_compareILb1ELb0EdNS0_19identity_decomposerEEEEEvT0_T1_jPSH_T2_SH_,"axG",@progbits,_ZN7rocprim17ROCPRIM_304000_NS6detail45device_block_merge_mergepath_partition_kernelINS1_37wrapped_merge_sort_block_merge_configINS0_14default_configEdN2at4cuda3cub6detail10OpaqueTypeILi8EEEEEPdjNS1_19radix_merge_compareILb1ELb0EdNS0_19identity_decomposerEEEEEvT0_T1_jPSH_T2_SH_,comdat
.Lfunc_end142:
	.size	_ZN7rocprim17ROCPRIM_304000_NS6detail45device_block_merge_mergepath_partition_kernelINS1_37wrapped_merge_sort_block_merge_configINS0_14default_configEdN2at4cuda3cub6detail10OpaqueTypeILi8EEEEEPdjNS1_19radix_merge_compareILb1ELb0EdNS0_19identity_decomposerEEEEEvT0_T1_jPSH_T2_SH_, .Lfunc_end142-_ZN7rocprim17ROCPRIM_304000_NS6detail45device_block_merge_mergepath_partition_kernelINS1_37wrapped_merge_sort_block_merge_configINS0_14default_configEdN2at4cuda3cub6detail10OpaqueTypeILi8EEEEEPdjNS1_19radix_merge_compareILb1ELb0EdNS0_19identity_decomposerEEEEEvT0_T1_jPSH_T2_SH_
                                        ; -- End function
	.set _ZN7rocprim17ROCPRIM_304000_NS6detail45device_block_merge_mergepath_partition_kernelINS1_37wrapped_merge_sort_block_merge_configINS0_14default_configEdN2at4cuda3cub6detail10OpaqueTypeILi8EEEEEPdjNS1_19radix_merge_compareILb1ELb0EdNS0_19identity_decomposerEEEEEvT0_T1_jPSH_T2_SH_.num_vgpr, 20
	.set _ZN7rocprim17ROCPRIM_304000_NS6detail45device_block_merge_mergepath_partition_kernelINS1_37wrapped_merge_sort_block_merge_configINS0_14default_configEdN2at4cuda3cub6detail10OpaqueTypeILi8EEEEEPdjNS1_19radix_merge_compareILb1ELb0EdNS0_19identity_decomposerEEEEEvT0_T1_jPSH_T2_SH_.num_agpr, 0
	.set _ZN7rocprim17ROCPRIM_304000_NS6detail45device_block_merge_mergepath_partition_kernelINS1_37wrapped_merge_sort_block_merge_configINS0_14default_configEdN2at4cuda3cub6detail10OpaqueTypeILi8EEEEEPdjNS1_19radix_merge_compareILb1ELb0EdNS0_19identity_decomposerEEEEEvT0_T1_jPSH_T2_SH_.numbered_sgpr, 10
	.set _ZN7rocprim17ROCPRIM_304000_NS6detail45device_block_merge_mergepath_partition_kernelINS1_37wrapped_merge_sort_block_merge_configINS0_14default_configEdN2at4cuda3cub6detail10OpaqueTypeILi8EEEEEPdjNS1_19radix_merge_compareILb1ELb0EdNS0_19identity_decomposerEEEEEvT0_T1_jPSH_T2_SH_.num_named_barrier, 0
	.set _ZN7rocprim17ROCPRIM_304000_NS6detail45device_block_merge_mergepath_partition_kernelINS1_37wrapped_merge_sort_block_merge_configINS0_14default_configEdN2at4cuda3cub6detail10OpaqueTypeILi8EEEEEPdjNS1_19radix_merge_compareILb1ELb0EdNS0_19identity_decomposerEEEEEvT0_T1_jPSH_T2_SH_.private_seg_size, 0
	.set _ZN7rocprim17ROCPRIM_304000_NS6detail45device_block_merge_mergepath_partition_kernelINS1_37wrapped_merge_sort_block_merge_configINS0_14default_configEdN2at4cuda3cub6detail10OpaqueTypeILi8EEEEEPdjNS1_19radix_merge_compareILb1ELb0EdNS0_19identity_decomposerEEEEEvT0_T1_jPSH_T2_SH_.uses_vcc, 1
	.set _ZN7rocprim17ROCPRIM_304000_NS6detail45device_block_merge_mergepath_partition_kernelINS1_37wrapped_merge_sort_block_merge_configINS0_14default_configEdN2at4cuda3cub6detail10OpaqueTypeILi8EEEEEPdjNS1_19radix_merge_compareILb1ELb0EdNS0_19identity_decomposerEEEEEvT0_T1_jPSH_T2_SH_.uses_flat_scratch, 0
	.set _ZN7rocprim17ROCPRIM_304000_NS6detail45device_block_merge_mergepath_partition_kernelINS1_37wrapped_merge_sort_block_merge_configINS0_14default_configEdN2at4cuda3cub6detail10OpaqueTypeILi8EEEEEPdjNS1_19radix_merge_compareILb1ELb0EdNS0_19identity_decomposerEEEEEvT0_T1_jPSH_T2_SH_.has_dyn_sized_stack, 0
	.set _ZN7rocprim17ROCPRIM_304000_NS6detail45device_block_merge_mergepath_partition_kernelINS1_37wrapped_merge_sort_block_merge_configINS0_14default_configEdN2at4cuda3cub6detail10OpaqueTypeILi8EEEEEPdjNS1_19radix_merge_compareILb1ELb0EdNS0_19identity_decomposerEEEEEvT0_T1_jPSH_T2_SH_.has_recursion, 0
	.set _ZN7rocprim17ROCPRIM_304000_NS6detail45device_block_merge_mergepath_partition_kernelINS1_37wrapped_merge_sort_block_merge_configINS0_14default_configEdN2at4cuda3cub6detail10OpaqueTypeILi8EEEEEPdjNS1_19radix_merge_compareILb1ELb0EdNS0_19identity_decomposerEEEEEvT0_T1_jPSH_T2_SH_.has_indirect_call, 0
	.section	.AMDGPU.csdata,"",@progbits
; Kernel info:
; codeLenInByte = 456
; TotalNumSgprs: 14
; NumVgprs: 20
; ScratchSize: 0
; MemoryBound: 0
; FloatMode: 240
; IeeeMode: 1
; LDSByteSize: 0 bytes/workgroup (compile time only)
; SGPRBlocks: 1
; VGPRBlocks: 4
; NumSGPRsForWavesPerEU: 14
; NumVGPRsForWavesPerEU: 20
; Occupancy: 10
; WaveLimiterHint : 0
; COMPUTE_PGM_RSRC2:SCRATCH_EN: 0
; COMPUTE_PGM_RSRC2:USER_SGPR: 6
; COMPUTE_PGM_RSRC2:TRAP_HANDLER: 0
; COMPUTE_PGM_RSRC2:TGID_X_EN: 1
; COMPUTE_PGM_RSRC2:TGID_Y_EN: 0
; COMPUTE_PGM_RSRC2:TGID_Z_EN: 0
; COMPUTE_PGM_RSRC2:TIDIG_COMP_CNT: 0
	.section	.text._ZN7rocprim17ROCPRIM_304000_NS6detail35device_block_merge_mergepath_kernelINS1_37wrapped_merge_sort_block_merge_configINS0_14default_configEdN2at4cuda3cub6detail10OpaqueTypeILi8EEEEEPdSC_PSA_SD_jNS1_19radix_merge_compareILb1ELb0EdNS0_19identity_decomposerEEEEEvT0_T1_T2_T3_T4_SL_jT5_PKSL_NS1_7vsmem_tE,"axG",@progbits,_ZN7rocprim17ROCPRIM_304000_NS6detail35device_block_merge_mergepath_kernelINS1_37wrapped_merge_sort_block_merge_configINS0_14default_configEdN2at4cuda3cub6detail10OpaqueTypeILi8EEEEEPdSC_PSA_SD_jNS1_19radix_merge_compareILb1ELb0EdNS0_19identity_decomposerEEEEEvT0_T1_T2_T3_T4_SL_jT5_PKSL_NS1_7vsmem_tE,comdat
	.protected	_ZN7rocprim17ROCPRIM_304000_NS6detail35device_block_merge_mergepath_kernelINS1_37wrapped_merge_sort_block_merge_configINS0_14default_configEdN2at4cuda3cub6detail10OpaqueTypeILi8EEEEEPdSC_PSA_SD_jNS1_19radix_merge_compareILb1ELb0EdNS0_19identity_decomposerEEEEEvT0_T1_T2_T3_T4_SL_jT5_PKSL_NS1_7vsmem_tE ; -- Begin function _ZN7rocprim17ROCPRIM_304000_NS6detail35device_block_merge_mergepath_kernelINS1_37wrapped_merge_sort_block_merge_configINS0_14default_configEdN2at4cuda3cub6detail10OpaqueTypeILi8EEEEEPdSC_PSA_SD_jNS1_19radix_merge_compareILb1ELb0EdNS0_19identity_decomposerEEEEEvT0_T1_T2_T3_T4_SL_jT5_PKSL_NS1_7vsmem_tE
	.globl	_ZN7rocprim17ROCPRIM_304000_NS6detail35device_block_merge_mergepath_kernelINS1_37wrapped_merge_sort_block_merge_configINS0_14default_configEdN2at4cuda3cub6detail10OpaqueTypeILi8EEEEEPdSC_PSA_SD_jNS1_19radix_merge_compareILb1ELb0EdNS0_19identity_decomposerEEEEEvT0_T1_T2_T3_T4_SL_jT5_PKSL_NS1_7vsmem_tE
	.p2align	8
	.type	_ZN7rocprim17ROCPRIM_304000_NS6detail35device_block_merge_mergepath_kernelINS1_37wrapped_merge_sort_block_merge_configINS0_14default_configEdN2at4cuda3cub6detail10OpaqueTypeILi8EEEEEPdSC_PSA_SD_jNS1_19radix_merge_compareILb1ELb0EdNS0_19identity_decomposerEEEEEvT0_T1_T2_T3_T4_SL_jT5_PKSL_NS1_7vsmem_tE,@function
_ZN7rocprim17ROCPRIM_304000_NS6detail35device_block_merge_mergepath_kernelINS1_37wrapped_merge_sort_block_merge_configINS0_14default_configEdN2at4cuda3cub6detail10OpaqueTypeILi8EEEEEPdSC_PSA_SD_jNS1_19radix_merge_compareILb1ELb0EdNS0_19identity_decomposerEEEEEvT0_T1_T2_T3_T4_SL_jT5_PKSL_NS1_7vsmem_tE: ; @_ZN7rocprim17ROCPRIM_304000_NS6detail35device_block_merge_mergepath_kernelINS1_37wrapped_merge_sort_block_merge_configINS0_14default_configEdN2at4cuda3cub6detail10OpaqueTypeILi8EEEEEPdSC_PSA_SD_jNS1_19radix_merge_compareILb1ELb0EdNS0_19identity_decomposerEEEEEvT0_T1_T2_T3_T4_SL_jT5_PKSL_NS1_7vsmem_tE
; %bb.0:
	s_load_dwordx2 s[28:29], s[4:5], 0x40
	s_load_dwordx4 s[16:19], s[4:5], 0x20
	s_add_u32 s26, s4, 64
	s_addc_u32 s27, s5, 0
	s_waitcnt lgkmcnt(0)
	s_mul_i32 s0, s29, s8
	s_add_i32 s0, s0, s7
	s_mul_i32 s0, s0, s28
	s_add_i32 s0, s0, s6
	s_cmp_ge_u32 s0, s18
	s_cbranch_scc1 .LBB143_133
; %bb.1:
	s_load_dwordx8 s[8:15], s[4:5], 0x0
	s_load_dwordx2 s[2:3], s[4:5], 0x30
	s_lshr_b32 s31, s16, 10
	s_cmp_lg_u32 s0, s31
	s_mov_b32 s1, 0
	s_cselect_b64 s[20:21], -1, 0
	s_lshl_b64 s[4:5], s[0:1], 2
	s_waitcnt lgkmcnt(0)
	s_add_u32 s2, s2, s4
	s_addc_u32 s3, s3, s5
	s_load_dwordx2 s[22:23], s[2:3], 0x0
	s_lshr_b32 s2, s17, 9
	s_and_b32 s2, s2, 0x7ffffe
	s_sub_i32 s2, 0, s2
	s_and_b32 s3, s0, s2
	s_lshl_b32 s4, s3, 10
	s_lshl_b32 s18, s0, 10
	;; [unrolled: 1-line block ×3, first 2 shown]
	s_sub_i32 s5, s18, s4
	s_add_i32 s3, s3, s17
	s_add_i32 s5, s3, s5
	s_waitcnt lgkmcnt(0)
	s_sub_i32 s7, s5, s22
	s_sub_i32 s5, s5, s23
	s_sub_i32 s3, s3, s4
	s_min_u32 s24, s16, s7
	s_addk_i32 s5, 0x400
	s_or_b32 s2, s0, s2
	s_min_u32 s4, s16, s3
	s_add_i32 s3, s3, s17
	s_cmp_eq_u32 s2, -1
	s_cselect_b32 s2, s3, s5
	s_cselect_b32 s3, s4, s23
	s_min_u32 s2, s2, s16
	s_mov_b32 s23, s1
	s_sub_i32 s19, s3, s22
	s_sub_i32 s33, s2, s24
	s_lshl_b64 s[2:3], s[22:23], 3
	s_add_u32 s29, s8, s2
	s_mov_b32 s25, s1
	s_addc_u32 s30, s9, s3
	s_lshl_b64 s[4:5], s[24:25], 3
	s_add_u32 s8, s8, s4
	v_mov_b32_e32 v19, 0
	global_load_dword v1, v19, s[26:27] offset:14
	s_addc_u32 s9, s9, s5
	s_cmp_lt_u32 s6, s28
	s_cselect_b32 s1, 12, 18
	s_add_u32 s6, s26, s1
	s_addc_u32 s7, s27, 0
	global_load_ushort v2, v19, s[6:7]
	s_cmp_eq_u32 s0, s31
	v_cmp_gt_u32_e32 vcc, s19, v0
	v_lshlrev_b32_e32 v33, 3, v0
	s_waitcnt vmcnt(1)
	v_lshrrev_b32_e32 v3, 16, v1
	v_and_b32_e32 v1, 0xffff, v1
	v_mul_lo_u32 v1, v1, v3
	s_waitcnt vmcnt(0)
	v_mul_lo_u32 v20, v1, v2
	v_add_u32_e32 v18, v20, v0
	s_cbranch_scc1 .LBB143_3
; %bb.2:
	v_mov_b32_e32 v1, s30
	v_add_co_u32_e64 v3, s[0:1], s29, v33
	v_subrev_u32_e32 v2, s19, v0
	v_addc_co_u32_e64 v1, s[0:1], 0, v1, s[0:1]
	v_lshlrev_b32_e32 v2, 3, v2
	v_mov_b32_e32 v4, s9
	v_add_co_u32_e64 v5, s[0:1], s8, v2
	v_addc_co_u32_e64 v2, s[0:1], 0, v4, s[0:1]
	v_cndmask_b32_e32 v2, v2, v1, vcc
	v_cndmask_b32_e32 v1, v5, v3, vcc
	v_lshlrev_b64 v[3:4], 3, v[18:19]
	v_mov_b32_e32 v5, s30
	v_add_co_u32_e32 v6, vcc, s29, v3
	v_addc_co_u32_e32 v5, vcc, v5, v4, vcc
	v_subrev_co_u32_e32 v3, vcc, s19, v18
	v_mov_b32_e32 v4, v19
	v_lshlrev_b64 v[3:4], 3, v[3:4]
	v_mov_b32_e32 v7, s9
	v_add_co_u32_e64 v3, s[0:1], s8, v3
	v_addc_co_u32_e64 v4, s[0:1], v7, v4, s[0:1]
	v_add_u32_e32 v7, v18, v20
	v_mov_b32_e32 v8, v19
	v_cndmask_b32_e32 v4, v4, v5, vcc
	v_cndmask_b32_e32 v3, v3, v6, vcc
	v_lshlrev_b64 v[5:6], 3, v[7:8]
	v_mov_b32_e32 v8, s30
	v_add_co_u32_e32 v9, vcc, s29, v5
	v_addc_co_u32_e32 v8, vcc, v8, v6, vcc
	v_subrev_co_u32_e32 v5, vcc, s19, v7
	v_mov_b32_e32 v6, v19
	v_lshlrev_b64 v[5:6], 3, v[5:6]
	v_mov_b32_e32 v10, s9
	v_add_co_u32_e64 v5, s[0:1], s8, v5
	v_addc_co_u32_e64 v6, s[0:1], v10, v6, s[0:1]
	v_cndmask_b32_e32 v5, v5, v9, vcc
	v_add_u32_e32 v9, v7, v20
	v_mov_b32_e32 v10, v19
	v_cndmask_b32_e32 v6, v6, v8, vcc
	v_lshlrev_b64 v[7:8], 3, v[9:10]
	v_mov_b32_e32 v10, s30
	v_add_co_u32_e32 v11, vcc, s29, v7
	v_addc_co_u32_e32 v10, vcc, v10, v8, vcc
	v_subrev_co_u32_e32 v7, vcc, s19, v9
	v_mov_b32_e32 v8, v19
	v_lshlrev_b64 v[7:8], 3, v[7:8]
	v_mov_b32_e32 v12, s9
	v_add_co_u32_e64 v7, s[0:1], s8, v7
	v_addc_co_u32_e64 v8, s[0:1], v12, v8, s[0:1]
	v_cndmask_b32_e32 v7, v7, v11, vcc
	v_add_u32_e32 v11, v9, v20
	v_mov_b32_e32 v12, v19
	;; [unrolled: 14-line block ×5, first 2 shown]
	v_cndmask_b32_e32 v13, v13, v17, vcc
	v_lshlrev_b64 v[16:17], 3, v[15:16]
	v_mov_b32_e32 v21, s30
	v_add_co_u32_e32 v22, vcc, s29, v16
	v_addc_co_u32_e32 v17, vcc, v21, v17, vcc
	v_subrev_co_u32_e32 v15, vcc, s19, v15
	v_mov_b32_e32 v16, v19
	v_lshlrev_b64 v[15:16], 3, v[15:16]
	v_mov_b32_e32 v19, s9
	v_add_co_u32_e64 v15, s[0:1], s8, v15
	v_addc_co_u32_e64 v16, s[0:1], v19, v16, s[0:1]
	v_cndmask_b32_e32 v16, v16, v17, vcc
	v_cndmask_b32_e32 v15, v15, v22, vcc
	global_load_dwordx2 v[1:2], v[1:2], off
	s_add_i32 s17, s33, s19
	global_load_dwordx2 v[3:4], v[3:4], off
	s_nop 0
	global_load_dwordx2 v[5:6], v[5:6], off
	s_nop 0
	;; [unrolled: 2-line block ×6, first 2 shown]
	global_load_dwordx2 v[15:16], v[15:16], off
	s_cbranch_execz .LBB143_4
	s_branch .LBB143_21
.LBB143_3:
                                        ; implicit-def: $vgpr1_vgpr2_vgpr3_vgpr4_vgpr5_vgpr6_vgpr7_vgpr8_vgpr9_vgpr10_vgpr11_vgpr12_vgpr13_vgpr14_vgpr15_vgpr16
                                        ; implicit-def: $sgpr17
.LBB143_4:
	s_add_i32 s17, s33, s19
	s_waitcnt vmcnt(7)
	v_mov_b32_e32 v1, 0
	v_cmp_gt_u32_e32 vcc, s17, v0
	v_mov_b32_e32 v2, v1
	s_waitcnt vmcnt(6)
	v_mov_b32_e32 v3, v1
	v_mov_b32_e32 v4, v1
	s_waitcnt vmcnt(5)
	v_mov_b32_e32 v5, v1
	;; [unrolled: 3-line block ×7, first 2 shown]
	v_mov_b32_e32 v16, v1
	s_and_saveexec_b64 s[0:1], vcc
	s_cbranch_execz .LBB143_6
; %bb.5:
	v_mov_b32_e32 v2, s30
	v_add_co_u32_e32 v4, vcc, s29, v33
	v_subrev_u32_e32 v3, s19, v0
	v_addc_co_u32_e32 v2, vcc, 0, v2, vcc
	v_lshlrev_b32_e32 v3, 3, v3
	v_mov_b32_e32 v5, s9
	v_add_co_u32_e32 v6, vcc, s8, v3
	v_addc_co_u32_e32 v3, vcc, 0, v5, vcc
	v_cmp_gt_u32_e32 vcc, s19, v0
	v_cndmask_b32_e32 v3, v3, v2, vcc
	v_cndmask_b32_e32 v2, v6, v4, vcc
	global_load_dwordx2 v[2:3], v[2:3], off
	v_mov_b32_e32 v4, v1
	v_mov_b32_e32 v5, v1
	;; [unrolled: 1-line block ×14, first 2 shown]
	s_waitcnt vmcnt(0)
	v_mov_b32_e32 v1, v2
	v_mov_b32_e32 v2, v3
	;; [unrolled: 1-line block ×16, first 2 shown]
.LBB143_6:
	s_or_b64 exec, exec, s[0:1]
	v_cmp_gt_u32_e32 vcc, s17, v18
	s_and_saveexec_b64 s[6:7], vcc
	s_cbranch_execz .LBB143_8
; %bb.7:
	v_mov_b32_e32 v19, 0
	v_lshlrev_b64 v[3:4], 3, v[18:19]
	v_mov_b32_e32 v17, s30
	v_add_co_u32_e32 v21, vcc, s29, v3
	v_addc_co_u32_e32 v17, vcc, v17, v4, vcc
	v_subrev_co_u32_e32 v3, vcc, s19, v18
	v_mov_b32_e32 v4, v19
	v_lshlrev_b64 v[3:4], 3, v[3:4]
	v_mov_b32_e32 v19, s9
	v_add_co_u32_e64 v3, s[0:1], s8, v3
	v_addc_co_u32_e64 v4, s[0:1], v19, v4, s[0:1]
	v_cndmask_b32_e32 v4, v4, v17, vcc
	v_cndmask_b32_e32 v3, v3, v21, vcc
	global_load_dwordx2 v[3:4], v[3:4], off
.LBB143_8:
	s_or_b64 exec, exec, s[6:7]
	v_add_u32_e32 v17, v18, v20
	v_cmp_gt_u32_e32 vcc, s17, v17
	s_and_saveexec_b64 s[6:7], vcc
	s_cbranch_execz .LBB143_10
; %bb.9:
	v_mov_b32_e32 v18, 0
	v_lshlrev_b64 v[5:6], 3, v[17:18]
	v_mov_b32_e32 v19, s30
	v_add_co_u32_e32 v21, vcc, s29, v5
	v_addc_co_u32_e32 v19, vcc, v19, v6, vcc
	v_subrev_co_u32_e32 v5, vcc, s19, v17
	v_mov_b32_e32 v6, v18
	v_lshlrev_b64 v[5:6], 3, v[5:6]
	v_mov_b32_e32 v18, s9
	v_add_co_u32_e64 v5, s[0:1], s8, v5
	v_addc_co_u32_e64 v6, s[0:1], v18, v6, s[0:1]
	v_cndmask_b32_e32 v6, v6, v19, vcc
	v_cndmask_b32_e32 v5, v5, v21, vcc
	global_load_dwordx2 v[5:6], v[5:6], off
.LBB143_10:
	s_or_b64 exec, exec, s[6:7]
	v_add_u32_e32 v17, v17, v20
	;; [unrolled: 21-line block ×6, first 2 shown]
	v_cmp_gt_u32_e32 vcc, s17, v17
	s_and_saveexec_b64 s[6:7], vcc
	s_cbranch_execz .LBB143_20
; %bb.19:
	v_mov_b32_e32 v18, 0
	v_lshlrev_b64 v[15:16], 3, v[17:18]
	v_mov_b32_e32 v19, s30
	v_add_co_u32_e32 v20, vcc, s29, v15
	v_addc_co_u32_e32 v19, vcc, v19, v16, vcc
	v_subrev_co_u32_e32 v17, vcc, s19, v17
	v_lshlrev_b64 v[15:16], 3, v[17:18]
	v_mov_b32_e32 v17, s9
	v_add_co_u32_e64 v15, s[0:1], s8, v15
	v_addc_co_u32_e64 v16, s[0:1], v17, v16, s[0:1]
	v_cndmask_b32_e32 v16, v16, v19, vcc
	v_cndmask_b32_e32 v15, v15, v20, vcc
	global_load_dwordx2 v[15:16], v[15:16], off
.LBB143_20:
	s_or_b64 exec, exec, s[6:7]
.LBB143_21:
	v_min_u32_e32 v18, s17, v33
	v_sub_u32_e64 v17, v18, s33 clamp
	v_min_u32_e32 v19, s19, v18
	v_cmp_lt_u32_e32 vcc, v17, v19
	s_waitcnt vmcnt(0)
	ds_write2st64_b64 v33, v[1:2], v[3:4] offset1:2
	ds_write2st64_b64 v33, v[5:6], v[7:8] offset0:4 offset1:6
	ds_write2st64_b64 v33, v[9:10], v[11:12] offset0:8 offset1:10
	;; [unrolled: 1-line block ×3, first 2 shown]
	s_waitcnt lgkmcnt(0)
	s_barrier
	s_and_saveexec_b64 s[6:7], vcc
	s_cbranch_execz .LBB143_25
; %bb.22:
	v_lshlrev_b32_e32 v20, 3, v18
	s_mov_b32 s26, 0
	v_lshl_add_u32 v20, s19, 3, v20
	s_mov_b64 s[8:9], 0
	s_brev_b32 s27, 1
	v_bfrev_b32_e32 v21, 1
.LBB143_23:                             ; =>This Inner Loop Header: Depth=1
	v_add_u32_e32 v22, v19, v17
	v_lshrrev_b32_e32 v26, 1, v22
	v_lshlrev_b32_e32 v22, 3, v26
	v_not_b32_e32 v24, v26
	ds_read_b64 v[22:23], v22
	v_lshl_add_u32 v24, v24, 3, v20
	ds_read_b64 v[24:25], v24
	v_add_u32_e32 v27, 1, v26
	s_waitcnt lgkmcnt(1)
	v_cmp_ne_u64_e32 vcc, s[26:27], v[22:23]
	v_cndmask_b32_e32 v23, 0, v23, vcc
	s_waitcnt lgkmcnt(0)
	v_cmp_ne_u64_e64 s[0:1], s[26:27], v[24:25]
	v_cndmask_b32_e32 v22, 0, v22, vcc
	v_cmp_lt_i64_e32 vcc, -1, v[22:23]
	v_cndmask_b32_e64 v25, 0, v25, s[0:1]
	v_cndmask_b32_e64 v24, 0, v24, s[0:1]
	v_cndmask_b32_e32 v30, -1, v21, vcc
	v_cmp_lt_i64_e32 vcc, -1, v[24:25]
	v_ashrrev_i32_e32 v28, 31, v23
	v_ashrrev_i32_e32 v29, 31, v25
	v_xor_b32_e32 v22, v28, v22
	v_cndmask_b32_e32 v28, -1, v21, vcc
	v_xor_b32_e32 v24, v29, v24
	v_xor_b32_e32 v23, v30, v23
	;; [unrolled: 1-line block ×3, first 2 shown]
	v_cmp_gt_u64_e32 vcc, v[24:25], v[22:23]
	v_cndmask_b32_e32 v19, v19, v26, vcc
	v_cndmask_b32_e32 v17, v27, v17, vcc
	v_cmp_ge_u32_e32 vcc, v17, v19
	s_or_b64 s[8:9], vcc, s[8:9]
	s_andn2_b64 exec, exec, s[8:9]
	s_cbranch_execnz .LBB143_23
; %bb.24:
	s_or_b64 exec, exec, s[8:9]
.LBB143_25:
	s_or_b64 exec, exec, s[6:7]
	v_sub_u32_e32 v18, v18, v17
	v_add_u32_e32 v18, s19, v18
	v_cmp_ge_u32_e32 vcc, s19, v17
	v_cmp_ge_u32_e64 s[0:1], s17, v18
	s_or_b64 s[0:1], vcc, s[0:1]
	v_mov_b32_e32 v34, 0
	v_mov_b32_e32 v35, 0
	;; [unrolled: 1-line block ×8, first 2 shown]
	s_and_saveexec_b64 s[6:7], s[0:1]
	s_cbranch_execz .LBB143_61
; %bb.26:
	v_cmp_le_u32_e32 vcc, s19, v17
	v_cmp_gt_u32_e64 s[0:1], s19, v17
                                        ; implicit-def: $vgpr1_vgpr2
	s_and_saveexec_b64 s[8:9], s[0:1]
; %bb.27:
	v_lshlrev_b32_e32 v1, 3, v17
	ds_read_b64 v[1:2], v1
; %bb.28:
	s_or_b64 exec, exec, s[8:9]
	v_cmp_le_u32_e64 s[8:9], s17, v18
	v_cmp_gt_u32_e64 s[0:1], s17, v18
                                        ; implicit-def: $vgpr3_vgpr4
	s_and_saveexec_b64 s[26:27], s[0:1]
; %bb.29:
	v_lshlrev_b32_e32 v3, 3, v18
	ds_read_b64 v[3:4], v3
; %bb.30:
	s_or_b64 exec, exec, s[26:27]
	s_nor_b64 s[26:27], vcc, s[8:9]
	s_and_saveexec_b64 s[0:1], s[26:27]
	s_cbranch_execz .LBB143_32
; %bb.31:
	s_mov_b32 s26, 0
	s_brev_b32 s27, 1
	s_waitcnt lgkmcnt(0)
	v_cmp_ne_u64_e32 vcc, s[26:27], v[3:4]
	v_bfrev_b32_e32 v9, 1
	v_cndmask_b32_e32 v6, 0, v4, vcc
	v_cndmask_b32_e32 v5, 0, v3, vcc
	v_cmp_ne_u64_e32 vcc, s[26:27], v[1:2]
	v_ashrrev_i32_e32 v11, 31, v6
	v_cndmask_b32_e32 v8, 0, v2, vcc
	v_cndmask_b32_e32 v7, 0, v1, vcc
	v_cmp_lt_i64_e32 vcc, -1, v[5:6]
	v_xor_b32_e32 v5, v11, v5
	v_cndmask_b32_e32 v10, -1, v9, vcc
	v_cmp_lt_i64_e32 vcc, -1, v[7:8]
	v_xor_b32_e32 v6, v10, v6
	v_cndmask_b32_e32 v9, -1, v9, vcc
	v_ashrrev_i32_e32 v10, 31, v8
	v_xor_b32_e32 v8, v9, v8
	v_xor_b32_e32 v7, v10, v7
	v_cmp_le_u64_e32 vcc, v[5:6], v[7:8]
	s_andn2_b64 s[8:9], s[8:9], exec
	s_and_b64 s[26:27], vcc, exec
	s_or_b64 s[8:9], s[8:9], s[26:27]
.LBB143_32:
	s_or_b64 exec, exec, s[0:1]
	v_mov_b32_e32 v5, s17
	v_mov_b32_e32 v6, s19
	v_cndmask_b32_e64 v34, v18, v17, s[8:9]
	v_cndmask_b32_e64 v5, v5, v6, s[8:9]
	v_add_u32_e32 v9, 1, v34
	v_add_u32_e32 v5, -1, v5
	v_min_u32_e32 v5, v9, v5
	v_lshlrev_b32_e32 v5, 3, v5
	ds_read_b64 v[7:8], v5
	v_cndmask_b32_e64 v13, v9, v18, s[8:9]
	v_cndmask_b32_e64 v14, v17, v9, s[8:9]
	v_cmp_gt_u32_e32 vcc, s17, v13
	s_mov_b64 s[0:1], -1
	s_waitcnt lgkmcnt(0)
	v_cndmask_b32_e64 v6, v8, v4, s[8:9]
	v_cndmask_b32_e64 v5, v7, v3, s[8:9]
	;; [unrolled: 1-line block ×4, first 2 shown]
	s_mov_b64 s[26:27], -1
	s_and_saveexec_b64 s[28:29], vcc
	s_cbranch_execz .LBB143_36
; %bb.33:
	v_cmp_gt_u32_e32 vcc, s19, v14
	s_mov_b64 s[30:31], 0
	s_and_saveexec_b64 s[26:27], vcc
	s_cbranch_execz .LBB143_35
; %bb.34:
	s_mov_b32 s30, 0
	s_brev_b32 s31, 1
	v_cmp_ne_u64_e32 vcc, s[30:31], v[5:6]
	v_bfrev_b32_e32 v15, 1
	v_cndmask_b32_e32 v10, 0, v6, vcc
	v_cndmask_b32_e32 v9, 0, v5, vcc
	v_cmp_ne_u64_e32 vcc, s[30:31], v[7:8]
	v_ashrrev_i32_e32 v17, 31, v10
	v_cndmask_b32_e32 v12, 0, v8, vcc
	v_cndmask_b32_e32 v11, 0, v7, vcc
	v_cmp_lt_i64_e32 vcc, -1, v[9:10]
	v_xor_b32_e32 v9, v17, v9
	v_cndmask_b32_e32 v16, -1, v15, vcc
	v_cmp_lt_i64_e32 vcc, -1, v[11:12]
	v_xor_b32_e32 v10, v16, v10
	v_cndmask_b32_e32 v15, -1, v15, vcc
	v_ashrrev_i32_e32 v16, 31, v12
	v_xor_b32_e32 v12, v15, v12
	v_xor_b32_e32 v11, v16, v11
	v_cmp_le_u64_e32 vcc, v[9:10], v[11:12]
	s_and_b64 s[30:31], vcc, exec
.LBB143_35:
	s_or_b64 exec, exec, s[26:27]
	s_orn2_b64 s[26:27], s[30:31], exec
.LBB143_36:
	s_or_b64 exec, exec, s[28:29]
	v_mov_b32_e32 v9, s17
	v_mov_b32_e32 v10, s19
	v_cndmask_b32_e64 v35, v13, v14, s[26:27]
	v_cndmask_b32_e64 v9, v9, v10, s[26:27]
	v_add_u32_e32 v15, 1, v35
	v_add_u32_e32 v9, -1, v9
	v_min_u32_e32 v9, v15, v9
	v_lshlrev_b32_e32 v9, 3, v9
	ds_read_b64 v[11:12], v9
	v_cndmask_b32_e64 v17, v15, v13, s[26:27]
	v_cndmask_b32_e64 v18, v14, v15, s[26:27]
	v_cmp_gt_u32_e32 vcc, s17, v17
	s_waitcnt lgkmcnt(0)
	v_cndmask_b32_e64 v10, v12, v6, s[26:27]
	v_cndmask_b32_e64 v9, v11, v5, s[26:27]
	;; [unrolled: 1-line block ×4, first 2 shown]
	s_and_saveexec_b64 s[28:29], vcc
	s_cbranch_execz .LBB143_40
; %bb.37:
	v_cmp_gt_u32_e32 vcc, s19, v18
	s_mov_b64 s[30:31], 0
	s_and_saveexec_b64 s[0:1], vcc
	s_cbranch_execz .LBB143_39
; %bb.38:
	s_mov_b32 s30, 0
	s_brev_b32 s31, 1
	v_cmp_ne_u64_e32 vcc, s[30:31], v[9:10]
	v_bfrev_b32_e32 v19, 1
	v_cndmask_b32_e32 v14, 0, v10, vcc
	v_cndmask_b32_e32 v13, 0, v9, vcc
	v_cmp_ne_u64_e32 vcc, s[30:31], v[11:12]
	v_ashrrev_i32_e32 v21, 31, v14
	v_cndmask_b32_e32 v16, 0, v12, vcc
	v_cndmask_b32_e32 v15, 0, v11, vcc
	v_cmp_lt_i64_e32 vcc, -1, v[13:14]
	v_xor_b32_e32 v13, v21, v13
	v_cndmask_b32_e32 v20, -1, v19, vcc
	v_cmp_lt_i64_e32 vcc, -1, v[15:16]
	v_xor_b32_e32 v14, v20, v14
	v_cndmask_b32_e32 v19, -1, v19, vcc
	v_ashrrev_i32_e32 v20, 31, v16
	v_xor_b32_e32 v16, v19, v16
	v_xor_b32_e32 v15, v20, v15
	v_cmp_le_u64_e32 vcc, v[13:14], v[15:16]
	s_and_b64 s[30:31], vcc, exec
.LBB143_39:
	s_or_b64 exec, exec, s[0:1]
	s_orn2_b64 s[0:1], s[30:31], exec
.LBB143_40:
	s_or_b64 exec, exec, s[28:29]
	v_mov_b32_e32 v13, s17
	v_mov_b32_e32 v14, s19
	v_cndmask_b32_e64 v36, v17, v18, s[0:1]
	v_cndmask_b32_e64 v13, v13, v14, s[0:1]
	v_add_u32_e32 v19, 1, v36
	v_add_u32_e32 v13, -1, v13
	v_min_u32_e32 v13, v19, v13
	v_lshlrev_b32_e32 v13, 3, v13
	ds_read_b64 v[15:16], v13
	v_cndmask_b32_e64 v21, v19, v17, s[0:1]
	v_cndmask_b32_e64 v22, v18, v19, s[0:1]
	v_cmp_gt_u32_e32 vcc, s17, v21
	s_mov_b64 s[28:29], -1
	s_waitcnt lgkmcnt(0)
	v_cndmask_b32_e64 v14, v16, v10, s[0:1]
	v_cndmask_b32_e64 v13, v15, v9, s[0:1]
	;; [unrolled: 1-line block ×4, first 2 shown]
	s_mov_b64 s[30:31], -1
	s_and_saveexec_b64 s[34:35], vcc
	s_cbranch_execz .LBB143_44
; %bb.41:
	v_cmp_gt_u32_e32 vcc, s19, v22
	s_mov_b64 s[36:37], 0
	s_and_saveexec_b64 s[30:31], vcc
	s_cbranch_execz .LBB143_43
; %bb.42:
	s_mov_b32 s36, 0
	s_brev_b32 s37, 1
	v_cmp_ne_u64_e32 vcc, s[36:37], v[13:14]
	v_bfrev_b32_e32 v23, 1
	v_cndmask_b32_e32 v18, 0, v14, vcc
	v_cndmask_b32_e32 v17, 0, v13, vcc
	v_cmp_ne_u64_e32 vcc, s[36:37], v[15:16]
	v_ashrrev_i32_e32 v25, 31, v18
	v_cndmask_b32_e32 v20, 0, v16, vcc
	v_cndmask_b32_e32 v19, 0, v15, vcc
	v_cmp_lt_i64_e32 vcc, -1, v[17:18]
	v_xor_b32_e32 v17, v25, v17
	v_cndmask_b32_e32 v24, -1, v23, vcc
	v_cmp_lt_i64_e32 vcc, -1, v[19:20]
	v_xor_b32_e32 v18, v24, v18
	v_cndmask_b32_e32 v23, -1, v23, vcc
	v_ashrrev_i32_e32 v24, 31, v20
	v_xor_b32_e32 v20, v23, v20
	v_xor_b32_e32 v19, v24, v19
	v_cmp_le_u64_e32 vcc, v[17:18], v[19:20]
	s_and_b64 s[36:37], vcc, exec
.LBB143_43:
	s_or_b64 exec, exec, s[30:31]
	s_orn2_b64 s[30:31], s[36:37], exec
.LBB143_44:
	s_or_b64 exec, exec, s[34:35]
	v_mov_b32_e32 v17, s17
	v_mov_b32_e32 v18, s19
	v_cndmask_b32_e64 v37, v21, v22, s[30:31]
	v_cndmask_b32_e64 v17, v17, v18, s[30:31]
	v_add_u32_e32 v23, 1, v37
	v_add_u32_e32 v17, -1, v17
	v_min_u32_e32 v17, v23, v17
	v_lshlrev_b32_e32 v17, 3, v17
	ds_read_b64 v[19:20], v17
	v_cndmask_b32_e64 v25, v23, v21, s[30:31]
	v_cndmask_b32_e64 v26, v22, v23, s[30:31]
	v_cmp_gt_u32_e32 vcc, s17, v25
	s_waitcnt lgkmcnt(0)
	v_cndmask_b32_e64 v18, v20, v14, s[30:31]
	v_cndmask_b32_e64 v17, v19, v13, s[30:31]
	;; [unrolled: 1-line block ×4, first 2 shown]
	s_and_saveexec_b64 s[34:35], vcc
	s_cbranch_execz .LBB143_48
; %bb.45:
	v_cmp_gt_u32_e32 vcc, s19, v26
	s_mov_b64 s[36:37], 0
	s_and_saveexec_b64 s[28:29], vcc
	s_cbranch_execz .LBB143_47
; %bb.46:
	s_mov_b32 s36, 0
	s_brev_b32 s37, 1
	v_cmp_ne_u64_e32 vcc, s[36:37], v[17:18]
	v_bfrev_b32_e32 v27, 1
	v_cndmask_b32_e32 v22, 0, v18, vcc
	v_cndmask_b32_e32 v21, 0, v17, vcc
	v_cmp_ne_u64_e32 vcc, s[36:37], v[19:20]
	v_ashrrev_i32_e32 v29, 31, v22
	v_cndmask_b32_e32 v24, 0, v20, vcc
	v_cndmask_b32_e32 v23, 0, v19, vcc
	v_cmp_lt_i64_e32 vcc, -1, v[21:22]
	v_xor_b32_e32 v21, v29, v21
	v_cndmask_b32_e32 v28, -1, v27, vcc
	v_cmp_lt_i64_e32 vcc, -1, v[23:24]
	v_xor_b32_e32 v22, v28, v22
	v_cndmask_b32_e32 v27, -1, v27, vcc
	v_ashrrev_i32_e32 v28, 31, v24
	v_xor_b32_e32 v24, v27, v24
	v_xor_b32_e32 v23, v28, v23
	v_cmp_le_u64_e32 vcc, v[21:22], v[23:24]
	s_and_b64 s[36:37], vcc, exec
.LBB143_47:
	s_or_b64 exec, exec, s[28:29]
	s_orn2_b64 s[28:29], s[36:37], exec
.LBB143_48:
	s_or_b64 exec, exec, s[34:35]
	v_mov_b32_e32 v21, s17
	v_mov_b32_e32 v22, s19
	v_cndmask_b32_e64 v38, v25, v26, s[28:29]
	v_cndmask_b32_e64 v21, v21, v22, s[28:29]
	v_add_u32_e32 v27, 1, v38
	v_add_u32_e32 v21, -1, v21
	v_min_u32_e32 v21, v27, v21
	v_lshlrev_b32_e32 v21, 3, v21
	ds_read_b64 v[23:24], v21
	v_cndmask_b32_e64 v29, v27, v25, s[28:29]
	v_cndmask_b32_e64 v30, v26, v27, s[28:29]
	v_cmp_gt_u32_e32 vcc, s17, v29
	s_mov_b64 s[34:35], -1
	s_waitcnt lgkmcnt(0)
	v_cndmask_b32_e64 v22, v24, v18, s[28:29]
	v_cndmask_b32_e64 v21, v23, v17, s[28:29]
	;; [unrolled: 1-line block ×4, first 2 shown]
	s_mov_b64 s[36:37], -1
	s_and_saveexec_b64 s[38:39], vcc
	s_cbranch_execz .LBB143_52
; %bb.49:
	v_cmp_gt_u32_e32 vcc, s19, v30
	s_mov_b64 s[40:41], 0
	s_and_saveexec_b64 s[36:37], vcc
	s_cbranch_execz .LBB143_51
; %bb.50:
	s_mov_b32 s40, 0
	s_brev_b32 s41, 1
	v_cmp_ne_u64_e32 vcc, s[40:41], v[21:22]
	v_bfrev_b32_e32 v31, 1
	v_cndmask_b32_e32 v26, 0, v22, vcc
	v_cndmask_b32_e32 v25, 0, v21, vcc
	v_cmp_ne_u64_e32 vcc, s[40:41], v[23:24]
	v_ashrrev_i32_e32 v39, 31, v26
	v_cndmask_b32_e32 v28, 0, v24, vcc
	v_cndmask_b32_e32 v27, 0, v23, vcc
	v_cmp_lt_i64_e32 vcc, -1, v[25:26]
	v_xor_b32_e32 v25, v39, v25
	v_cndmask_b32_e32 v32, -1, v31, vcc
	v_cmp_lt_i64_e32 vcc, -1, v[27:28]
	v_xor_b32_e32 v26, v32, v26
	v_cndmask_b32_e32 v31, -1, v31, vcc
	v_ashrrev_i32_e32 v32, 31, v28
	v_xor_b32_e32 v28, v31, v28
	v_xor_b32_e32 v27, v32, v27
	v_cmp_le_u64_e32 vcc, v[25:26], v[27:28]
	s_and_b64 s[40:41], vcc, exec
.LBB143_51:
	s_or_b64 exec, exec, s[36:37]
	s_orn2_b64 s[36:37], s[40:41], exec
.LBB143_52:
	s_or_b64 exec, exec, s[38:39]
	v_mov_b32_e32 v25, s17
	v_mov_b32_e32 v26, s19
	v_cndmask_b32_e64 v39, v29, v30, s[36:37]
	v_cndmask_b32_e64 v25, v25, v26, s[36:37]
	v_add_u32_e32 v31, 1, v39
	v_add_u32_e32 v25, -1, v25
	v_min_u32_e32 v25, v31, v25
	v_lshlrev_b32_e32 v25, 3, v25
	ds_read_b64 v[27:28], v25
	v_cndmask_b32_e64 v41, v31, v29, s[36:37]
	v_cndmask_b32_e64 v42, v30, v31, s[36:37]
	v_cmp_gt_u32_e32 vcc, s17, v41
	s_waitcnt lgkmcnt(0)
	v_cndmask_b32_e64 v26, v28, v22, s[36:37]
	v_cndmask_b32_e64 v25, v27, v21, s[36:37]
	;; [unrolled: 1-line block ×4, first 2 shown]
	s_and_saveexec_b64 s[38:39], vcc
	s_cbranch_execz .LBB143_56
; %bb.53:
	v_cmp_gt_u32_e32 vcc, s19, v42
	s_mov_b64 s[40:41], 0
	s_and_saveexec_b64 s[34:35], vcc
	s_cbranch_execz .LBB143_55
; %bb.54:
	s_mov_b32 s40, 0
	s_brev_b32 s41, 1
	v_cmp_ne_u64_e32 vcc, s[40:41], v[25:26]
	v_bfrev_b32_e32 v40, 1
	v_cndmask_b32_e32 v30, 0, v26, vcc
	v_cndmask_b32_e32 v29, 0, v25, vcc
	v_cmp_ne_u64_e32 vcc, s[40:41], v[27:28]
	v_ashrrev_i32_e32 v44, 31, v30
	v_cndmask_b32_e32 v32, 0, v28, vcc
	v_cndmask_b32_e32 v31, 0, v27, vcc
	v_cmp_lt_i64_e32 vcc, -1, v[29:30]
	v_xor_b32_e32 v29, v44, v29
	v_cndmask_b32_e32 v43, -1, v40, vcc
	v_cmp_lt_i64_e32 vcc, -1, v[31:32]
	v_xor_b32_e32 v30, v43, v30
	v_cndmask_b32_e32 v40, -1, v40, vcc
	v_ashrrev_i32_e32 v43, 31, v32
	v_xor_b32_e32 v32, v40, v32
	v_xor_b32_e32 v31, v43, v31
	v_cmp_le_u64_e32 vcc, v[29:30], v[31:32]
	s_and_b64 s[40:41], vcc, exec
.LBB143_55:
	s_or_b64 exec, exec, s[34:35]
	s_orn2_b64 s[34:35], s[40:41], exec
.LBB143_56:
	s_or_b64 exec, exec, s[38:39]
	v_mov_b32_e32 v29, s17
	v_mov_b32_e32 v30, s19
	v_cndmask_b32_e64 v40, v41, v42, s[34:35]
	v_cndmask_b32_e64 v29, v29, v30, s[34:35]
	v_add_u32_e32 v43, 1, v40
	v_add_u32_e32 v29, -1, v29
	v_min_u32_e32 v29, v43, v29
	v_lshlrev_b32_e32 v29, 3, v29
	ds_read_b64 v[31:32], v29
	v_cndmask_b32_e64 v41, v43, v41, s[34:35]
	v_cndmask_b32_e64 v42, v42, v43, s[34:35]
	v_cmp_gt_u32_e32 vcc, s17, v41
	s_mov_b64 s[40:41], -1
	s_waitcnt lgkmcnt(0)
	v_cndmask_b32_e64 v30, v32, v26, s[34:35]
	v_cndmask_b32_e64 v29, v31, v25, s[34:35]
	;; [unrolled: 1-line block ×4, first 2 shown]
	s_and_saveexec_b64 s[38:39], vcc
	s_cbranch_execz .LBB143_60
; %bb.57:
	v_cmp_gt_u32_e32 vcc, s19, v42
	s_mov_b64 s[42:43], 0
	s_and_saveexec_b64 s[40:41], vcc
	s_cbranch_execz .LBB143_59
; %bb.58:
	s_mov_b32 s42, 0
	s_brev_b32 s43, 1
	v_cmp_ne_u64_e32 vcc, s[42:43], v[29:30]
	v_bfrev_b32_e32 v47, 1
	v_cndmask_b32_e32 v44, 0, v30, vcc
	v_cndmask_b32_e32 v43, 0, v29, vcc
	v_cmp_ne_u64_e32 vcc, s[42:43], v[31:32]
	v_ashrrev_i32_e32 v49, 31, v44
	v_cndmask_b32_e32 v46, 0, v32, vcc
	v_cndmask_b32_e32 v45, 0, v31, vcc
	v_cmp_lt_i64_e32 vcc, -1, v[43:44]
	v_xor_b32_e32 v43, v49, v43
	v_cndmask_b32_e32 v48, -1, v47, vcc
	v_cmp_lt_i64_e32 vcc, -1, v[45:46]
	v_xor_b32_e32 v44, v48, v44
	v_cndmask_b32_e32 v47, -1, v47, vcc
	v_ashrrev_i32_e32 v48, 31, v46
	v_xor_b32_e32 v46, v47, v46
	v_xor_b32_e32 v45, v48, v45
	v_cmp_le_u64_e32 vcc, v[43:44], v[45:46]
	s_and_b64 s[42:43], vcc, exec
.LBB143_59:
	s_or_b64 exec, exec, s[40:41]
	s_orn2_b64 s[40:41], s[42:43], exec
.LBB143_60:
	s_or_b64 exec, exec, s[38:39]
	v_cndmask_b32_e64 v2, v4, v2, s[8:9]
	v_cndmask_b32_e64 v1, v3, v1, s[8:9]
	;; [unrolled: 1-line block ×17, first 2 shown]
.LBB143_61:
	s_or_b64 exec, exec, s[6:7]
	s_add_u32 s8, s12, s2
	s_addc_u32 s9, s13, s3
	s_add_u32 s6, s12, s4
	v_cndmask_b32_e64 v17, 0, 1, s[20:21]
	s_addc_u32 s7, s13, s5
	v_cmp_gt_u32_e64 s[4:5], s19, v0
	v_cmp_ne_u32_e64 s[0:1], 1, v17
	s_andn2_b64 vcc, exec, s[20:21]
	v_cmp_le_u32_e64 s[2:3], s19, v0
	s_barrier
	s_cbranch_vccnz .LBB143_63
; %bb.62:
	v_subrev_u32_e32 v17, s19, v0
	v_lshlrev_b32_e32 v17, 3, v17
	v_mov_b32_e32 v18, s7
	v_add_co_u32_e32 v17, vcc, s6, v17
	v_addc_co_u32_e32 v18, vcc, 0, v18, vcc
	v_mov_b32_e32 v19, s9
	v_add_co_u32_e32 v20, vcc, s8, v33
	v_addc_co_u32_e32 v19, vcc, 0, v19, vcc
	v_cndmask_b32_e64 v18, v18, v19, s[4:5]
	v_or_b32_e32 v19, 0x80, v0
	v_cndmask_b32_e64 v17, v17, v20, s[4:5]
	v_subrev_u32_e32 v20, s19, v19
	v_min_u32_e32 v20, v19, v20
	v_cmp_gt_u32_e32 vcc, s19, v19
	v_mov_b32_e32 v42, s6
	v_mov_b32_e32 v43, s8
	;; [unrolled: 1-line block ×4, first 2 shown]
	v_cndmask_b32_e32 v19, v42, v43, vcc
	v_lshlrev_b32_e32 v20, 3, v20
	v_cndmask_b32_e32 v22, v32, v41, vcc
	v_add_co_u32_e32 v19, vcc, v19, v20
	v_addc_co_u32_e32 v20, vcc, 0, v22, vcc
	v_or_b32_e32 v22, 0x100, v0
	v_subrev_u32_e32 v23, s19, v22
	v_min_u32_e32 v23, v22, v23
	v_cmp_gt_u32_e32 vcc, s19, v22
	v_cndmask_b32_e32 v22, v42, v43, vcc
	v_lshlrev_b32_e32 v23, 3, v23
	v_cndmask_b32_e32 v24, v32, v41, vcc
	v_add_co_u32_e32 v22, vcc, v22, v23
	v_addc_co_u32_e32 v23, vcc, 0, v24, vcc
	v_or_b32_e32 v24, 0x180, v0
	v_subrev_u32_e32 v25, s19, v24
	v_min_u32_e32 v25, v24, v25
	v_cmp_gt_u32_e32 vcc, s19, v24
	;; [unrolled: 9-line block ×5, first 2 shown]
	global_load_dwordx2 v[17:18], v[17:18], off
	v_cndmask_b32_e32 v30, v42, v43, vcc
	global_load_dwordx2 v[19:20], v[19:20], off
	v_lshlrev_b32_e32 v31, 3, v31
	global_load_dwordx2 v[22:23], v[22:23], off
	v_cndmask_b32_e32 v44, v32, v41, vcc
	global_load_dwordx2 v[24:25], v[24:25], off
	v_add_co_u32_e32 v30, vcc, v30, v31
	global_load_dwordx2 v[26:27], v[26:27], off
	v_addc_co_u32_e32 v31, vcc, 0, v44, vcc
	global_load_dwordx2 v[28:29], v[28:29], off
	s_nop 0
	global_load_dwordx2 v[30:31], v[30:31], off
	s_mov_b64 s[4:5], -1
	s_waitcnt vmcnt(5)
	ds_write2st64_b64 v33, v[17:18], v[19:20] offset1:2
	s_waitcnt vmcnt(3)
	ds_write2st64_b64 v33, v[22:23], v[24:25] offset0:4 offset1:6
	s_waitcnt vmcnt(1)
	ds_write2st64_b64 v33, v[26:27], v[28:29] offset0:8 offset1:10
	s_waitcnt vmcnt(0)
	ds_write_b64 v33, v[30:31] offset:6144
	v_or_b32_e32 v22, 0x380, v0
	v_subrev_u32_e32 v17, s19, v22
	v_cmp_gt_u32_e32 vcc, s19, v22
	v_min_u32_e32 v19, v22, v17
	v_cndmask_b32_e32 v18, v32, v41, vcc
	v_cndmask_b32_e32 v17, v42, v43, vcc
	s_cbranch_execz .LBB143_64
	s_branch .LBB143_95
.LBB143_63:
	s_mov_b64 s[4:5], 0
                                        ; implicit-def: $vgpr22
                                        ; implicit-def: $vgpr17_vgpr18
                                        ; implicit-def: $vgpr19
.LBB143_64:
	s_mov_b64 s[4:5], 0
                                        ; implicit-def: $vgpr17_vgpr18
	s_and_saveexec_b64 s[26:27], s[2:3]
	s_xor_b64 s[2:3], exec, s[26:27]
	s_cbranch_execnz .LBB143_134
; %bb.65:
	s_andn2_saveexec_b64 s[2:3], s[2:3]
	s_cbranch_execnz .LBB143_137
.LBB143_66:
	s_or_b64 exec, exec, s[2:3]
	s_and_saveexec_b64 s[2:3], s[4:5]
	s_cbranch_execz .LBB143_68
.LBB143_67:
	global_load_dwordx2 v[17:18], v[17:18], off
	s_waitcnt vmcnt(0)
	ds_write_b64 v33, v[17:18]
.LBB143_68:
	s_or_b64 exec, exec, s[2:3]
	v_or_b32_e32 v19, 0x80, v0
	v_mov_b32_e32 v17, s22
	v_cmp_le_u32_e32 vcc, s19, v19
	s_mov_b64 s[2:3], -1
	v_mov_b32_e32 v18, s23
	s_and_saveexec_b64 s[4:5], vcc
; %bb.69:
	v_subrev_u32_e32 v19, s19, v19
	v_cmp_gt_u32_e32 vcc, s33, v19
	v_mov_b32_e32 v17, s24
	v_mov_b32_e32 v18, s25
	s_orn2_b64 s[2:3], vcc, exec
; %bb.70:
	s_or_b64 exec, exec, s[4:5]
	s_and_saveexec_b64 s[4:5], s[2:3]
	s_cbranch_execz .LBB143_72
; %bb.71:
	v_lshlrev_b64 v[17:18], 3, v[17:18]
	v_mov_b32_e32 v20, s13
	v_add_co_u32_e32 v17, vcc, s12, v17
	v_addc_co_u32_e32 v18, vcc, v20, v18, vcc
	v_lshlrev_b32_e32 v19, 3, v19
	v_add_co_u32_e32 v17, vcc, v17, v19
	v_addc_co_u32_e32 v18, vcc, 0, v18, vcc
	global_load_dwordx2 v[17:18], v[17:18], off
	s_waitcnt vmcnt(0)
	ds_write_b64 v33, v[17:18] offset:1024
.LBB143_72:
	s_or_b64 exec, exec, s[4:5]
	v_or_b32_e32 v19, 0x100, v0
	v_mov_b32_e32 v17, s22
	v_cmp_le_u32_e32 vcc, s19, v19
	s_mov_b64 s[2:3], -1
	v_mov_b32_e32 v18, s23
	s_and_saveexec_b64 s[4:5], vcc
; %bb.73:
	v_subrev_u32_e32 v19, s19, v19
	v_cmp_gt_u32_e32 vcc, s33, v19
	v_mov_b32_e32 v17, s24
	v_mov_b32_e32 v18, s25
	s_orn2_b64 s[2:3], vcc, exec
; %bb.74:
	s_or_b64 exec, exec, s[4:5]
	s_and_saveexec_b64 s[4:5], s[2:3]
	s_cbranch_execz .LBB143_76
; %bb.75:
	v_lshlrev_b64 v[17:18], 3, v[17:18]
	v_mov_b32_e32 v20, s13
	v_add_co_u32_e32 v17, vcc, s12, v17
	v_addc_co_u32_e32 v18, vcc, v20, v18, vcc
	v_lshlrev_b32_e32 v19, 3, v19
	v_add_co_u32_e32 v17, vcc, v17, v19
	v_addc_co_u32_e32 v18, vcc, 0, v18, vcc
	global_load_dwordx2 v[17:18], v[17:18], off
	s_waitcnt vmcnt(0)
	ds_write_b64 v33, v[17:18] offset:2048
.LBB143_76:
	;; [unrolled: 29-line block ×6, first 2 shown]
	s_or_b64 exec, exec, s[4:5]
	v_or_b32_e32 v22, 0x380, v0
	v_mov_b32_e32 v18, s9
	v_cmp_le_u32_e32 vcc, s19, v22
	s_mov_b64 s[4:5], -1
	v_mov_b32_e32 v17, s8
	v_mov_b32_e32 v19, v22
	s_and_saveexec_b64 s[2:3], vcc
; %bb.93:
	v_subrev_u32_e32 v19, s19, v22
	v_cmp_gt_u32_e32 vcc, s33, v19
	v_mov_b32_e32 v18, s7
	v_mov_b32_e32 v17, s6
	s_orn2_b64 s[4:5], vcc, exec
; %bb.94:
	s_or_b64 exec, exec, s[2:3]
.LBB143_95:
	s_and_saveexec_b64 s[2:3], s[4:5]
	s_cbranch_execz .LBB143_97
; %bb.96:
	v_mov_b32_e32 v20, 0
	v_lshlrev_b64 v[19:20], 3, v[19:20]
	v_add_co_u32_e32 v17, vcc, v17, v19
	v_addc_co_u32_e32 v18, vcc, v18, v20, vcc
	global_load_dwordx2 v[17:18], v[17:18], off
	v_lshlrev_b32_e32 v19, 3, v22
	s_waitcnt vmcnt(0)
	ds_write_b64 v19, v[17:18]
.LBB143_97:
	s_or_b64 exec, exec, s[2:3]
	s_and_b64 vcc, exec, s[0:1]
	v_add_u32_e32 v17, s18, v33
	s_waitcnt lgkmcnt(0)
	s_barrier
	s_cbranch_vccnz .LBB143_99
; %bb.98:
	v_lshlrev_b32_e32 v22, 3, v34
	v_lshlrev_b32_e32 v24, 3, v35
	;; [unrolled: 1-line block ×6, first 2 shown]
	v_mov_b32_e32 v18, 0
	ds_read_b64 v[22:23], v22
	ds_read_b64 v[24:25], v24
	;; [unrolled: 1-line block ×4, first 2 shown]
	v_lshlrev_b32_e32 v45, 3, v40
	ds_read_b64 v[41:42], v30
	ds_read_b64 v[43:44], v31
	;; [unrolled: 1-line block ×3, first 2 shown]
	v_lshlrev_b64 v[19:20], 3, v[17:18]
	v_mov_b32_e32 v32, s15
	v_add_co_u32_e32 v19, vcc, s14, v19
	v_addc_co_u32_e32 v20, vcc, v32, v20, vcc
	s_mov_b64 s[0:1], -1
	s_waitcnt lgkmcnt(5)
	global_store_dwordx4 v[19:20], v[22:25], off
	s_waitcnt lgkmcnt(3)
	global_store_dwordx4 v[19:20], v[26:29], off offset:16
	s_waitcnt lgkmcnt(1)
	global_store_dwordx4 v[19:20], v[41:44], off offset:32
	s_waitcnt lgkmcnt(0)
	global_store_dwordx2 v[19:20], v[30:31], off offset:48
	s_cbranch_execz .LBB143_100
	s_branch .LBB143_117
.LBB143_99:
	s_mov_b64 s[0:1], 0
.LBB143_100:
	v_cmp_gt_u32_e32 vcc, s17, v33
	s_and_saveexec_b64 s[2:3], vcc
	s_cbranch_execz .LBB143_102
; %bb.101:
	v_lshlrev_b32_e32 v22, 3, v34
	v_mov_b32_e32 v18, 0
	ds_read_b64 v[22:23], v22
	v_lshlrev_b64 v[18:19], 3, v[17:18]
	v_mov_b32_e32 v20, s15
	v_add_co_u32_e32 v18, vcc, s14, v18
	v_addc_co_u32_e32 v19, vcc, v20, v19, vcc
	s_waitcnt lgkmcnt(0)
	global_store_dwordx2 v[18:19], v[22:23], off
.LBB143_102:
	s_or_b64 exec, exec, s[2:3]
	v_or_b32_e32 v18, 1, v33
	v_cmp_gt_u32_e32 vcc, s17, v18
	s_and_saveexec_b64 s[2:3], vcc
	s_cbranch_execz .LBB143_104
; %bb.103:
	v_lshlrev_b32_e32 v22, 3, v35
	v_mov_b32_e32 v18, 0
	ds_read_b64 v[22:23], v22
	v_lshlrev_b64 v[18:19], 3, v[17:18]
	v_mov_b32_e32 v20, s15
	v_add_co_u32_e32 v18, vcc, s14, v18
	v_addc_co_u32_e32 v19, vcc, v20, v19, vcc
	s_waitcnt lgkmcnt(0)
	global_store_dwordx2 v[18:19], v[22:23], off offset:8
.LBB143_104:
	s_or_b64 exec, exec, s[2:3]
	v_or_b32_e32 v18, 2, v33
	v_cmp_gt_u32_e32 vcc, s17, v18
	s_and_saveexec_b64 s[2:3], vcc
	s_cbranch_execz .LBB143_106
; %bb.105:
	v_lshlrev_b32_e32 v22, 3, v36
	v_mov_b32_e32 v18, 0
	ds_read_b64 v[22:23], v22
	v_lshlrev_b64 v[18:19], 3, v[17:18]
	v_mov_b32_e32 v20, s15
	v_add_co_u32_e32 v18, vcc, s14, v18
	v_addc_co_u32_e32 v19, vcc, v20, v19, vcc
	s_waitcnt lgkmcnt(0)
	global_store_dwordx2 v[18:19], v[22:23], off offset:16
.LBB143_106:
	;; [unrolled: 16-line block ×6, first 2 shown]
	s_or_b64 exec, exec, s[2:3]
	v_or_b32_e32 v18, 7, v33
	v_cmp_gt_u32_e32 vcc, s17, v18
	s_and_saveexec_b64 s[2:3], vcc
; %bb.115:
	v_mov_b32_e32 v18, 0
	s_or_b64 s[0:1], s[0:1], exec
; %bb.116:
	s_or_b64 exec, exec, s[2:3]
.LBB143_117:
	s_and_saveexec_b64 s[2:3], s[0:1]
	s_cbranch_execz .LBB143_119
; %bb.118:
	v_lshlrev_b32_e32 v19, 3, v21
	ds_read_b64 v[19:20], v19
	v_lshlrev_b64 v[17:18], 3, v[17:18]
	v_mov_b32_e32 v21, s15
	v_add_co_u32_e32 v17, vcc, s14, v17
	v_addc_co_u32_e32 v18, vcc, v21, v18, vcc
	s_waitcnt lgkmcnt(0)
	global_store_dwordx2 v[17:18], v[19:20], off offset:56
.LBB143_119:
	s_or_b64 exec, exec, s[2:3]
	v_lshrrev_b32_e32 v17, 2, v0
	v_lshlrev_b32_e32 v18, 3, v33
	v_lshl_add_u32 v18, v17, 3, v18
	s_waitcnt vmcnt(0)
	s_barrier
	s_barrier
	ds_write2_b64 v18, v[1:2], v[3:4] offset1:1
	ds_write2_b64 v18, v[5:6], v[7:8] offset0:2 offset1:3
	ds_write2_b64 v18, v[9:10], v[11:12] offset0:4 offset1:5
	;; [unrolled: 1-line block ×3, first 2 shown]
	v_and_b32_e32 v1, 24, v17
	v_or_b32_e32 v23, 0x80, v0
	v_add_u32_e32 v24, v1, v33
	v_lshrrev_b32_e32 v1, 2, v23
	v_and_b32_e32 v1, 56, v1
	v_or_b32_e32 v22, 0x100, v0
	v_add_u32_e32 v5, v1, v33
	v_lshrrev_b32_e32 v1, 2, v22
	;; [unrolled: 4-line block ×5, first 2 shown]
	v_and_b32_e32 v1, 0xb8, v1
	v_or_b32_e32 v18, 0x300, v0
	s_mov_b32 s19, 0
	v_add_u32_e32 v25, v1, v33
	v_lshrrev_b32_e32 v1, 2, v18
	s_lshl_b64 s[0:1], s[18:19], 3
	v_and_b32_e32 v1, 0xd8, v1
	v_or_b32_e32 v17, 0x380, v0
	s_add_u32 s0, s10, s0
	v_add_u32_e32 v26, v1, v33
	v_lshrrev_b32_e32 v1, 2, v17
	s_addc_u32 s1, s11, s1
	v_and_b32_e32 v1, 0xf8, v1
	v_add_u32_e32 v27, v1, v33
	v_mov_b32_e32 v2, s1
	v_add_co_u32_e32 v1, vcc, s0, v33
	v_addc_co_u32_e32 v2, vcc, 0, v2, vcc
	s_and_b64 vcc, exec, s[20:21]
	s_waitcnt lgkmcnt(0)
	s_cbranch_vccz .LBB143_121
; %bb.120:
	s_barrier
	ds_read_b64 v[9:10], v24
	ds_read_b64 v[11:12], v5 offset:1024
	ds_read_b64 v[13:14], v6 offset:2048
	;; [unrolled: 1-line block ×7, first 2 shown]
	s_waitcnt lgkmcnt(7)
	global_store_dwordx2 v[1:2], v[9:10], off
	s_waitcnt lgkmcnt(6)
	global_store_dwordx2 v[1:2], v[11:12], off offset:1024
	s_waitcnt lgkmcnt(5)
	global_store_dwordx2 v[1:2], v[13:14], off offset:2048
	;; [unrolled: 2-line block ×3, first 2 shown]
	v_add_co_u32_e32 v9, vcc, 0x1000, v1
	v_addc_co_u32_e32 v10, vcc, 0, v2, vcc
	s_waitcnt lgkmcnt(3)
	global_store_dwordx2 v[9:10], v[28:29], off
	s_waitcnt lgkmcnt(2)
	global_store_dwordx2 v[9:10], v[30:31], off offset:1024
	s_waitcnt lgkmcnt(1)
	global_store_dwordx2 v[9:10], v[32:33], off offset:2048
	s_mov_b64 s[0:1], -1
	s_cbranch_execz .LBB143_122
	s_branch .LBB143_131
.LBB143_121:
	s_mov_b64 s[0:1], 0
                                        ; implicit-def: $vgpr3_vgpr4
.LBB143_122:
	s_waitcnt vmcnt(0) lgkmcnt(0)
	s_barrier
	ds_read_b64 v[15:16], v5 offset:1024
	ds_read_b64 v[13:14], v6 offset:2048
	;; [unrolled: 1-line block ×7, first 2 shown]
	s_sub_i32 s2, s16, s18
	v_cmp_gt_u32_e32 vcc, s2, v0
	s_and_saveexec_b64 s[0:1], vcc
	s_cbranch_execnz .LBB143_138
; %bb.123:
	s_or_b64 exec, exec, s[0:1]
	v_cmp_gt_u32_e32 vcc, s2, v23
	s_and_saveexec_b64 s[0:1], vcc
	s_cbranch_execnz .LBB143_139
.LBB143_124:
	s_or_b64 exec, exec, s[0:1]
	v_cmp_gt_u32_e32 vcc, s2, v22
	s_and_saveexec_b64 s[0:1], vcc
	s_cbranch_execnz .LBB143_140
.LBB143_125:
	s_or_b64 exec, exec, s[0:1]
	v_cmp_gt_u32_e32 vcc, s2, v21
	s_and_saveexec_b64 s[0:1], vcc
	s_cbranch_execnz .LBB143_141
.LBB143_126:
	s_or_b64 exec, exec, s[0:1]
	v_cmp_gt_u32_e32 vcc, s2, v20
	s_and_saveexec_b64 s[0:1], vcc
	s_cbranch_execnz .LBB143_142
.LBB143_127:
	s_or_b64 exec, exec, s[0:1]
	v_cmp_gt_u32_e32 vcc, s2, v19
	s_and_saveexec_b64 s[0:1], vcc
	s_cbranch_execnz .LBB143_143
.LBB143_128:
	s_or_b64 exec, exec, s[0:1]
	v_cmp_gt_u32_e32 vcc, s2, v18
	s_and_saveexec_b64 s[0:1], vcc
	s_cbranch_execz .LBB143_130
.LBB143_129:
	s_waitcnt lgkmcnt(2)
	v_add_co_u32_e32 v7, vcc, 0x1000, v1
	v_addc_co_u32_e32 v8, vcc, 0, v2, vcc
	s_waitcnt lgkmcnt(1)
	global_store_dwordx2 v[7:8], v[5:6], off offset:2048
.LBB143_130:
	s_or_b64 exec, exec, s[0:1]
	v_cmp_gt_u32_e64 s[0:1], s2, v17
.LBB143_131:
	s_and_saveexec_b64 s[2:3], s[0:1]
	s_cbranch_execz .LBB143_133
; %bb.132:
	v_add_co_u32_e32 v0, vcc, 0x1000, v1
	v_addc_co_u32_e32 v1, vcc, 0, v2, vcc
	s_waitcnt lgkmcnt(0)
	global_store_dwordx2 v[0:1], v[3:4], off offset:3072
.LBB143_133:
	s_endpgm
.LBB143_134:
	v_subrev_u32_e32 v19, s19, v0
	v_cmp_gt_u32_e32 vcc, s33, v19
                                        ; implicit-def: $vgpr17_vgpr18
	s_and_saveexec_b64 s[26:27], vcc
	s_xor_b64 s[26:27], exec, s[26:27]
; %bb.135:
	v_lshlrev_b32_e32 v17, 3, v19
	v_mov_b32_e32 v18, s7
	v_add_co_u32_e32 v17, vcc, s6, v17
	s_mov_b64 s[4:5], exec
	v_addc_co_u32_e32 v18, vcc, 0, v18, vcc
; %bb.136:
	s_or_b64 exec, exec, s[26:27]
	s_and_b64 s[4:5], s[4:5], exec
	s_andn2_saveexec_b64 s[2:3], s[2:3]
	s_cbranch_execz .LBB143_66
.LBB143_137:
	v_mov_b32_e32 v18, s9
	v_add_co_u32_e32 v17, vcc, s8, v33
	v_addc_co_u32_e32 v18, vcc, 0, v18, vcc
	s_or_b64 s[4:5], s[4:5], exec
	s_or_b64 exec, exec, s[2:3]
	s_and_saveexec_b64 s[2:3], s[4:5]
	s_cbranch_execnz .LBB143_67
	s_branch .LBB143_68
.LBB143_138:
	ds_read_b64 v[24:25], v24
	s_waitcnt lgkmcnt(0)
	global_store_dwordx2 v[1:2], v[24:25], off
	s_or_b64 exec, exec, s[0:1]
	v_cmp_gt_u32_e32 vcc, s2, v23
	s_and_saveexec_b64 s[0:1], vcc
	s_cbranch_execz .LBB143_124
.LBB143_139:
	s_waitcnt lgkmcnt(6)
	global_store_dwordx2 v[1:2], v[15:16], off offset:1024
	s_or_b64 exec, exec, s[0:1]
	v_cmp_gt_u32_e32 vcc, s2, v22
	s_and_saveexec_b64 s[0:1], vcc
	s_cbranch_execz .LBB143_125
.LBB143_140:
	s_waitcnt lgkmcnt(5)
	global_store_dwordx2 v[1:2], v[13:14], off offset:2048
	s_or_b64 exec, exec, s[0:1]
	v_cmp_gt_u32_e32 vcc, s2, v21
	s_and_saveexec_b64 s[0:1], vcc
	s_cbranch_execz .LBB143_126
.LBB143_141:
	s_waitcnt lgkmcnt(4)
	global_store_dwordx2 v[1:2], v[11:12], off offset:3072
	s_or_b64 exec, exec, s[0:1]
	v_cmp_gt_u32_e32 vcc, s2, v20
	s_and_saveexec_b64 s[0:1], vcc
	s_cbranch_execz .LBB143_127
.LBB143_142:
	s_waitcnt lgkmcnt(4)
	v_add_co_u32_e32 v11, vcc, 0x1000, v1
	v_addc_co_u32_e32 v12, vcc, 0, v2, vcc
	s_waitcnt lgkmcnt(3)
	global_store_dwordx2 v[11:12], v[9:10], off
	s_or_b64 exec, exec, s[0:1]
	v_cmp_gt_u32_e32 vcc, s2, v19
	s_and_saveexec_b64 s[0:1], vcc
	s_cbranch_execz .LBB143_128
.LBB143_143:
	s_waitcnt lgkmcnt(3)
	v_add_co_u32_e32 v9, vcc, 0x1000, v1
	v_addc_co_u32_e32 v10, vcc, 0, v2, vcc
	s_waitcnt lgkmcnt(2)
	global_store_dwordx2 v[9:10], v[7:8], off offset:1024
	s_or_b64 exec, exec, s[0:1]
	v_cmp_gt_u32_e32 vcc, s2, v18
	s_and_saveexec_b64 s[0:1], vcc
	s_cbranch_execnz .LBB143_129
	s_branch .LBB143_130
	.section	.rodata,"a",@progbits
	.p2align	6, 0x0
	.amdhsa_kernel _ZN7rocprim17ROCPRIM_304000_NS6detail35device_block_merge_mergepath_kernelINS1_37wrapped_merge_sort_block_merge_configINS0_14default_configEdN2at4cuda3cub6detail10OpaqueTypeILi8EEEEEPdSC_PSA_SD_jNS1_19radix_merge_compareILb1ELb0EdNS0_19identity_decomposerEEEEEvT0_T1_T2_T3_T4_SL_jT5_PKSL_NS1_7vsmem_tE
		.amdhsa_group_segment_fixed_size 8448
		.amdhsa_private_segment_fixed_size 0
		.amdhsa_kernarg_size 320
		.amdhsa_user_sgpr_count 6
		.amdhsa_user_sgpr_private_segment_buffer 1
		.amdhsa_user_sgpr_dispatch_ptr 0
		.amdhsa_user_sgpr_queue_ptr 0
		.amdhsa_user_sgpr_kernarg_segment_ptr 1
		.amdhsa_user_sgpr_dispatch_id 0
		.amdhsa_user_sgpr_flat_scratch_init 0
		.amdhsa_user_sgpr_private_segment_size 0
		.amdhsa_uses_dynamic_stack 0
		.amdhsa_system_sgpr_private_segment_wavefront_offset 0
		.amdhsa_system_sgpr_workgroup_id_x 1
		.amdhsa_system_sgpr_workgroup_id_y 1
		.amdhsa_system_sgpr_workgroup_id_z 1
		.amdhsa_system_sgpr_workgroup_info 0
		.amdhsa_system_vgpr_workitem_id 0
		.amdhsa_next_free_vgpr 50
		.amdhsa_next_free_sgpr 98
		.amdhsa_reserve_vcc 1
		.amdhsa_reserve_flat_scratch 0
		.amdhsa_float_round_mode_32 0
		.amdhsa_float_round_mode_16_64 0
		.amdhsa_float_denorm_mode_32 3
		.amdhsa_float_denorm_mode_16_64 3
		.amdhsa_dx10_clamp 1
		.amdhsa_ieee_mode 1
		.amdhsa_fp16_overflow 0
		.amdhsa_exception_fp_ieee_invalid_op 0
		.amdhsa_exception_fp_denorm_src 0
		.amdhsa_exception_fp_ieee_div_zero 0
		.amdhsa_exception_fp_ieee_overflow 0
		.amdhsa_exception_fp_ieee_underflow 0
		.amdhsa_exception_fp_ieee_inexact 0
		.amdhsa_exception_int_div_zero 0
	.end_amdhsa_kernel
	.section	.text._ZN7rocprim17ROCPRIM_304000_NS6detail35device_block_merge_mergepath_kernelINS1_37wrapped_merge_sort_block_merge_configINS0_14default_configEdN2at4cuda3cub6detail10OpaqueTypeILi8EEEEEPdSC_PSA_SD_jNS1_19radix_merge_compareILb1ELb0EdNS0_19identity_decomposerEEEEEvT0_T1_T2_T3_T4_SL_jT5_PKSL_NS1_7vsmem_tE,"axG",@progbits,_ZN7rocprim17ROCPRIM_304000_NS6detail35device_block_merge_mergepath_kernelINS1_37wrapped_merge_sort_block_merge_configINS0_14default_configEdN2at4cuda3cub6detail10OpaqueTypeILi8EEEEEPdSC_PSA_SD_jNS1_19radix_merge_compareILb1ELb0EdNS0_19identity_decomposerEEEEEvT0_T1_T2_T3_T4_SL_jT5_PKSL_NS1_7vsmem_tE,comdat
.Lfunc_end143:
	.size	_ZN7rocprim17ROCPRIM_304000_NS6detail35device_block_merge_mergepath_kernelINS1_37wrapped_merge_sort_block_merge_configINS0_14default_configEdN2at4cuda3cub6detail10OpaqueTypeILi8EEEEEPdSC_PSA_SD_jNS1_19radix_merge_compareILb1ELb0EdNS0_19identity_decomposerEEEEEvT0_T1_T2_T3_T4_SL_jT5_PKSL_NS1_7vsmem_tE, .Lfunc_end143-_ZN7rocprim17ROCPRIM_304000_NS6detail35device_block_merge_mergepath_kernelINS1_37wrapped_merge_sort_block_merge_configINS0_14default_configEdN2at4cuda3cub6detail10OpaqueTypeILi8EEEEEPdSC_PSA_SD_jNS1_19radix_merge_compareILb1ELb0EdNS0_19identity_decomposerEEEEEvT0_T1_T2_T3_T4_SL_jT5_PKSL_NS1_7vsmem_tE
                                        ; -- End function
	.set _ZN7rocprim17ROCPRIM_304000_NS6detail35device_block_merge_mergepath_kernelINS1_37wrapped_merge_sort_block_merge_configINS0_14default_configEdN2at4cuda3cub6detail10OpaqueTypeILi8EEEEEPdSC_PSA_SD_jNS1_19radix_merge_compareILb1ELb0EdNS0_19identity_decomposerEEEEEvT0_T1_T2_T3_T4_SL_jT5_PKSL_NS1_7vsmem_tE.num_vgpr, 50
	.set _ZN7rocprim17ROCPRIM_304000_NS6detail35device_block_merge_mergepath_kernelINS1_37wrapped_merge_sort_block_merge_configINS0_14default_configEdN2at4cuda3cub6detail10OpaqueTypeILi8EEEEEPdSC_PSA_SD_jNS1_19radix_merge_compareILb1ELb0EdNS0_19identity_decomposerEEEEEvT0_T1_T2_T3_T4_SL_jT5_PKSL_NS1_7vsmem_tE.num_agpr, 0
	.set _ZN7rocprim17ROCPRIM_304000_NS6detail35device_block_merge_mergepath_kernelINS1_37wrapped_merge_sort_block_merge_configINS0_14default_configEdN2at4cuda3cub6detail10OpaqueTypeILi8EEEEEPdSC_PSA_SD_jNS1_19radix_merge_compareILb1ELb0EdNS0_19identity_decomposerEEEEEvT0_T1_T2_T3_T4_SL_jT5_PKSL_NS1_7vsmem_tE.numbered_sgpr, 44
	.set _ZN7rocprim17ROCPRIM_304000_NS6detail35device_block_merge_mergepath_kernelINS1_37wrapped_merge_sort_block_merge_configINS0_14default_configEdN2at4cuda3cub6detail10OpaqueTypeILi8EEEEEPdSC_PSA_SD_jNS1_19radix_merge_compareILb1ELb0EdNS0_19identity_decomposerEEEEEvT0_T1_T2_T3_T4_SL_jT5_PKSL_NS1_7vsmem_tE.num_named_barrier, 0
	.set _ZN7rocprim17ROCPRIM_304000_NS6detail35device_block_merge_mergepath_kernelINS1_37wrapped_merge_sort_block_merge_configINS0_14default_configEdN2at4cuda3cub6detail10OpaqueTypeILi8EEEEEPdSC_PSA_SD_jNS1_19radix_merge_compareILb1ELb0EdNS0_19identity_decomposerEEEEEvT0_T1_T2_T3_T4_SL_jT5_PKSL_NS1_7vsmem_tE.private_seg_size, 0
	.set _ZN7rocprim17ROCPRIM_304000_NS6detail35device_block_merge_mergepath_kernelINS1_37wrapped_merge_sort_block_merge_configINS0_14default_configEdN2at4cuda3cub6detail10OpaqueTypeILi8EEEEEPdSC_PSA_SD_jNS1_19radix_merge_compareILb1ELb0EdNS0_19identity_decomposerEEEEEvT0_T1_T2_T3_T4_SL_jT5_PKSL_NS1_7vsmem_tE.uses_vcc, 1
	.set _ZN7rocprim17ROCPRIM_304000_NS6detail35device_block_merge_mergepath_kernelINS1_37wrapped_merge_sort_block_merge_configINS0_14default_configEdN2at4cuda3cub6detail10OpaqueTypeILi8EEEEEPdSC_PSA_SD_jNS1_19radix_merge_compareILb1ELb0EdNS0_19identity_decomposerEEEEEvT0_T1_T2_T3_T4_SL_jT5_PKSL_NS1_7vsmem_tE.uses_flat_scratch, 0
	.set _ZN7rocprim17ROCPRIM_304000_NS6detail35device_block_merge_mergepath_kernelINS1_37wrapped_merge_sort_block_merge_configINS0_14default_configEdN2at4cuda3cub6detail10OpaqueTypeILi8EEEEEPdSC_PSA_SD_jNS1_19radix_merge_compareILb1ELb0EdNS0_19identity_decomposerEEEEEvT0_T1_T2_T3_T4_SL_jT5_PKSL_NS1_7vsmem_tE.has_dyn_sized_stack, 0
	.set _ZN7rocprim17ROCPRIM_304000_NS6detail35device_block_merge_mergepath_kernelINS1_37wrapped_merge_sort_block_merge_configINS0_14default_configEdN2at4cuda3cub6detail10OpaqueTypeILi8EEEEEPdSC_PSA_SD_jNS1_19radix_merge_compareILb1ELb0EdNS0_19identity_decomposerEEEEEvT0_T1_T2_T3_T4_SL_jT5_PKSL_NS1_7vsmem_tE.has_recursion, 0
	.set _ZN7rocprim17ROCPRIM_304000_NS6detail35device_block_merge_mergepath_kernelINS1_37wrapped_merge_sort_block_merge_configINS0_14default_configEdN2at4cuda3cub6detail10OpaqueTypeILi8EEEEEPdSC_PSA_SD_jNS1_19radix_merge_compareILb1ELb0EdNS0_19identity_decomposerEEEEEvT0_T1_T2_T3_T4_SL_jT5_PKSL_NS1_7vsmem_tE.has_indirect_call, 0
	.section	.AMDGPU.csdata,"",@progbits
; Kernel info:
; codeLenInByte = 7316
; TotalNumSgprs: 48
; NumVgprs: 50
; ScratchSize: 0
; MemoryBound: 1
; FloatMode: 240
; IeeeMode: 1
; LDSByteSize: 8448 bytes/workgroup (compile time only)
; SGPRBlocks: 12
; VGPRBlocks: 12
; NumSGPRsForWavesPerEU: 102
; NumVGPRsForWavesPerEU: 50
; Occupancy: 4
; WaveLimiterHint : 1
; COMPUTE_PGM_RSRC2:SCRATCH_EN: 0
; COMPUTE_PGM_RSRC2:USER_SGPR: 6
; COMPUTE_PGM_RSRC2:TRAP_HANDLER: 0
; COMPUTE_PGM_RSRC2:TGID_X_EN: 1
; COMPUTE_PGM_RSRC2:TGID_Y_EN: 1
; COMPUTE_PGM_RSRC2:TGID_Z_EN: 1
; COMPUTE_PGM_RSRC2:TIDIG_COMP_CNT: 0
	.section	.text._ZN7rocprim17ROCPRIM_304000_NS6detail33device_block_merge_oddeven_kernelINS1_37wrapped_merge_sort_block_merge_configINS0_14default_configEdN2at4cuda3cub6detail10OpaqueTypeILi8EEEEEPdSC_PSA_SD_jNS1_19radix_merge_compareILb1ELb0EdNS0_19identity_decomposerEEEEEvT0_T1_T2_T3_T4_SL_T5_,"axG",@progbits,_ZN7rocprim17ROCPRIM_304000_NS6detail33device_block_merge_oddeven_kernelINS1_37wrapped_merge_sort_block_merge_configINS0_14default_configEdN2at4cuda3cub6detail10OpaqueTypeILi8EEEEEPdSC_PSA_SD_jNS1_19radix_merge_compareILb1ELb0EdNS0_19identity_decomposerEEEEEvT0_T1_T2_T3_T4_SL_T5_,comdat
	.protected	_ZN7rocprim17ROCPRIM_304000_NS6detail33device_block_merge_oddeven_kernelINS1_37wrapped_merge_sort_block_merge_configINS0_14default_configEdN2at4cuda3cub6detail10OpaqueTypeILi8EEEEEPdSC_PSA_SD_jNS1_19radix_merge_compareILb1ELb0EdNS0_19identity_decomposerEEEEEvT0_T1_T2_T3_T4_SL_T5_ ; -- Begin function _ZN7rocprim17ROCPRIM_304000_NS6detail33device_block_merge_oddeven_kernelINS1_37wrapped_merge_sort_block_merge_configINS0_14default_configEdN2at4cuda3cub6detail10OpaqueTypeILi8EEEEEPdSC_PSA_SD_jNS1_19radix_merge_compareILb1ELb0EdNS0_19identity_decomposerEEEEEvT0_T1_T2_T3_T4_SL_T5_
	.globl	_ZN7rocprim17ROCPRIM_304000_NS6detail33device_block_merge_oddeven_kernelINS1_37wrapped_merge_sort_block_merge_configINS0_14default_configEdN2at4cuda3cub6detail10OpaqueTypeILi8EEEEEPdSC_PSA_SD_jNS1_19radix_merge_compareILb1ELb0EdNS0_19identity_decomposerEEEEEvT0_T1_T2_T3_T4_SL_T5_
	.p2align	8
	.type	_ZN7rocprim17ROCPRIM_304000_NS6detail33device_block_merge_oddeven_kernelINS1_37wrapped_merge_sort_block_merge_configINS0_14default_configEdN2at4cuda3cub6detail10OpaqueTypeILi8EEEEEPdSC_PSA_SD_jNS1_19radix_merge_compareILb1ELb0EdNS0_19identity_decomposerEEEEEvT0_T1_T2_T3_T4_SL_T5_,@function
_ZN7rocprim17ROCPRIM_304000_NS6detail33device_block_merge_oddeven_kernelINS1_37wrapped_merge_sort_block_merge_configINS0_14default_configEdN2at4cuda3cub6detail10OpaqueTypeILi8EEEEEPdSC_PSA_SD_jNS1_19radix_merge_compareILb1ELb0EdNS0_19identity_decomposerEEEEEvT0_T1_T2_T3_T4_SL_T5_: ; @_ZN7rocprim17ROCPRIM_304000_NS6detail33device_block_merge_oddeven_kernelINS1_37wrapped_merge_sort_block_merge_configINS0_14default_configEdN2at4cuda3cub6detail10OpaqueTypeILi8EEEEEPdSC_PSA_SD_jNS1_19radix_merge_compareILb1ELb0EdNS0_19identity_decomposerEEEEEvT0_T1_T2_T3_T4_SL_T5_
; %bb.0:
	s_load_dwordx2 s[18:19], s[4:5], 0x20
	s_waitcnt lgkmcnt(0)
	s_lshr_b32 s0, s18, 8
	s_cmp_eq_u32 s6, s0
	s_cselect_b64 s[16:17], -1, 0
	s_cmp_lg_u32 s6, s0
	s_cselect_b64 s[0:1], -1, 0
	s_lshl_b32 s20, s6, 8
	s_sub_i32 s2, s18, s20
	v_cmp_gt_u32_e64 s[2:3], s2, v0
	s_or_b64 s[0:1], s[0:1], s[2:3]
	s_and_saveexec_b64 s[8:9], s[0:1]
	s_cbranch_execz .LBB144_24
; %bb.1:
	s_load_dwordx8 s[8:15], s[4:5], 0x0
	s_mov_b32 s21, 0
	s_lshl_b64 s[0:1], s[20:21], 3
	v_lshlrev_b32_e32 v5, 3, v0
	s_waitcnt lgkmcnt(0)
	s_add_u32 s4, s8, s0
	s_addc_u32 s5, s9, s1
	s_add_u32 s0, s12, s0
	s_addc_u32 s1, s13, s1
	global_load_dwordx2 v[1:2], v5, s[0:1]
	global_load_dwordx2 v[3:4], v5, s[4:5]
	s_lshr_b32 s0, s19, 8
	s_sub_i32 s1, 0, s0
	s_and_b32 s1, s6, s1
	s_and_b32 s0, s1, s0
	s_lshl_b32 s6, s1, 8
	s_sub_i32 s7, 0, s19
	s_cmp_eq_u32 s0, 0
	s_cselect_b64 s[0:1], -1, 0
	s_and_b64 s[4:5], s[0:1], exec
	s_cselect_b32 s12, s19, s7
	s_add_i32 s12, s12, s6
	s_mov_b64 s[4:5], -1
	s_cmp_gt_u32 s18, s12
	v_add_u32_e32 v5, s20, v0
	s_cbranch_scc1 .LBB144_9
; %bb.2:
	s_and_b64 vcc, exec, s[16:17]
	s_cbranch_vccz .LBB144_6
; %bb.3:
	v_cmp_gt_u32_e32 vcc, s18, v5
	s_and_saveexec_b64 s[4:5], vcc
	s_cbranch_execz .LBB144_5
; %bb.4:
	v_mov_b32_e32 v6, 0
	v_lshlrev_b64 v[6:7], 3, v[5:6]
	v_mov_b32_e32 v0, s15
	v_add_co_u32_e32 v8, vcc, s14, v6
	v_addc_co_u32_e32 v9, vcc, v0, v7, vcc
	v_mov_b32_e32 v0, s11
	v_add_co_u32_e32 v6, vcc, s10, v6
	v_addc_co_u32_e32 v7, vcc, v0, v7, vcc
	s_waitcnt vmcnt(0)
	global_store_dwordx2 v[6:7], v[3:4], off
	global_store_dwordx2 v[8:9], v[1:2], off
.LBB144_5:
	s_or_b64 exec, exec, s[4:5]
	s_mov_b64 s[4:5], 0
.LBB144_6:
	s_andn2_b64 vcc, exec, s[4:5]
	s_cbranch_vccnz .LBB144_8
; %bb.7:
	v_mov_b32_e32 v6, 0
	v_lshlrev_b64 v[6:7], 3, v[5:6]
	v_mov_b32_e32 v0, s11
	v_add_co_u32_e32 v8, vcc, s10, v6
	v_addc_co_u32_e32 v9, vcc, v0, v7, vcc
	v_mov_b32_e32 v0, s15
	v_add_co_u32_e32 v6, vcc, s14, v6
	v_addc_co_u32_e32 v7, vcc, v0, v7, vcc
	s_waitcnt vmcnt(0)
	global_store_dwordx2 v[8:9], v[3:4], off
	global_store_dwordx2 v[6:7], v[1:2], off
.LBB144_8:
	s_mov_b64 s[4:5], 0
.LBB144_9:
	s_andn2_b64 vcc, exec, s[4:5]
	s_cbranch_vccnz .LBB144_24
; %bb.10:
	s_min_u32 s13, s12, s18
	s_add_i32 s4, s13, s19
	s_min_u32 s18, s4, s18
	s_min_u32 s4, s6, s13
	s_add_i32 s6, s6, s13
	v_subrev_u32_e32 v0, s6, v5
	v_add_u32_e32 v0, s4, v0
	s_mov_b32 s4, 0
	s_brev_b32 s5, 1
	s_waitcnt vmcnt(0)
	v_cmp_ne_u64_e32 vcc, s[4:5], v[3:4]
	v_bfrev_b32_e32 v7, 1
	v_cndmask_b32_e32 v6, 0, v4, vcc
	v_cndmask_b32_e32 v5, 0, v3, vcc
	v_cmp_lt_i64_e32 vcc, -1, v[5:6]
	v_ashrrev_i32_e32 v8, 31, v6
	v_cndmask_b32_e32 v7, -1, v7, vcc
	s_mov_b64 s[4:5], -1
	v_xor_b32_e32 v6, v7, v6
	v_xor_b32_e32 v5, v8, v5
	s_and_b64 vcc, exec, s[16:17]
	s_cbranch_vccz .LBB144_18
; %bb.11:
	s_and_saveexec_b64 s[4:5], s[2:3]
	s_cbranch_execz .LBB144_17
; %bb.12:
	s_cmp_ge_u32 s12, s18
	v_mov_b32_e32 v9, s13
	s_cbranch_scc1 .LBB144_16
; %bb.13:
	s_mov_b32 s6, 0
	s_mov_b64 s[2:3], 0
	v_mov_b32_e32 v10, s18
	v_mov_b32_e32 v9, s13
	;; [unrolled: 1-line block ×4, first 2 shown]
	s_brev_b32 s7, 1
	v_bfrev_b32_e32 v12, 1
.LBB144_14:                             ; =>This Inner Loop Header: Depth=1
	v_add_u32_e32 v7, v9, v10
	v_lshrrev_b32_e32 v7, 1, v7
	v_lshlrev_b64 v[13:14], 3, v[7:8]
	v_add_u32_e32 v15, 1, v7
	v_add_co_u32_e32 v13, vcc, s8, v13
	v_addc_co_u32_e32 v14, vcc, v11, v14, vcc
	global_load_dwordx2 v[13:14], v[13:14], off
	s_waitcnt vmcnt(0)
	v_cmp_ne_u64_e32 vcc, s[6:7], v[13:14]
	v_cndmask_b32_e32 v14, 0, v14, vcc
	v_cndmask_b32_e32 v13, 0, v13, vcc
	v_cmp_lt_i64_e32 vcc, -1, v[13:14]
	v_ashrrev_i32_e32 v16, 31, v14
	v_cndmask_b32_e32 v17, -1, v12, vcc
	v_xor_b32_e32 v13, v16, v13
	v_xor_b32_e32 v14, v17, v14
	v_cmp_gt_u64_e32 vcc, v[13:14], v[5:6]
	v_cndmask_b32_e64 v16, 0, 1, vcc
	v_cmp_le_u64_e32 vcc, v[5:6], v[13:14]
	v_cndmask_b32_e64 v13, 0, 1, vcc
	v_cndmask_b32_e64 v13, v13, v16, s[0:1]
	v_and_b32_e32 v13, 1, v13
	v_cmp_eq_u32_e32 vcc, 1, v13
	v_cndmask_b32_e32 v10, v7, v10, vcc
	v_cndmask_b32_e32 v9, v9, v15, vcc
	v_cmp_ge_u32_e32 vcc, v9, v10
	s_or_b64 s[2:3], vcc, s[2:3]
	s_andn2_b64 exec, exec, s[2:3]
	s_cbranch_execnz .LBB144_14
; %bb.15:
	s_or_b64 exec, exec, s[2:3]
.LBB144_16:
	v_add_u32_e32 v7, v9, v0
	v_mov_b32_e32 v8, 0
	v_lshlrev_b64 v[7:8], 3, v[7:8]
	v_mov_b32_e32 v10, s11
	v_add_co_u32_e32 v9, vcc, s10, v7
	v_addc_co_u32_e32 v10, vcc, v10, v8, vcc
	global_store_dwordx2 v[9:10], v[3:4], off
	v_mov_b32_e32 v9, s15
	v_add_co_u32_e32 v7, vcc, s14, v7
	v_addc_co_u32_e32 v8, vcc, v9, v8, vcc
	global_store_dwordx2 v[7:8], v[1:2], off
.LBB144_17:
	s_or_b64 exec, exec, s[4:5]
	s_mov_b64 s[4:5], 0
.LBB144_18:
	s_andn2_b64 vcc, exec, s[4:5]
	s_cbranch_vccnz .LBB144_24
; %bb.19:
	s_cmp_ge_u32 s12, s18
	v_mov_b32_e32 v9, s13
	s_cbranch_scc1 .LBB144_23
; %bb.20:
	s_mov_b32 s4, 0
	s_mov_b64 s[2:3], 0
	v_mov_b32_e32 v10, s18
	v_mov_b32_e32 v9, s13
	;; [unrolled: 1-line block ×4, first 2 shown]
	s_brev_b32 s5, 1
	v_bfrev_b32_e32 v12, 1
.LBB144_21:                             ; =>This Inner Loop Header: Depth=1
	v_add_u32_e32 v7, v9, v10
	v_lshrrev_b32_e32 v7, 1, v7
	v_lshlrev_b64 v[13:14], 3, v[7:8]
	v_add_u32_e32 v15, 1, v7
	v_add_co_u32_e32 v13, vcc, s8, v13
	v_addc_co_u32_e32 v14, vcc, v11, v14, vcc
	global_load_dwordx2 v[13:14], v[13:14], off
	s_waitcnt vmcnt(0)
	v_cmp_ne_u64_e32 vcc, s[4:5], v[13:14]
	v_cndmask_b32_e32 v14, 0, v14, vcc
	v_cndmask_b32_e32 v13, 0, v13, vcc
	v_cmp_lt_i64_e32 vcc, -1, v[13:14]
	v_ashrrev_i32_e32 v16, 31, v14
	v_cndmask_b32_e32 v17, -1, v12, vcc
	v_xor_b32_e32 v13, v16, v13
	v_xor_b32_e32 v14, v17, v14
	v_cmp_gt_u64_e32 vcc, v[13:14], v[5:6]
	v_cndmask_b32_e64 v16, 0, 1, vcc
	v_cmp_le_u64_e32 vcc, v[5:6], v[13:14]
	v_cndmask_b32_e64 v13, 0, 1, vcc
	v_cndmask_b32_e64 v13, v13, v16, s[0:1]
	v_and_b32_e32 v13, 1, v13
	v_cmp_eq_u32_e32 vcc, 1, v13
	v_cndmask_b32_e32 v10, v7, v10, vcc
	v_cndmask_b32_e32 v9, v9, v15, vcc
	v_cmp_ge_u32_e32 vcc, v9, v10
	s_or_b64 s[2:3], vcc, s[2:3]
	s_andn2_b64 exec, exec, s[2:3]
	s_cbranch_execnz .LBB144_21
; %bb.22:
	s_or_b64 exec, exec, s[2:3]
.LBB144_23:
	v_add_u32_e32 v5, v9, v0
	v_mov_b32_e32 v6, 0
	v_lshlrev_b64 v[5:6], 3, v[5:6]
	v_mov_b32_e32 v0, s11
	v_add_co_u32_e32 v7, vcc, s10, v5
	v_addc_co_u32_e32 v8, vcc, v0, v6, vcc
	global_store_dwordx2 v[7:8], v[3:4], off
	v_mov_b32_e32 v0, s15
	v_add_co_u32_e32 v3, vcc, s14, v5
	v_addc_co_u32_e32 v4, vcc, v0, v6, vcc
	global_store_dwordx2 v[3:4], v[1:2], off
.LBB144_24:
	s_endpgm
	.section	.rodata,"a",@progbits
	.p2align	6, 0x0
	.amdhsa_kernel _ZN7rocprim17ROCPRIM_304000_NS6detail33device_block_merge_oddeven_kernelINS1_37wrapped_merge_sort_block_merge_configINS0_14default_configEdN2at4cuda3cub6detail10OpaqueTypeILi8EEEEEPdSC_PSA_SD_jNS1_19radix_merge_compareILb1ELb0EdNS0_19identity_decomposerEEEEEvT0_T1_T2_T3_T4_SL_T5_
		.amdhsa_group_segment_fixed_size 0
		.amdhsa_private_segment_fixed_size 0
		.amdhsa_kernarg_size 44
		.amdhsa_user_sgpr_count 6
		.amdhsa_user_sgpr_private_segment_buffer 1
		.amdhsa_user_sgpr_dispatch_ptr 0
		.amdhsa_user_sgpr_queue_ptr 0
		.amdhsa_user_sgpr_kernarg_segment_ptr 1
		.amdhsa_user_sgpr_dispatch_id 0
		.amdhsa_user_sgpr_flat_scratch_init 0
		.amdhsa_user_sgpr_private_segment_size 0
		.amdhsa_uses_dynamic_stack 0
		.amdhsa_system_sgpr_private_segment_wavefront_offset 0
		.amdhsa_system_sgpr_workgroup_id_x 1
		.amdhsa_system_sgpr_workgroup_id_y 0
		.amdhsa_system_sgpr_workgroup_id_z 0
		.amdhsa_system_sgpr_workgroup_info 0
		.amdhsa_system_vgpr_workitem_id 0
		.amdhsa_next_free_vgpr 18
		.amdhsa_next_free_sgpr 22
		.amdhsa_reserve_vcc 1
		.amdhsa_reserve_flat_scratch 0
		.amdhsa_float_round_mode_32 0
		.amdhsa_float_round_mode_16_64 0
		.amdhsa_float_denorm_mode_32 3
		.amdhsa_float_denorm_mode_16_64 3
		.amdhsa_dx10_clamp 1
		.amdhsa_ieee_mode 1
		.amdhsa_fp16_overflow 0
		.amdhsa_exception_fp_ieee_invalid_op 0
		.amdhsa_exception_fp_denorm_src 0
		.amdhsa_exception_fp_ieee_div_zero 0
		.amdhsa_exception_fp_ieee_overflow 0
		.amdhsa_exception_fp_ieee_underflow 0
		.amdhsa_exception_fp_ieee_inexact 0
		.amdhsa_exception_int_div_zero 0
	.end_amdhsa_kernel
	.section	.text._ZN7rocprim17ROCPRIM_304000_NS6detail33device_block_merge_oddeven_kernelINS1_37wrapped_merge_sort_block_merge_configINS0_14default_configEdN2at4cuda3cub6detail10OpaqueTypeILi8EEEEEPdSC_PSA_SD_jNS1_19radix_merge_compareILb1ELb0EdNS0_19identity_decomposerEEEEEvT0_T1_T2_T3_T4_SL_T5_,"axG",@progbits,_ZN7rocprim17ROCPRIM_304000_NS6detail33device_block_merge_oddeven_kernelINS1_37wrapped_merge_sort_block_merge_configINS0_14default_configEdN2at4cuda3cub6detail10OpaqueTypeILi8EEEEEPdSC_PSA_SD_jNS1_19radix_merge_compareILb1ELb0EdNS0_19identity_decomposerEEEEEvT0_T1_T2_T3_T4_SL_T5_,comdat
.Lfunc_end144:
	.size	_ZN7rocprim17ROCPRIM_304000_NS6detail33device_block_merge_oddeven_kernelINS1_37wrapped_merge_sort_block_merge_configINS0_14default_configEdN2at4cuda3cub6detail10OpaqueTypeILi8EEEEEPdSC_PSA_SD_jNS1_19radix_merge_compareILb1ELb0EdNS0_19identity_decomposerEEEEEvT0_T1_T2_T3_T4_SL_T5_, .Lfunc_end144-_ZN7rocprim17ROCPRIM_304000_NS6detail33device_block_merge_oddeven_kernelINS1_37wrapped_merge_sort_block_merge_configINS0_14default_configEdN2at4cuda3cub6detail10OpaqueTypeILi8EEEEEPdSC_PSA_SD_jNS1_19radix_merge_compareILb1ELb0EdNS0_19identity_decomposerEEEEEvT0_T1_T2_T3_T4_SL_T5_
                                        ; -- End function
	.set _ZN7rocprim17ROCPRIM_304000_NS6detail33device_block_merge_oddeven_kernelINS1_37wrapped_merge_sort_block_merge_configINS0_14default_configEdN2at4cuda3cub6detail10OpaqueTypeILi8EEEEEPdSC_PSA_SD_jNS1_19radix_merge_compareILb1ELb0EdNS0_19identity_decomposerEEEEEvT0_T1_T2_T3_T4_SL_T5_.num_vgpr, 18
	.set _ZN7rocprim17ROCPRIM_304000_NS6detail33device_block_merge_oddeven_kernelINS1_37wrapped_merge_sort_block_merge_configINS0_14default_configEdN2at4cuda3cub6detail10OpaqueTypeILi8EEEEEPdSC_PSA_SD_jNS1_19radix_merge_compareILb1ELb0EdNS0_19identity_decomposerEEEEEvT0_T1_T2_T3_T4_SL_T5_.num_agpr, 0
	.set _ZN7rocprim17ROCPRIM_304000_NS6detail33device_block_merge_oddeven_kernelINS1_37wrapped_merge_sort_block_merge_configINS0_14default_configEdN2at4cuda3cub6detail10OpaqueTypeILi8EEEEEPdSC_PSA_SD_jNS1_19radix_merge_compareILb1ELb0EdNS0_19identity_decomposerEEEEEvT0_T1_T2_T3_T4_SL_T5_.numbered_sgpr, 22
	.set _ZN7rocprim17ROCPRIM_304000_NS6detail33device_block_merge_oddeven_kernelINS1_37wrapped_merge_sort_block_merge_configINS0_14default_configEdN2at4cuda3cub6detail10OpaqueTypeILi8EEEEEPdSC_PSA_SD_jNS1_19radix_merge_compareILb1ELb0EdNS0_19identity_decomposerEEEEEvT0_T1_T2_T3_T4_SL_T5_.num_named_barrier, 0
	.set _ZN7rocprim17ROCPRIM_304000_NS6detail33device_block_merge_oddeven_kernelINS1_37wrapped_merge_sort_block_merge_configINS0_14default_configEdN2at4cuda3cub6detail10OpaqueTypeILi8EEEEEPdSC_PSA_SD_jNS1_19radix_merge_compareILb1ELb0EdNS0_19identity_decomposerEEEEEvT0_T1_T2_T3_T4_SL_T5_.private_seg_size, 0
	.set _ZN7rocprim17ROCPRIM_304000_NS6detail33device_block_merge_oddeven_kernelINS1_37wrapped_merge_sort_block_merge_configINS0_14default_configEdN2at4cuda3cub6detail10OpaqueTypeILi8EEEEEPdSC_PSA_SD_jNS1_19radix_merge_compareILb1ELb0EdNS0_19identity_decomposerEEEEEvT0_T1_T2_T3_T4_SL_T5_.uses_vcc, 1
	.set _ZN7rocprim17ROCPRIM_304000_NS6detail33device_block_merge_oddeven_kernelINS1_37wrapped_merge_sort_block_merge_configINS0_14default_configEdN2at4cuda3cub6detail10OpaqueTypeILi8EEEEEPdSC_PSA_SD_jNS1_19radix_merge_compareILb1ELb0EdNS0_19identity_decomposerEEEEEvT0_T1_T2_T3_T4_SL_T5_.uses_flat_scratch, 0
	.set _ZN7rocprim17ROCPRIM_304000_NS6detail33device_block_merge_oddeven_kernelINS1_37wrapped_merge_sort_block_merge_configINS0_14default_configEdN2at4cuda3cub6detail10OpaqueTypeILi8EEEEEPdSC_PSA_SD_jNS1_19radix_merge_compareILb1ELb0EdNS0_19identity_decomposerEEEEEvT0_T1_T2_T3_T4_SL_T5_.has_dyn_sized_stack, 0
	.set _ZN7rocprim17ROCPRIM_304000_NS6detail33device_block_merge_oddeven_kernelINS1_37wrapped_merge_sort_block_merge_configINS0_14default_configEdN2at4cuda3cub6detail10OpaqueTypeILi8EEEEEPdSC_PSA_SD_jNS1_19radix_merge_compareILb1ELb0EdNS0_19identity_decomposerEEEEEvT0_T1_T2_T3_T4_SL_T5_.has_recursion, 0
	.set _ZN7rocprim17ROCPRIM_304000_NS6detail33device_block_merge_oddeven_kernelINS1_37wrapped_merge_sort_block_merge_configINS0_14default_configEdN2at4cuda3cub6detail10OpaqueTypeILi8EEEEEPdSC_PSA_SD_jNS1_19radix_merge_compareILb1ELb0EdNS0_19identity_decomposerEEEEEvT0_T1_T2_T3_T4_SL_T5_.has_indirect_call, 0
	.section	.AMDGPU.csdata,"",@progbits
; Kernel info:
; codeLenInByte = 932
; TotalNumSgprs: 26
; NumVgprs: 18
; ScratchSize: 0
; MemoryBound: 0
; FloatMode: 240
; IeeeMode: 1
; LDSByteSize: 0 bytes/workgroup (compile time only)
; SGPRBlocks: 3
; VGPRBlocks: 4
; NumSGPRsForWavesPerEU: 26
; NumVGPRsForWavesPerEU: 18
; Occupancy: 10
; WaveLimiterHint : 0
; COMPUTE_PGM_RSRC2:SCRATCH_EN: 0
; COMPUTE_PGM_RSRC2:USER_SGPR: 6
; COMPUTE_PGM_RSRC2:TRAP_HANDLER: 0
; COMPUTE_PGM_RSRC2:TGID_X_EN: 1
; COMPUTE_PGM_RSRC2:TGID_Y_EN: 0
; COMPUTE_PGM_RSRC2:TGID_Z_EN: 0
; COMPUTE_PGM_RSRC2:TIDIG_COMP_CNT: 0
	.section	.text._ZN7rocprim17ROCPRIM_304000_NS6detail16transform_kernelINS1_24wrapped_transform_configINS0_14default_configEdEEdPdS6_NS0_8identityIdEEEEvT1_mT2_T3_,"axG",@progbits,_ZN7rocprim17ROCPRIM_304000_NS6detail16transform_kernelINS1_24wrapped_transform_configINS0_14default_configEdEEdPdS6_NS0_8identityIdEEEEvT1_mT2_T3_,comdat
	.protected	_ZN7rocprim17ROCPRIM_304000_NS6detail16transform_kernelINS1_24wrapped_transform_configINS0_14default_configEdEEdPdS6_NS0_8identityIdEEEEvT1_mT2_T3_ ; -- Begin function _ZN7rocprim17ROCPRIM_304000_NS6detail16transform_kernelINS1_24wrapped_transform_configINS0_14default_configEdEEdPdS6_NS0_8identityIdEEEEvT1_mT2_T3_
	.globl	_ZN7rocprim17ROCPRIM_304000_NS6detail16transform_kernelINS1_24wrapped_transform_configINS0_14default_configEdEEdPdS6_NS0_8identityIdEEEEvT1_mT2_T3_
	.p2align	8
	.type	_ZN7rocprim17ROCPRIM_304000_NS6detail16transform_kernelINS1_24wrapped_transform_configINS0_14default_configEdEEdPdS6_NS0_8identityIdEEEEvT1_mT2_T3_,@function
_ZN7rocprim17ROCPRIM_304000_NS6detail16transform_kernelINS1_24wrapped_transform_configINS0_14default_configEdEEdPdS6_NS0_8identityIdEEEEvT1_mT2_T3_: ; @_ZN7rocprim17ROCPRIM_304000_NS6detail16transform_kernelINS1_24wrapped_transform_configINS0_14default_configEdEEdPdS6_NS0_8identityIdEEEEvT1_mT2_T3_
; %bb.0:
	s_load_dword s7, s[4:5], 0x20
	s_load_dwordx4 s[0:3], s[4:5], 0x0
	s_lshl_b32 s8, s6, 10
	s_waitcnt lgkmcnt(0)
	s_add_i32 s7, s7, -1
	s_cmp_lg_u32 s6, s7
	s_cselect_b64 s[6:7], -1, 0
	s_sub_i32 s2, s2, s8
	v_cmp_gt_u32_e32 vcc, s2, v0
	s_or_b64 s[2:3], vcc, s[6:7]
	s_and_saveexec_b64 s[6:7], s[2:3]
	s_cbranch_execz .LBB145_2
; %bb.1:
	s_load_dwordx2 s[2:3], s[4:5], 0x10
	s_mov_b32 s9, 0
	s_lshl_b64 s[4:5], s[8:9], 3
	v_lshlrev_b32_e32 v2, 3, v0
	s_waitcnt lgkmcnt(0)
	s_add_u32 s2, s2, s4
	s_addc_u32 s3, s3, s5
	s_add_u32 s0, s0, s4
	s_addc_u32 s1, s1, s5
	global_load_dwordx2 v[0:1], v2, s[0:1]
	s_waitcnt vmcnt(0)
	global_store_dwordx2 v2, v[0:1], s[2:3]
.LBB145_2:
	s_endpgm
	.section	.rodata,"a",@progbits
	.p2align	6, 0x0
	.amdhsa_kernel _ZN7rocprim17ROCPRIM_304000_NS6detail16transform_kernelINS1_24wrapped_transform_configINS0_14default_configEdEEdPdS6_NS0_8identityIdEEEEvT1_mT2_T3_
		.amdhsa_group_segment_fixed_size 0
		.amdhsa_private_segment_fixed_size 0
		.amdhsa_kernarg_size 288
		.amdhsa_user_sgpr_count 6
		.amdhsa_user_sgpr_private_segment_buffer 1
		.amdhsa_user_sgpr_dispatch_ptr 0
		.amdhsa_user_sgpr_queue_ptr 0
		.amdhsa_user_sgpr_kernarg_segment_ptr 1
		.amdhsa_user_sgpr_dispatch_id 0
		.amdhsa_user_sgpr_flat_scratch_init 0
		.amdhsa_user_sgpr_private_segment_size 0
		.amdhsa_uses_dynamic_stack 0
		.amdhsa_system_sgpr_private_segment_wavefront_offset 0
		.amdhsa_system_sgpr_workgroup_id_x 1
		.amdhsa_system_sgpr_workgroup_id_y 0
		.amdhsa_system_sgpr_workgroup_id_z 0
		.amdhsa_system_sgpr_workgroup_info 0
		.amdhsa_system_vgpr_workitem_id 0
		.amdhsa_next_free_vgpr 3
		.amdhsa_next_free_sgpr 10
		.amdhsa_reserve_vcc 1
		.amdhsa_reserve_flat_scratch 0
		.amdhsa_float_round_mode_32 0
		.amdhsa_float_round_mode_16_64 0
		.amdhsa_float_denorm_mode_32 3
		.amdhsa_float_denorm_mode_16_64 3
		.amdhsa_dx10_clamp 1
		.amdhsa_ieee_mode 1
		.amdhsa_fp16_overflow 0
		.amdhsa_exception_fp_ieee_invalid_op 0
		.amdhsa_exception_fp_denorm_src 0
		.amdhsa_exception_fp_ieee_div_zero 0
		.amdhsa_exception_fp_ieee_overflow 0
		.amdhsa_exception_fp_ieee_underflow 0
		.amdhsa_exception_fp_ieee_inexact 0
		.amdhsa_exception_int_div_zero 0
	.end_amdhsa_kernel
	.section	.text._ZN7rocprim17ROCPRIM_304000_NS6detail16transform_kernelINS1_24wrapped_transform_configINS0_14default_configEdEEdPdS6_NS0_8identityIdEEEEvT1_mT2_T3_,"axG",@progbits,_ZN7rocprim17ROCPRIM_304000_NS6detail16transform_kernelINS1_24wrapped_transform_configINS0_14default_configEdEEdPdS6_NS0_8identityIdEEEEvT1_mT2_T3_,comdat
.Lfunc_end145:
	.size	_ZN7rocprim17ROCPRIM_304000_NS6detail16transform_kernelINS1_24wrapped_transform_configINS0_14default_configEdEEdPdS6_NS0_8identityIdEEEEvT1_mT2_T3_, .Lfunc_end145-_ZN7rocprim17ROCPRIM_304000_NS6detail16transform_kernelINS1_24wrapped_transform_configINS0_14default_configEdEEdPdS6_NS0_8identityIdEEEEvT1_mT2_T3_
                                        ; -- End function
	.set _ZN7rocprim17ROCPRIM_304000_NS6detail16transform_kernelINS1_24wrapped_transform_configINS0_14default_configEdEEdPdS6_NS0_8identityIdEEEEvT1_mT2_T3_.num_vgpr, 3
	.set _ZN7rocprim17ROCPRIM_304000_NS6detail16transform_kernelINS1_24wrapped_transform_configINS0_14default_configEdEEdPdS6_NS0_8identityIdEEEEvT1_mT2_T3_.num_agpr, 0
	.set _ZN7rocprim17ROCPRIM_304000_NS6detail16transform_kernelINS1_24wrapped_transform_configINS0_14default_configEdEEdPdS6_NS0_8identityIdEEEEvT1_mT2_T3_.numbered_sgpr, 10
	.set _ZN7rocprim17ROCPRIM_304000_NS6detail16transform_kernelINS1_24wrapped_transform_configINS0_14default_configEdEEdPdS6_NS0_8identityIdEEEEvT1_mT2_T3_.num_named_barrier, 0
	.set _ZN7rocprim17ROCPRIM_304000_NS6detail16transform_kernelINS1_24wrapped_transform_configINS0_14default_configEdEEdPdS6_NS0_8identityIdEEEEvT1_mT2_T3_.private_seg_size, 0
	.set _ZN7rocprim17ROCPRIM_304000_NS6detail16transform_kernelINS1_24wrapped_transform_configINS0_14default_configEdEEdPdS6_NS0_8identityIdEEEEvT1_mT2_T3_.uses_vcc, 1
	.set _ZN7rocprim17ROCPRIM_304000_NS6detail16transform_kernelINS1_24wrapped_transform_configINS0_14default_configEdEEdPdS6_NS0_8identityIdEEEEvT1_mT2_T3_.uses_flat_scratch, 0
	.set _ZN7rocprim17ROCPRIM_304000_NS6detail16transform_kernelINS1_24wrapped_transform_configINS0_14default_configEdEEdPdS6_NS0_8identityIdEEEEvT1_mT2_T3_.has_dyn_sized_stack, 0
	.set _ZN7rocprim17ROCPRIM_304000_NS6detail16transform_kernelINS1_24wrapped_transform_configINS0_14default_configEdEEdPdS6_NS0_8identityIdEEEEvT1_mT2_T3_.has_recursion, 0
	.set _ZN7rocprim17ROCPRIM_304000_NS6detail16transform_kernelINS1_24wrapped_transform_configINS0_14default_configEdEEdPdS6_NS0_8identityIdEEEEvT1_mT2_T3_.has_indirect_call, 0
	.section	.AMDGPU.csdata,"",@progbits
; Kernel info:
; codeLenInByte = 120
; TotalNumSgprs: 14
; NumVgprs: 3
; ScratchSize: 0
; MemoryBound: 0
; FloatMode: 240
; IeeeMode: 1
; LDSByteSize: 0 bytes/workgroup (compile time only)
; SGPRBlocks: 1
; VGPRBlocks: 0
; NumSGPRsForWavesPerEU: 14
; NumVGPRsForWavesPerEU: 3
; Occupancy: 10
; WaveLimiterHint : 0
; COMPUTE_PGM_RSRC2:SCRATCH_EN: 0
; COMPUTE_PGM_RSRC2:USER_SGPR: 6
; COMPUTE_PGM_RSRC2:TRAP_HANDLER: 0
; COMPUTE_PGM_RSRC2:TGID_X_EN: 1
; COMPUTE_PGM_RSRC2:TGID_Y_EN: 0
; COMPUTE_PGM_RSRC2:TGID_Z_EN: 0
; COMPUTE_PGM_RSRC2:TIDIG_COMP_CNT: 0
	.section	.text._ZN7rocprim17ROCPRIM_304000_NS6detail26onesweep_histograms_kernelINS1_34wrapped_radix_sort_onesweep_configINS0_14default_configEdN2at4cuda3cub6detail10OpaqueTypeILi8EEEEELb1EPKdmNS0_19identity_decomposerEEEvT1_PT2_SG_SG_T3_jj,"axG",@progbits,_ZN7rocprim17ROCPRIM_304000_NS6detail26onesweep_histograms_kernelINS1_34wrapped_radix_sort_onesweep_configINS0_14default_configEdN2at4cuda3cub6detail10OpaqueTypeILi8EEEEELb1EPKdmNS0_19identity_decomposerEEEvT1_PT2_SG_SG_T3_jj,comdat
	.protected	_ZN7rocprim17ROCPRIM_304000_NS6detail26onesweep_histograms_kernelINS1_34wrapped_radix_sort_onesweep_configINS0_14default_configEdN2at4cuda3cub6detail10OpaqueTypeILi8EEEEELb1EPKdmNS0_19identity_decomposerEEEvT1_PT2_SG_SG_T3_jj ; -- Begin function _ZN7rocprim17ROCPRIM_304000_NS6detail26onesweep_histograms_kernelINS1_34wrapped_radix_sort_onesweep_configINS0_14default_configEdN2at4cuda3cub6detail10OpaqueTypeILi8EEEEELb1EPKdmNS0_19identity_decomposerEEEvT1_PT2_SG_SG_T3_jj
	.globl	_ZN7rocprim17ROCPRIM_304000_NS6detail26onesweep_histograms_kernelINS1_34wrapped_radix_sort_onesweep_configINS0_14default_configEdN2at4cuda3cub6detail10OpaqueTypeILi8EEEEELb1EPKdmNS0_19identity_decomposerEEEvT1_PT2_SG_SG_T3_jj
	.p2align	8
	.type	_ZN7rocprim17ROCPRIM_304000_NS6detail26onesweep_histograms_kernelINS1_34wrapped_radix_sort_onesweep_configINS0_14default_configEdN2at4cuda3cub6detail10OpaqueTypeILi8EEEEELb1EPKdmNS0_19identity_decomposerEEEvT1_PT2_SG_SG_T3_jj,@function
_ZN7rocprim17ROCPRIM_304000_NS6detail26onesweep_histograms_kernelINS1_34wrapped_radix_sort_onesweep_configINS0_14default_configEdN2at4cuda3cub6detail10OpaqueTypeILi8EEEEELb1EPKdmNS0_19identity_decomposerEEEvT1_PT2_SG_SG_T3_jj: ; @_ZN7rocprim17ROCPRIM_304000_NS6detail26onesweep_histograms_kernelINS1_34wrapped_radix_sort_onesweep_configINS0_14default_configEdN2at4cuda3cub6detail10OpaqueTypeILi8EEEEELb1EPKdmNS0_19identity_decomposerEEEvT1_PT2_SG_SG_T3_jj
; %bb.0:
	s_load_dwordx8 s[24:31], s[4:5], 0x0
	s_load_dwordx2 s[34:35], s[4:5], 0x24
	v_mov_b32_e32 v1, s6
	v_mov_b32_e32 v2, 0
	s_mul_hi_u32 s0, s6, 0x6000
	s_waitcnt lgkmcnt(0)
	v_cmp_le_u64_e32 vcc, s[30:31], v[1:2]
	s_mulk_i32 s6, 0x6000
	s_add_u32 s24, s24, s6
	s_addc_u32 s25, s25, s0
	s_mov_b64 s[0:1], -1
	v_lshlrev_b32_e32 v27, 3, v0
	s_cbranch_vccz .LBB146_82
; %bb.1:
	s_mul_i32 s0, s30, 0xfffff400
	s_add_i32 s28, s0, s28
	v_mov_b32_e32 v1, s25
	v_add_co_u32_e32 v25, vcc, s24, v27
	v_addc_co_u32_e32 v26, vcc, 0, v1, vcc
	v_cmp_gt_u32_e64 s[22:23], s28, v0
                                        ; implicit-def: $vgpr23_vgpr24
	s_and_saveexec_b64 s[0:1], s[22:23]
	s_cbranch_execz .LBB146_3
; %bb.2:
	global_load_dwordx2 v[23:24], v[25:26], off
.LBB146_3:
	s_or_b64 exec, exec, s[0:1]
	v_or_b32_e32 v1, 0x100, v0
	v_cmp_gt_u32_e64 s[20:21], s28, v1
                                        ; implicit-def: $vgpr21_vgpr22
	s_and_saveexec_b64 s[0:1], s[20:21]
	s_cbranch_execz .LBB146_5
; %bb.4:
	global_load_dwordx2 v[21:22], v[25:26], off offset:2048
.LBB146_5:
	s_or_b64 exec, exec, s[0:1]
	v_or_b32_e32 v1, 0x200, v0
	v_cmp_gt_u32_e64 s[18:19], s28, v1
                                        ; implicit-def: $vgpr19_vgpr20
	s_and_saveexec_b64 s[0:1], s[18:19]
	s_cbranch_execz .LBB146_7
; %bb.6:
	v_add_co_u32_e32 v1, vcc, 0x1000, v25
	v_addc_co_u32_e32 v2, vcc, 0, v26, vcc
	global_load_dwordx2 v[19:20], v[1:2], off
.LBB146_7:
	s_or_b64 exec, exec, s[0:1]
	v_or_b32_e32 v1, 0x300, v0
	v_cmp_gt_u32_e64 s[16:17], s28, v1
                                        ; implicit-def: $vgpr17_vgpr18
	s_and_saveexec_b64 s[0:1], s[16:17]
	s_cbranch_execz .LBB146_9
; %bb.8:
	v_add_co_u32_e32 v1, vcc, 0x1000, v25
	v_addc_co_u32_e32 v2, vcc, 0, v26, vcc
	global_load_dwordx2 v[17:18], v[1:2], off offset:2048
.LBB146_9:
	s_or_b64 exec, exec, s[0:1]
	v_or_b32_e32 v1, 0x400, v0
	v_cmp_gt_u32_e64 s[14:15], s28, v1
                                        ; implicit-def: $vgpr15_vgpr16
	s_and_saveexec_b64 s[0:1], s[14:15]
	s_cbranch_execz .LBB146_11
; %bb.10:
	v_add_co_u32_e32 v1, vcc, 0x2000, v25
	v_addc_co_u32_e32 v2, vcc, 0, v26, vcc
	global_load_dwordx2 v[15:16], v[1:2], off
.LBB146_11:
	s_or_b64 exec, exec, s[0:1]
	v_or_b32_e32 v1, 0x500, v0
	v_cmp_gt_u32_e64 s[12:13], s28, v1
                                        ; implicit-def: $vgpr13_vgpr14
	s_and_saveexec_b64 s[0:1], s[12:13]
	s_cbranch_execz .LBB146_13
; %bb.12:
	v_add_co_u32_e32 v1, vcc, 0x2000, v25
	v_addc_co_u32_e32 v2, vcc, 0, v26, vcc
	global_load_dwordx2 v[13:14], v[1:2], off offset:2048
.LBB146_13:
	s_or_b64 exec, exec, s[0:1]
	v_or_b32_e32 v1, 0x600, v0
	v_cmp_gt_u32_e64 s[10:11], s28, v1
                                        ; implicit-def: $vgpr11_vgpr12
	s_and_saveexec_b64 s[0:1], s[10:11]
	s_cbranch_execz .LBB146_15
; %bb.14:
	v_add_co_u32_e32 v1, vcc, 0x3000, v25
	v_addc_co_u32_e32 v2, vcc, 0, v26, vcc
	global_load_dwordx2 v[11:12], v[1:2], off
.LBB146_15:
	s_or_b64 exec, exec, s[0:1]
	v_or_b32_e32 v1, 0x700, v0
	v_cmp_gt_u32_e64 s[8:9], s28, v1
                                        ; implicit-def: $vgpr9_vgpr10
	s_and_saveexec_b64 s[0:1], s[8:9]
	s_cbranch_execz .LBB146_17
; %bb.16:
	v_add_co_u32_e32 v1, vcc, 0x3000, v25
	v_addc_co_u32_e32 v2, vcc, 0, v26, vcc
	global_load_dwordx2 v[9:10], v[1:2], off offset:2048
.LBB146_17:
	s_or_b64 exec, exec, s[0:1]
	v_or_b32_e32 v1, 0x800, v0
	v_cmp_gt_u32_e64 s[6:7], s28, v1
                                        ; implicit-def: $vgpr7_vgpr8
	s_and_saveexec_b64 s[0:1], s[6:7]
	s_cbranch_execz .LBB146_19
; %bb.18:
	v_add_co_u32_e32 v1, vcc, 0x4000, v25
	v_addc_co_u32_e32 v2, vcc, 0, v26, vcc
	global_load_dwordx2 v[7:8], v[1:2], off
.LBB146_19:
	s_or_b64 exec, exec, s[0:1]
	v_or_b32_e32 v1, 0x900, v0
	v_cmp_gt_u32_e64 s[4:5], s28, v1
                                        ; implicit-def: $vgpr5_vgpr6
	s_and_saveexec_b64 s[0:1], s[4:5]
	s_cbranch_execz .LBB146_21
; %bb.20:
	v_add_co_u32_e32 v1, vcc, 0x4000, v25
	v_addc_co_u32_e32 v2, vcc, 0, v26, vcc
	global_load_dwordx2 v[5:6], v[1:2], off offset:2048
.LBB146_21:
	s_or_b64 exec, exec, s[0:1]
	v_or_b32_e32 v1, 0xa00, v0
	v_cmp_gt_u32_e64 s[2:3], s28, v1
                                        ; implicit-def: $vgpr3_vgpr4
	s_and_saveexec_b64 s[0:1], s[2:3]
	s_cbranch_execz .LBB146_23
; %bb.22:
	v_add_co_u32_e32 v1, vcc, 0x5000, v25
	v_addc_co_u32_e32 v2, vcc, 0, v26, vcc
	global_load_dwordx2 v[3:4], v[1:2], off
.LBB146_23:
	s_or_b64 exec, exec, s[0:1]
	v_or_b32_e32 v1, 0xb00, v0
	v_cmp_gt_u32_e64 s[0:1], s28, v1
                                        ; implicit-def: $vgpr1_vgpr2
	s_and_saveexec_b64 s[28:29], s[0:1]
	s_cbranch_execz .LBB146_25
; %bb.24:
	v_add_co_u32_e32 v1, vcc, 0x5000, v25
	v_addc_co_u32_e32 v2, vcc, 0, v26, vcc
	global_load_dwordx2 v[1:2], v[1:2], off offset:2048
.LBB146_25:
	s_or_b64 exec, exec, s[28:29]
	v_or_b32_e32 v25, 0xffffff00, v0
	v_lshlrev_b32_e32 v26, 2, v0
	s_mov_b64 s[28:29], 0
	v_mov_b32_e32 v28, 0
	s_movk_i32 s30, 0x1eff
.LBB146_26:                             ; =>This Inner Loop Header: Depth=1
	v_add_u32_e32 v25, 0x100, v25
	v_cmp_lt_u32_e32 vcc, s30, v25
	ds_write_b32 v26, v28
	s_or_b64 s[28:29], vcc, s[28:29]
	v_add_u32_e32 v26, 0x400, v26
	s_andn2_b64 exec, exec, s[28:29]
	s_cbranch_execnz .LBB146_26
; %bb.27:
	s_or_b64 exec, exec, s[28:29]
	s_cmp_gt_u32 s35, s34
	s_cselect_b64 s[28:29], -1, 0
	s_cmp_le_u32 s35, s34
	s_waitcnt vmcnt(0) lgkmcnt(0)
	s_barrier
	s_cbranch_scc1 .LBB146_76
; %bb.28:
	v_cmp_gt_i64_e32 vcc, 0, v[23:24]
	v_bfrev_b32_e32 v26, -2
	v_ashrrev_i32_e32 v29, 31, v24
	s_mov_b32 s30, 0
	v_cndmask_b32_e64 v28, v26, 0, vcc
	v_not_b32_e32 v29, v29
	s_brev_b32 s31, 1
	v_xor_b32_e32 v24, v28, v24
	v_xor_b32_e32 v23, v29, v23
	v_and_b32_e32 v25, 3, v0
	v_cmp_ne_u64_e32 vcc, s[30:31], v[23:24]
	v_lshlrev_b32_e32 v25, 2, v25
	s_sub_i32 s33, s35, s34
	v_cndmask_b32_e32 v24, v26, v24, vcc
	v_cndmask_b32_e32 v23, -1, v23, vcc
	v_mov_b32_e32 v26, 1
	s_mov_b32 s36, s33
	v_mov_b32_e32 v28, v25
	s_mov_b32 s37, s34
	s_branch .LBB146_30
.LBB146_29:                             ;   in Loop: Header=BB146_30 Depth=1
	s_or_b64 exec, exec, s[30:31]
	s_add_i32 s37, s37, 8
	s_add_i32 s36, s36, -8
	s_cmp_ge_u32 s37, s35
	v_add_u32_e32 v28, 0x1000, v28
	s_cbranch_scc1 .LBB146_32
.LBB146_30:                             ; =>This Inner Loop Header: Depth=1
	s_and_saveexec_b64 s[30:31], s[22:23]
	s_cbranch_execz .LBB146_29
; %bb.31:                               ;   in Loop: Header=BB146_30 Depth=1
	v_lshrrev_b64 v[29:30], s37, v[23:24]
	s_min_u32 s38, s36, 8
	v_bfe_u32 v29, v29, 0, s38
	v_lshl_add_u32 v29, v29, 4, v28
	ds_add_u32 v29, v26
	s_branch .LBB146_29
.LBB146_32:
	v_cmp_gt_i64_e32 vcc, 0, v[21:22]
	v_bfrev_b32_e32 v23, -2
	v_ashrrev_i32_e32 v26, 31, v22
	s_mov_b32 s22, 0
	v_cndmask_b32_e64 v24, v23, 0, vcc
	v_not_b32_e32 v26, v26
	s_brev_b32 s23, 1
	v_xor_b32_e32 v22, v24, v22
	v_xor_b32_e32 v21, v26, v21
	v_cmp_ne_u64_e32 vcc, s[22:23], v[21:22]
	s_mov_b32 s30, s33
	v_cndmask_b32_e32 v22, v23, v22, vcc
	v_cndmask_b32_e32 v21, -1, v21, vcc
	v_mov_b32_e32 v23, 1
	v_mov_b32_e32 v24, v25
	s_mov_b32 s31, s34
	s_branch .LBB146_34
.LBB146_33:                             ;   in Loop: Header=BB146_34 Depth=1
	s_or_b64 exec, exec, s[22:23]
	s_add_i32 s31, s31, 8
	s_add_i32 s30, s30, -8
	s_cmp_lt_u32 s31, s35
	v_add_u32_e32 v24, 0x1000, v24
	s_cbranch_scc0 .LBB146_36
.LBB146_34:                             ; =>This Inner Loop Header: Depth=1
	s_and_saveexec_b64 s[22:23], s[20:21]
	s_cbranch_execz .LBB146_33
; %bb.35:                               ;   in Loop: Header=BB146_34 Depth=1
	v_lshrrev_b64 v[28:29], s31, v[21:22]
	s_min_u32 s36, s30, 8
	v_bfe_u32 v26, v28, 0, s36
	v_lshl_add_u32 v26, v26, 4, v24
	ds_add_u32 v26, v23
	s_branch .LBB146_33
.LBB146_36:
	v_cmp_gt_i64_e32 vcc, 0, v[19:20]
	v_bfrev_b32_e32 v21, -2
	v_ashrrev_i32_e32 v23, 31, v20
	s_mov_b32 s20, 0
	v_cndmask_b32_e64 v22, v21, 0, vcc
	v_not_b32_e32 v23, v23
	s_brev_b32 s21, 1
	v_xor_b32_e32 v20, v22, v20
	v_xor_b32_e32 v19, v23, v19
	v_cmp_ne_u64_e32 vcc, s[20:21], v[19:20]
	s_mov_b32 s22, s33
	v_cndmask_b32_e32 v20, v21, v20, vcc
	v_cndmask_b32_e32 v19, -1, v19, vcc
	v_mov_b32_e32 v21, 1
	v_mov_b32_e32 v22, v25
	s_mov_b32 s23, s34
	s_branch .LBB146_38
.LBB146_37:                             ;   in Loop: Header=BB146_38 Depth=1
	s_or_b64 exec, exec, s[20:21]
	s_add_i32 s23, s23, 8
	s_add_i32 s22, s22, -8
	s_cmp_lt_u32 s23, s35
	v_add_u32_e32 v22, 0x1000, v22
	s_cbranch_scc0 .LBB146_40
.LBB146_38:                             ; =>This Inner Loop Header: Depth=1
	s_and_saveexec_b64 s[20:21], s[18:19]
	s_cbranch_execz .LBB146_37
; %bb.39:                               ;   in Loop: Header=BB146_38 Depth=1
	v_lshrrev_b64 v[23:24], s23, v[19:20]
	s_min_u32 s30, s22, 8
	v_bfe_u32 v23, v23, 0, s30
	v_lshl_add_u32 v23, v23, 4, v22
	ds_add_u32 v23, v21
	s_branch .LBB146_37
.LBB146_40:
	;; [unrolled: 35-line block ×10, first 2 shown]
	v_cmp_gt_i64_e32 vcc, 0, v[1:2]
	v_bfrev_b32_e32 v3, -2
	v_ashrrev_i32_e32 v5, 31, v2
	s_mov_b32 s2, 0
	v_cndmask_b32_e64 v4, v3, 0, vcc
	v_not_b32_e32 v5, v5
	s_brev_b32 s3, 1
	v_xor_b32_e32 v2, v4, v2
	v_xor_b32_e32 v1, v5, v1
	v_cmp_ne_u64_e32 vcc, s[2:3], v[1:2]
	s_mov_b32 s4, s34
	v_cndmask_b32_e32 v2, v3, v2, vcc
	v_cndmask_b32_e32 v1, -1, v1, vcc
	v_mov_b32_e32 v3, 1
	s_branch .LBB146_74
.LBB146_73:                             ;   in Loop: Header=BB146_74 Depth=1
	s_or_b64 exec, exec, s[2:3]
	s_add_i32 s4, s4, 8
	s_add_i32 s33, s33, -8
	s_cmp_lt_u32 s4, s35
	v_add_u32_e32 v25, 0x1000, v25
	s_cbranch_scc0 .LBB146_76
.LBB146_74:                             ; =>This Inner Loop Header: Depth=1
	s_and_saveexec_b64 s[2:3], s[0:1]
	s_cbranch_execz .LBB146_73
; %bb.75:                               ;   in Loop: Header=BB146_74 Depth=1
	v_lshrrev_b64 v[4:5], s4, v[1:2]
	s_min_u32 s5, s33, 8
	v_bfe_u32 v4, v4, 0, s5
	v_lshl_add_u32 v4, v4, 4, v25
	ds_add_u32 v4, v3
	s_branch .LBB146_73
.LBB146_76:
	s_and_b64 vcc, exec, s[28:29]
	s_waitcnt lgkmcnt(0)
	s_barrier
	s_cbranch_vccz .LBB146_81
; %bb.77:
	s_movk_i32 s0, 0x100
	v_cmp_gt_u32_e32 vcc, s0, v0
	v_lshlrev_b32_e32 v3, 4, v0
	v_mov_b32_e32 v2, 0
	v_mov_b32_e32 v1, v0
	s_mov_b32 s4, s34
	s_branch .LBB146_79
.LBB146_78:                             ;   in Loop: Header=BB146_79 Depth=1
	s_or_b64 exec, exec, s[2:3]
	s_add_i32 s4, s4, 8
	v_add_u32_e32 v1, 0x100, v1
	s_cmp_lt_u32 s4, s35
	v_add_u32_e32 v3, 0x1000, v3
	s_cbranch_scc0 .LBB146_81
.LBB146_79:                             ; =>This Inner Loop Header: Depth=1
	s_and_saveexec_b64 s[2:3], vcc
	s_cbranch_execz .LBB146_78
; %bb.80:                               ;   in Loop: Header=BB146_79 Depth=1
	ds_read2_b32 v[4:5], v3 offset1:1
	ds_read2_b32 v[6:7], v3 offset0:2 offset1:3
	v_lshlrev_b64 v[8:9], 3, v[1:2]
	v_mov_b32_e32 v10, s27
	s_waitcnt lgkmcnt(1)
	v_add_u32_e32 v4, v5, v4
	s_waitcnt lgkmcnt(0)
	v_add3_u32 v4, v4, v6, v7
	v_add_co_u32_e64 v6, s[0:1], s26, v8
	v_addc_co_u32_e64 v7, s[0:1], v10, v9, s[0:1]
	v_mov_b32_e32 v5, v2
	global_atomic_add_x2 v[6:7], v[4:5], off
	s_branch .LBB146_78
.LBB146_81:
	s_mov_b64 s[0:1], 0
.LBB146_82:
	s_and_b64 vcc, exec, s[0:1]
	s_cbranch_vccz .LBB146_122
; %bb.83:
	v_mov_b32_e32 v1, s25
	v_add_co_u32_e32 v21, vcc, s24, v27
	v_addc_co_u32_e32 v22, vcc, 0, v1, vcc
	v_add_co_u32_e32 v1, vcc, 0x1000, v21
	v_addc_co_u32_e32 v2, vcc, 0, v22, vcc
	;; [unrolled: 2-line block ×3, first 2 shown]
	global_load_dwordx2 v[19:20], v[1:2], off
	global_load_dwordx2 v[17:18], v[1:2], off offset:2048
	global_load_dwordx2 v[15:16], v[3:4], off
	global_load_dwordx2 v[11:12], v[3:4], off offset:2048
	v_add_co_u32_e32 v1, vcc, 0x3000, v21
	v_addc_co_u32_e32 v2, vcc, 0, v22, vcc
	v_add_co_u32_e32 v5, vcc, 0x4000, v21
	v_addc_co_u32_e32 v6, vcc, 0, v22, vcc
	v_add_co_u32_e32 v25, vcc, 0x5000, v21
	global_load_dwordx2 v[13:14], v[1:2], off
	global_load_dwordx2 v[9:10], v[1:2], off offset:2048
	global_load_dwordx2 v[7:8], v[5:6], off
	global_load_dwordx2 v[3:4], v[5:6], off offset:2048
	v_addc_co_u32_e32 v26, vcc, 0, v22, vcc
	global_load_dwordx2 v[23:24], v27, s[24:25]
	global_load_dwordx2 v[21:22], v27, s[24:25] offset:2048
	global_load_dwordx2 v[5:6], v[25:26], off
	global_load_dwordx2 v[1:2], v[25:26], off offset:2048
	s_cmp_eq_u32 s34, 0
	s_cselect_b64 s[0:1], -1, 0
	s_cmp_eq_u32 s35, 64
	s_cselect_b64 s[2:3], -1, 0
	s_and_b64 s[2:3], s[0:1], s[2:3]
	v_mov_b32_e32 v25, 0
	s_mov_b64 s[0:1], -1
	s_and_b64 vcc, exec, s[2:3]
	v_lshlrev_b32_e32 v28, 2, v0
	s_cbranch_vccnz .LBB146_117
; %bb.84:
	v_or_b32_e32 v26, 0xffffff00, v0
	v_lshlrev_b32_e32 v29, 2, v0
	s_mov_b64 s[0:1], 0
	s_movk_i32 s2, 0x1eff
.LBB146_85:                             ; =>This Inner Loop Header: Depth=1
	v_add_u32_e32 v26, 0x100, v26
	v_cmp_lt_u32_e32 vcc, s2, v26
	ds_write_b32 v29, v25
	s_or_b64 s[0:1], vcc, s[0:1]
	v_add_u32_e32 v29, 0x400, v29
	s_andn2_b64 exec, exec, s[0:1]
	s_cbranch_execnz .LBB146_85
; %bb.86:
	s_or_b64 exec, exec, s[0:1]
	s_cmp_gt_u32 s35, s34
	s_cselect_b64 s[0:1], -1, 0
	s_cmp_le_u32 s35, s34
	s_waitcnt vmcnt(0) lgkmcnt(0)
	s_barrier
	s_cbranch_scc1 .LBB146_111
; %bb.87:
	v_cmp_gt_i64_e32 vcc, 0, v[23:24]
	v_bfrev_b32_e32 v30, -2
	v_ashrrev_i32_e32 v26, 31, v24
	s_mov_b32 s2, 0
	v_cndmask_b32_e64 v25, v30, 0, vcc
	v_not_b32_e32 v31, v26
	s_brev_b32 s3, 1
	v_xor_b32_e32 v26, v25, v24
	v_xor_b32_e32 v25, v31, v23
	v_and_b32_e32 v29, 3, v0
	v_cmp_ne_u64_e32 vcc, s[2:3], v[25:26]
	v_lshlrev_b32_e32 v29, 2, v29
	s_sub_i32 s2, s35, s34
	v_cndmask_b32_e32 v26, v30, v26, vcc
	v_cndmask_b32_e32 v25, -1, v25, vcc
	v_mov_b32_e32 v30, 1
	s_mov_b32 s3, s2
	v_mov_b32_e32 v31, v29
	s_mov_b32 s4, s34
.LBB146_88:                             ; =>This Inner Loop Header: Depth=1
	v_lshrrev_b64 v[32:33], s4, v[25:26]
	s_min_u32 s5, s3, 8
	v_bfe_u32 v32, v32, 0, s5
	v_lshl_add_u32 v32, v32, 4, v31
	ds_add_u32 v32, v30
	s_add_i32 s4, s4, 8
	s_add_i32 s3, s3, -8
	s_cmp_ge_u32 s4, s35
	v_add_u32_e32 v31, 0x1000, v31
	s_cbranch_scc0 .LBB146_88
; %bb.89:
	v_cmp_gt_i64_e32 vcc, 0, v[21:22]
	v_bfrev_b32_e32 v30, -2
	v_ashrrev_i32_e32 v26, 31, v22
	s_mov_b32 s4, 0
	v_cndmask_b32_e64 v25, v30, 0, vcc
	v_not_b32_e32 v31, v26
	s_brev_b32 s5, 1
	v_xor_b32_e32 v26, v25, v22
	v_xor_b32_e32 v25, v31, v21
	v_cmp_ne_u64_e32 vcc, s[4:5], v[25:26]
	s_mov_b32 s3, s2
	v_cndmask_b32_e32 v26, v30, v26, vcc
	v_cndmask_b32_e32 v25, -1, v25, vcc
	v_mov_b32_e32 v30, 1
	v_mov_b32_e32 v31, v29
	s_mov_b32 s4, s34
.LBB146_90:                             ; =>This Inner Loop Header: Depth=1
	v_lshrrev_b64 v[32:33], s4, v[25:26]
	s_min_u32 s5, s3, 8
	v_bfe_u32 v32, v32, 0, s5
	v_lshl_add_u32 v32, v32, 4, v31
	ds_add_u32 v32, v30
	s_add_i32 s4, s4, 8
	s_add_i32 s3, s3, -8
	s_cmp_lt_u32 s4, s35
	v_add_u32_e32 v31, 0x1000, v31
	s_cbranch_scc1 .LBB146_90
; %bb.91:
	v_cmp_gt_i64_e32 vcc, 0, v[19:20]
	v_bfrev_b32_e32 v30, -2
	v_ashrrev_i32_e32 v26, 31, v20
	s_mov_b32 s4, 0
	v_cndmask_b32_e64 v25, v30, 0, vcc
	v_not_b32_e32 v31, v26
	s_brev_b32 s5, 1
	v_xor_b32_e32 v26, v25, v20
	v_xor_b32_e32 v25, v31, v19
	v_cmp_ne_u64_e32 vcc, s[4:5], v[25:26]
	s_mov_b32 s3, s2
	v_cndmask_b32_e32 v26, v30, v26, vcc
	v_cndmask_b32_e32 v25, -1, v25, vcc
	v_mov_b32_e32 v30, 1
	v_mov_b32_e32 v31, v29
	s_mov_b32 s4, s34
.LBB146_92:                             ; =>This Inner Loop Header: Depth=1
	v_lshrrev_b64 v[32:33], s4, v[25:26]
	s_min_u32 s5, s3, 8
	v_bfe_u32 v32, v32, 0, s5
	v_lshl_add_u32 v32, v32, 4, v31
	ds_add_u32 v32, v30
	s_add_i32 s4, s4, 8
	s_add_i32 s3, s3, -8
	s_cmp_lt_u32 s4, s35
	v_add_u32_e32 v31, 0x1000, v31
	s_cbranch_scc1 .LBB146_92
	;; [unrolled: 28-line block ×5, first 2 shown]
; %bb.99:
	v_cmp_gt_i64_e32 vcc, 0, v[13:14]
	v_bfrev_b32_e32 v30, -2
	v_ashrrev_i32_e32 v26, 31, v14
	s_mov_b32 s4, 0
	v_cndmask_b32_e64 v25, v30, 0, vcc
	v_not_b32_e32 v31, v26
	s_brev_b32 s5, 1
	v_xor_b32_e32 v26, v25, v14
	v_xor_b32_e32 v25, v31, v13
	v_cmp_ne_u64_e32 vcc, s[4:5], v[25:26]
	s_mov_b32 s3, s2
	v_cndmask_b32_e32 v26, v30, v26, vcc
	v_cndmask_b32_e32 v25, -1, v25, vcc
	v_mov_b32_e32 v30, 1
	v_mov_b32_e32 v31, v29
	s_mov_b32 s4, s34
.LBB146_100:                            ; =>This Inner Loop Header: Depth=1
	v_lshrrev_b64 v[32:33], s4, v[25:26]
	s_min_u32 s5, s3, 8
	v_bfe_u32 v32, v32, 0, s5
	v_lshl_add_u32 v32, v32, 4, v31
	ds_add_u32 v32, v30
	s_add_i32 s4, s4, 8
	s_add_i32 s3, s3, -8
	s_cmp_lt_u32 s4, s35
	v_add_u32_e32 v31, 0x1000, v31
	s_cbranch_scc1 .LBB146_100
; %bb.101:
	v_cmp_gt_i64_e32 vcc, 0, v[9:10]
	v_bfrev_b32_e32 v30, -2
	v_ashrrev_i32_e32 v26, 31, v10
	s_mov_b32 s4, 0
	v_cndmask_b32_e64 v25, v30, 0, vcc
	v_not_b32_e32 v31, v26
	s_brev_b32 s5, 1
	v_xor_b32_e32 v26, v25, v10
	v_xor_b32_e32 v25, v31, v9
	v_cmp_ne_u64_e32 vcc, s[4:5], v[25:26]
	s_mov_b32 s3, s2
	v_cndmask_b32_e32 v26, v30, v26, vcc
	v_cndmask_b32_e32 v25, -1, v25, vcc
	v_mov_b32_e32 v30, 1
	v_mov_b32_e32 v31, v29
	s_mov_b32 s4, s34
.LBB146_102:                            ; =>This Inner Loop Header: Depth=1
	v_lshrrev_b64 v[32:33], s4, v[25:26]
	s_min_u32 s5, s3, 8
	v_bfe_u32 v32, v32, 0, s5
	v_lshl_add_u32 v32, v32, 4, v31
	ds_add_u32 v32, v30
	s_add_i32 s4, s4, 8
	s_add_i32 s3, s3, -8
	s_cmp_lt_u32 s4, s35
	v_add_u32_e32 v31, 0x1000, v31
	s_cbranch_scc1 .LBB146_102
	;; [unrolled: 28-line block ×5, first 2 shown]
; %bb.109:
	v_cmp_gt_i64_e32 vcc, 0, v[1:2]
	v_bfrev_b32_e32 v30, -2
	v_ashrrev_i32_e32 v26, 31, v2
	s_mov_b32 s4, 0
	v_cndmask_b32_e64 v25, v30, 0, vcc
	v_not_b32_e32 v31, v26
	s_brev_b32 s5, 1
	v_xor_b32_e32 v26, v25, v2
	v_xor_b32_e32 v25, v31, v1
	v_cmp_ne_u64_e32 vcc, s[4:5], v[25:26]
	s_mov_b32 s3, s34
	v_cndmask_b32_e32 v26, v30, v26, vcc
	v_cndmask_b32_e32 v25, -1, v25, vcc
	v_mov_b32_e32 v30, 1
.LBB146_110:                            ; =>This Inner Loop Header: Depth=1
	v_lshrrev_b64 v[31:32], s3, v[25:26]
	s_min_u32 s4, s2, 8
	v_bfe_u32 v31, v31, 0, s4
	v_lshl_add_u32 v31, v31, 4, v29
	ds_add_u32 v31, v30
	s_add_i32 s3, s3, 8
	s_add_i32 s2, s2, -8
	s_cmp_lt_u32 s3, s35
	v_add_u32_e32 v29, 0x1000, v29
	s_cbranch_scc1 .LBB146_110
.LBB146_111:
	s_and_b64 vcc, exec, s[0:1]
	s_waitcnt lgkmcnt(0)
	s_barrier
	s_cbranch_vccz .LBB146_116
; %bb.112:
	s_movk_i32 s0, 0x100
	v_cmp_gt_u32_e32 vcc, s0, v0
	v_lshlrev_b32_e32 v29, 4, v0
	v_mov_b32_e32 v26, 0
	v_mov_b32_e32 v25, v0
	s_branch .LBB146_114
.LBB146_113:                            ;   in Loop: Header=BB146_114 Depth=1
	s_or_b64 exec, exec, s[2:3]
	s_add_i32 s34, s34, 8
	v_add_u32_e32 v25, 0x100, v25
	s_cmp_ge_u32 s34, s35
	v_add_u32_e32 v29, 0x1000, v29
	s_cbranch_scc1 .LBB146_116
.LBB146_114:                            ; =>This Inner Loop Header: Depth=1
	s_and_saveexec_b64 s[2:3], vcc
	s_cbranch_execz .LBB146_113
; %bb.115:                              ;   in Loop: Header=BB146_114 Depth=1
	ds_read2_b32 v[30:31], v29 offset1:1
	ds_read2_b32 v[32:33], v29 offset0:2 offset1:3
	v_lshlrev_b64 v[34:35], 3, v[25:26]
	v_mov_b32_e32 v36, s27
	s_waitcnt lgkmcnt(1)
	v_add_u32_e32 v30, v31, v30
	s_waitcnt lgkmcnt(0)
	v_add3_u32 v30, v30, v32, v33
	v_add_co_u32_e64 v32, s[0:1], s26, v34
	v_addc_co_u32_e64 v33, s[0:1], v36, v35, s[0:1]
	v_mov_b32_e32 v31, v26
	global_atomic_add_x2 v[32:33], v[30:31], off
	s_branch .LBB146_113
.LBB146_116:
	s_mov_b64 s[0:1], 0
.LBB146_117:
	s_and_b64 vcc, exec, s[0:1]
	s_cbranch_vccz .LBB146_122
; %bb.118:
	v_or_b32_e32 v25, 0xffffff00, v0
	s_mov_b64 s[0:1], 0
	v_mov_b32_e32 v26, 0
	s_movk_i32 s2, 0x1eff
.LBB146_119:                            ; =>This Inner Loop Header: Depth=1
	v_add_u32_e32 v25, 0x100, v25
	v_cmp_lt_u32_e32 vcc, s2, v25
	ds_write_b32 v28, v26
	s_or_b64 s[0:1], vcc, s[0:1]
	v_add_u32_e32 v28, 0x400, v28
	s_andn2_b64 exec, exec, s[0:1]
	s_cbranch_execnz .LBB146_119
; %bb.120:
	s_or_b64 exec, exec, s[0:1]
	s_waitcnt vmcnt(3)
	v_cmp_gt_i64_e32 vcc, 0, v[23:24]
	v_bfrev_b32_e32 v25, -2
	v_cndmask_b32_e64 v26, v25, 0, vcc
	s_waitcnt vmcnt(2)
	v_cmp_gt_i64_e32 vcc, 0, v[21:22]
	v_ashrrev_i32_e32 v28, 31, v24
	v_not_b32_e32 v28, v28
	v_xor_b32_e32 v24, v26, v24
	v_cndmask_b32_e64 v26, v25, 0, vcc
	v_cmp_gt_i64_e32 vcc, 0, v[19:20]
	v_xor_b32_e32 v23, v28, v23
	v_ashrrev_i32_e32 v28, 31, v22
	v_not_b32_e32 v28, v28
	v_xor_b32_e32 v22, v26, v22
	v_cndmask_b32_e64 v26, v25, 0, vcc
	v_cmp_gt_i64_e32 vcc, 0, v[17:18]
	v_xor_b32_e32 v21, v28, v21
	;; [unrolled: 6-line block ×8, first 2 shown]
	v_ashrrev_i32_e32 v28, 31, v8
	v_not_b32_e32 v28, v28
	v_xor_b32_e32 v8, v26, v8
	v_cndmask_b32_e64 v26, v25, 0, vcc
	s_waitcnt vmcnt(1)
	v_cmp_gt_i64_e32 vcc, 0, v[5:6]
	v_xor_b32_e32 v7, v28, v7
	v_ashrrev_i32_e32 v28, 31, v4
	s_mov_b32 s0, 0
	v_not_b32_e32 v28, v28
	v_xor_b32_e32 v4, v26, v4
	v_cndmask_b32_e64 v26, v25, 0, vcc
	s_waitcnt vmcnt(0)
	v_cmp_gt_i64_e32 vcc, 0, v[1:2]
	s_brev_b32 s1, 1
	v_xor_b32_e32 v3, v28, v3
	v_ashrrev_i32_e32 v28, 31, v6
	v_not_b32_e32 v28, v28
	v_xor_b32_e32 v6, v26, v6
	v_cndmask_b32_e64 v26, v25, 0, vcc
	v_cmp_ne_u64_e32 vcc, s[0:1], v[23:24]
	v_xor_b32_e32 v5, v28, v5
	v_ashrrev_i32_e32 v28, 31, v2
	v_not_b32_e32 v28, v28
	v_xor_b32_e32 v2, v26, v2
	v_and_b32_e32 v26, 3, v0
	v_cndmask_b32_e32 v23, -1, v23, vcc
	v_xor_b32_e32 v1, v28, v1
	v_lshlrev_b32_e32 v28, 4, v23
	v_lshlrev_b32_e32 v26, 2, v26
	s_movk_i32 s2, 0xff0
	v_and_or_b32 v28, v28, s2, v26
	v_mov_b32_e32 v29, 1
	s_waitcnt lgkmcnt(0)
	s_barrier
	ds_add_u32 v28, v29
	v_bfe_u32 v28, v23, 8, 8
	v_lshl_or_b32 v28, v28, 4, v26
	ds_add_u32 v28, v29 offset:4096
	v_bfe_u32 v28, v23, 16, 8
	v_cndmask_b32_e32 v24, v25, v24, vcc
	v_lshl_or_b32 v28, v28, 4, v26
	ds_add_u32 v28, v29 offset:8192
	v_lshrrev_b32_e32 v28, 24, v23
	v_alignbit_b32 v23, v24, v23, 30
	v_lshl_or_b32 v28, v28, 4, v26
	v_and_b32_e32 v23, 0x3fc, v23
	ds_add_u32 v28, v29 offset:12288
	v_lshl_or_b32 v23, v23, 2, v26
	ds_add_u32 v23, v29 offset:16384
	v_bfe_u32 v23, v24, 8, 8
	v_lshl_or_b32 v23, v23, 4, v26
	ds_add_u32 v23, v29 offset:20480
	v_bfe_u32 v23, v24, 16, 8
	v_lshl_or_b32 v23, v23, 4, v26
	v_cmp_ne_u64_e32 vcc, s[0:1], v[21:22]
	ds_add_u32 v23, v29 offset:24576
	v_lshrrev_b32_e32 v23, 24, v24
	v_lshl_or_b32 v23, v23, 4, v26
	v_cndmask_b32_e32 v21, -1, v21, vcc
	ds_add_u32 v23, v29 offset:28672
	v_lshlrev_b32_e32 v23, 4, v21
	v_and_or_b32 v23, v23, s2, v26
	ds_add_u32 v23, v29
	v_bfe_u32 v23, v21, 8, 8
	v_lshl_or_b32 v23, v23, 4, v26
	ds_add_u32 v23, v29 offset:4096
	v_bfe_u32 v23, v21, 16, 8
	v_cndmask_b32_e32 v22, v25, v22, vcc
	v_lshl_or_b32 v23, v23, 4, v26
	ds_add_u32 v23, v29 offset:8192
	v_lshrrev_b32_e32 v23, 24, v21
	v_alignbit_b32 v21, v22, v21, 30
	v_lshl_or_b32 v23, v23, 4, v26
	v_and_b32_e32 v21, 0x3fc, v21
	ds_add_u32 v23, v29 offset:12288
	v_lshl_or_b32 v21, v21, 2, v26
	ds_add_u32 v21, v29 offset:16384
	v_bfe_u32 v21, v22, 8, 8
	v_lshl_or_b32 v21, v21, 4, v26
	ds_add_u32 v21, v29 offset:20480
	v_bfe_u32 v21, v22, 16, 8
	v_lshl_or_b32 v21, v21, 4, v26
	v_cmp_ne_u64_e32 vcc, s[0:1], v[19:20]
	ds_add_u32 v21, v29 offset:24576
	v_lshrrev_b32_e32 v21, 24, v22
	v_lshl_or_b32 v21, v21, 4, v26
	v_cndmask_b32_e32 v19, -1, v19, vcc
	ds_add_u32 v21, v29 offset:28672
	v_lshlrev_b32_e32 v21, 4, v19
	v_and_or_b32 v21, v21, s2, v26
	;; [unrolled: 28-line block ×5, first 2 shown]
	ds_add_u32 v15, v29
	v_bfe_u32 v15, v11, 8, 8
	v_lshl_or_b32 v15, v15, 4, v26
	ds_add_u32 v15, v29 offset:4096
	v_bfe_u32 v15, v11, 16, 8
	v_cndmask_b32_e32 v12, v25, v12, vcc
	v_lshl_or_b32 v15, v15, 4, v26
	ds_add_u32 v15, v29 offset:8192
	v_lshrrev_b32_e32 v15, 24, v11
	v_alignbit_b32 v11, v12, v11, 30
	v_lshl_or_b32 v15, v15, 4, v26
	v_and_b32_e32 v11, 0x3fc, v11
	ds_add_u32 v15, v29 offset:12288
	v_lshl_or_b32 v11, v11, 2, v26
	ds_add_u32 v11, v29 offset:16384
	v_bfe_u32 v11, v12, 8, 8
	v_lshl_or_b32 v11, v11, 4, v26
	ds_add_u32 v11, v29 offset:20480
	v_bfe_u32 v11, v12, 16, 8
	v_cmp_ne_u64_e32 vcc, s[0:1], v[13:14]
	v_lshl_or_b32 v11, v11, 4, v26
	ds_add_u32 v11, v29 offset:24576
	v_lshrrev_b32_e32 v11, 24, v12
	v_cndmask_b32_e32 v12, -1, v13, vcc
	v_lshl_or_b32 v11, v11, 4, v26
	v_lshlrev_b32_e32 v13, 4, v12
	ds_add_u32 v11, v29 offset:28672
	v_and_or_b32 v13, v13, s2, v26
	ds_add_u32 v13, v29
	v_bfe_u32 v13, v12, 8, 8
	v_lshl_or_b32 v13, v13, 4, v26
	ds_add_u32 v13, v29 offset:4096
	v_bfe_u32 v13, v12, 16, 8
	v_cndmask_b32_e32 v11, v25, v14, vcc
	v_lshl_or_b32 v13, v13, 4, v26
	ds_add_u32 v13, v29 offset:8192
	v_lshrrev_b32_e32 v13, 24, v12
	v_alignbit_b32 v12, v11, v12, 30
	v_lshl_or_b32 v13, v13, 4, v26
	v_and_b32_e32 v12, 0x3fc, v12
	ds_add_u32 v13, v29 offset:12288
	v_lshl_or_b32 v12, v12, 2, v26
	ds_add_u32 v12, v29 offset:16384
	v_bfe_u32 v12, v11, 8, 8
	v_lshl_or_b32 v12, v12, 4, v26
	ds_add_u32 v12, v29 offset:20480
	v_bfe_u32 v12, v11, 16, 8
	v_cmp_ne_u64_e32 vcc, s[0:1], v[9:10]
	v_lshl_or_b32 v12, v12, 4, v26
	v_lshrrev_b32_e32 v11, 24, v11
	ds_add_u32 v12, v29 offset:24576
	v_lshl_or_b32 v11, v11, 4, v26
	v_cndmask_b32_e32 v9, -1, v9, vcc
	ds_add_u32 v11, v29 offset:28672
	v_lshlrev_b32_e32 v11, 4, v9
	v_and_or_b32 v11, v11, s2, v26
	ds_add_u32 v11, v29
	v_bfe_u32 v11, v9, 8, 8
	v_lshl_or_b32 v11, v11, 4, v26
	ds_add_u32 v11, v29 offset:4096
	v_bfe_u32 v11, v9, 16, 8
	v_cndmask_b32_e32 v10, v25, v10, vcc
	v_lshl_or_b32 v11, v11, 4, v26
	ds_add_u32 v11, v29 offset:8192
	v_lshrrev_b32_e32 v11, 24, v9
	v_alignbit_b32 v9, v10, v9, 30
	v_lshl_or_b32 v11, v11, 4, v26
	v_and_b32_e32 v9, 0x3fc, v9
	ds_add_u32 v11, v29 offset:12288
	v_lshl_or_b32 v9, v9, 2, v26
	ds_add_u32 v9, v29 offset:16384
	v_bfe_u32 v9, v10, 8, 8
	v_lshl_or_b32 v9, v9, 4, v26
	ds_add_u32 v9, v29 offset:20480
	v_bfe_u32 v9, v10, 16, 8
	v_lshl_or_b32 v9, v9, 4, v26
	v_cmp_ne_u64_e32 vcc, s[0:1], v[7:8]
	ds_add_u32 v9, v29 offset:24576
	v_lshrrev_b32_e32 v9, 24, v10
	v_lshl_or_b32 v9, v9, 4, v26
	v_cndmask_b32_e32 v7, -1, v7, vcc
	ds_add_u32 v9, v29 offset:28672
	v_lshlrev_b32_e32 v9, 4, v7
	v_and_or_b32 v9, v9, s2, v26
	ds_add_u32 v9, v29
	v_bfe_u32 v9, v7, 8, 8
	v_lshl_or_b32 v9, v9, 4, v26
	ds_add_u32 v9, v29 offset:4096
	v_bfe_u32 v9, v7, 16, 8
	v_cndmask_b32_e32 v8, v25, v8, vcc
	v_lshl_or_b32 v9, v9, 4, v26
	ds_add_u32 v9, v29 offset:8192
	v_lshrrev_b32_e32 v9, 24, v7
	v_alignbit_b32 v7, v8, v7, 30
	v_lshl_or_b32 v9, v9, 4, v26
	v_and_b32_e32 v7, 0x3fc, v7
	ds_add_u32 v9, v29 offset:12288
	v_lshl_or_b32 v7, v7, 2, v26
	ds_add_u32 v7, v29 offset:16384
	v_bfe_u32 v7, v8, 8, 8
	v_lshl_or_b32 v7, v7, 4, v26
	ds_add_u32 v7, v29 offset:20480
	v_bfe_u32 v7, v8, 16, 8
	v_lshl_or_b32 v7, v7, 4, v26
	v_cmp_ne_u64_e32 vcc, s[0:1], v[3:4]
	ds_add_u32 v7, v29 offset:24576
	v_lshrrev_b32_e32 v7, 24, v8
	v_lshl_or_b32 v7, v7, 4, v26
	v_cndmask_b32_e32 v3, -1, v3, vcc
	ds_add_u32 v7, v29 offset:28672
	v_lshlrev_b32_e32 v7, 4, v3
	v_and_or_b32 v7, v7, s2, v26
	ds_add_u32 v7, v29
	v_bfe_u32 v7, v3, 8, 8
	v_lshl_or_b32 v7, v7, 4, v26
	ds_add_u32 v7, v29 offset:4096
	v_bfe_u32 v7, v3, 16, 8
	v_cndmask_b32_e32 v4, v25, v4, vcc
	v_lshl_or_b32 v7, v7, 4, v26
	ds_add_u32 v7, v29 offset:8192
	v_lshrrev_b32_e32 v7, 24, v3
	v_alignbit_b32 v3, v4, v3, 30
	v_lshl_or_b32 v7, v7, 4, v26
	v_and_b32_e32 v3, 0x3fc, v3
	ds_add_u32 v7, v29 offset:12288
	v_lshl_or_b32 v3, v3, 2, v26
	ds_add_u32 v3, v29 offset:16384
	v_bfe_u32 v3, v4, 8, 8
	v_lshl_or_b32 v3, v3, 4, v26
	ds_add_u32 v3, v29 offset:20480
	v_bfe_u32 v3, v4, 16, 8
	v_cmp_ne_u64_e32 vcc, s[0:1], v[5:6]
	v_lshl_or_b32 v3, v3, 4, v26
	ds_add_u32 v3, v29 offset:24576
	v_lshrrev_b32_e32 v3, 24, v4
	v_cndmask_b32_e32 v4, -1, v5, vcc
	v_lshl_or_b32 v3, v3, 4, v26
	v_lshlrev_b32_e32 v5, 4, v4
	ds_add_u32 v3, v29 offset:28672
	v_and_or_b32 v5, v5, s2, v26
	ds_add_u32 v5, v29
	v_bfe_u32 v5, v4, 8, 8
	v_lshl_or_b32 v5, v5, 4, v26
	ds_add_u32 v5, v29 offset:4096
	v_bfe_u32 v5, v4, 16, 8
	v_cndmask_b32_e32 v3, v25, v6, vcc
	v_lshl_or_b32 v5, v5, 4, v26
	ds_add_u32 v5, v29 offset:8192
	v_lshrrev_b32_e32 v5, 24, v4
	v_alignbit_b32 v4, v3, v4, 30
	v_lshl_or_b32 v5, v5, 4, v26
	v_and_b32_e32 v4, 0x3fc, v4
	ds_add_u32 v5, v29 offset:12288
	v_lshl_or_b32 v4, v4, 2, v26
	ds_add_u32 v4, v29 offset:16384
	v_bfe_u32 v4, v3, 8, 8
	v_lshl_or_b32 v4, v4, 4, v26
	ds_add_u32 v4, v29 offset:20480
	v_bfe_u32 v4, v3, 16, 8
	v_cmp_ne_u64_e32 vcc, s[0:1], v[1:2]
	v_lshl_or_b32 v4, v4, 4, v26
	v_lshrrev_b32_e32 v3, 24, v3
	ds_add_u32 v4, v29 offset:24576
	v_lshl_or_b32 v3, v3, 4, v26
	v_cndmask_b32_e32 v1, -1, v1, vcc
	ds_add_u32 v3, v29 offset:28672
	v_lshlrev_b32_e32 v3, 4, v1
	v_and_or_b32 v3, v3, s2, v26
	ds_add_u32 v3, v29
	v_bfe_u32 v3, v1, 8, 8
	v_lshl_or_b32 v3, v3, 4, v26
	ds_add_u32 v3, v29 offset:4096
	v_bfe_u32 v3, v1, 16, 8
	v_cndmask_b32_e32 v2, v25, v2, vcc
	v_lshl_or_b32 v3, v3, 4, v26
	ds_add_u32 v3, v29 offset:8192
	v_lshrrev_b32_e32 v3, 24, v1
	v_alignbit_b32 v1, v2, v1, 30
	v_lshl_or_b32 v3, v3, 4, v26
	v_and_b32_e32 v1, 0x3fc, v1
	ds_add_u32 v3, v29 offset:12288
	v_lshl_or_b32 v1, v1, 2, v26
	ds_add_u32 v1, v29 offset:16384
	v_bfe_u32 v1, v2, 8, 8
	v_lshl_or_b32 v1, v1, 4, v26
	ds_add_u32 v1, v29 offset:20480
	v_bfe_u32 v1, v2, 16, 8
	v_lshl_or_b32 v1, v1, 4, v26
	ds_add_u32 v1, v29 offset:24576
	v_lshrrev_b32_e32 v1, 24, v2
	v_lshl_or_b32 v1, v1, 4, v26
	ds_add_u32 v1, v29 offset:28672
	s_movk_i32 s0, 0x100
	v_cmp_gt_u32_e32 vcc, s0, v0
	s_waitcnt lgkmcnt(0)
	s_barrier
	s_and_saveexec_b64 s[0:1], vcc
	s_cbranch_execz .LBB146_122
; %bb.121:
	v_lshlrev_b32_e32 v9, 4, v0
	ds_read2_b32 v[0:1], v9 offset1:1
	ds_read2_b32 v[2:3], v9 offset0:2 offset1:3
	v_mov_b32_e32 v4, 0
	v_or_b32_e32 v5, 0x1000, v9
	v_or_b32_e32 v6, 0x1008, v9
	s_waitcnt lgkmcnt(1)
	v_add_u32_e32 v0, v1, v0
	s_waitcnt lgkmcnt(0)
	v_add3_u32 v3, v0, v2, v3
	global_atomic_add_x2 v27, v[3:4], s[26:27]
	ds_read2_b32 v[0:1], v5 offset1:1
	ds_read2_b32 v[2:3], v6 offset1:1
	v_or_b32_e32 v6, 0x2000, v9
	v_or_b32_e32 v7, 0x2008, v9
	v_mov_b32_e32 v5, s27
	s_waitcnt lgkmcnt(1)
	v_add_u32_e32 v0, v1, v0
	s_waitcnt lgkmcnt(0)
	v_add3_u32 v3, v0, v2, v3
	global_atomic_add_x2 v27, v[3:4], s[26:27] offset:2048
	ds_read2_b32 v[0:1], v6 offset1:1
	ds_read2_b32 v[2:3], v7 offset1:1
	v_add_co_u32_e32 v10, vcc, s26, v27
	v_addc_co_u32_e32 v11, vcc, 0, v5, vcc
	s_movk_i32 s1, 0x2000
	s_waitcnt lgkmcnt(1)
	v_add_u32_e32 v0, v1, v0
	s_waitcnt lgkmcnt(0)
	v_add3_u32 v3, v0, v2, v3
	v_add_co_u32_e32 v0, vcc, s1, v10
	v_addc_co_u32_e32 v1, vcc, 0, v11, vcc
	global_atomic_add_x2 v[0:1], v[3:4], off offset:-4096
	v_or_b32_e32 v2, 0x3000, v9
	v_or_b32_e32 v5, 0x3008, v9
	ds_read2_b32 v[2:3], v2 offset1:1
	ds_read2_b32 v[5:6], v5 offset1:1
	s_movk_i32 s0, 0x1000
	v_add_co_u32_e32 v7, vcc, s0, v10
	s_waitcnt lgkmcnt(1)
	v_add_u32_e32 v2, v3, v2
	v_addc_co_u32_e32 v8, vcc, 0, v11, vcc
	s_waitcnt lgkmcnt(0)
	v_add3_u32 v3, v2, v5, v6
	global_atomic_add_x2 v[7:8], v[3:4], off offset:2048
	v_or_b32_e32 v2, 0x4000, v9
	v_or_b32_e32 v5, 0x4008, v9
	ds_read2_b32 v[2:3], v2 offset1:1
	ds_read2_b32 v[5:6], v5 offset1:1
	s_movk_i32 s0, 0x3000
	s_waitcnt lgkmcnt(1)
	v_add_u32_e32 v2, v3, v2
	s_waitcnt lgkmcnt(0)
	v_add3_u32 v3, v2, v5, v6
	global_atomic_add_x2 v[0:1], v[3:4], off
	v_or_b32_e32 v2, 0x5000, v9
	v_or_b32_e32 v5, 0x5008, v9
	ds_read2_b32 v[2:3], v2 offset1:1
	ds_read2_b32 v[5:6], v5 offset1:1
	s_waitcnt lgkmcnt(1)
	v_add_u32_e32 v2, v3, v2
	s_waitcnt lgkmcnt(0)
	v_add3_u32 v3, v2, v5, v6
	global_atomic_add_x2 v[0:1], v[3:4], off offset:2048
	v_or_b32_e32 v0, 0x6000, v9
	v_or_b32_e32 v2, 0x6008, v9
	ds_read2_b32 v[0:1], v0 offset1:1
	ds_read2_b32 v[2:3], v2 offset1:1
	v_or_b32_e32 v5, 0x7008, v9
	s_waitcnt lgkmcnt(1)
	v_add_u32_e32 v0, v1, v0
	s_waitcnt lgkmcnt(0)
	v_add3_u32 v3, v0, v2, v3
	v_add_co_u32_e32 v0, vcc, s0, v10
	v_addc_co_u32_e32 v1, vcc, 0, v11, vcc
	global_atomic_add_x2 v[0:1], v[3:4], off
	v_or_b32_e32 v2, 0x7000, v9
	ds_read2_b32 v[2:3], v2 offset1:1
	ds_read2_b32 v[5:6], v5 offset1:1
	s_waitcnt lgkmcnt(1)
	v_add_u32_e32 v2, v3, v2
	s_waitcnt lgkmcnt(0)
	v_add3_u32 v3, v2, v5, v6
	global_atomic_add_x2 v[0:1], v[3:4], off offset:2048
.LBB146_122:
	s_endpgm
	.section	.rodata,"a",@progbits
	.p2align	6, 0x0
	.amdhsa_kernel _ZN7rocprim17ROCPRIM_304000_NS6detail26onesweep_histograms_kernelINS1_34wrapped_radix_sort_onesweep_configINS0_14default_configEdN2at4cuda3cub6detail10OpaqueTypeILi8EEEEELb1EPKdmNS0_19identity_decomposerEEEvT1_PT2_SG_SG_T3_jj
		.amdhsa_group_segment_fixed_size 32768
		.amdhsa_private_segment_fixed_size 0
		.amdhsa_kernarg_size 44
		.amdhsa_user_sgpr_count 6
		.amdhsa_user_sgpr_private_segment_buffer 1
		.amdhsa_user_sgpr_dispatch_ptr 0
		.amdhsa_user_sgpr_queue_ptr 0
		.amdhsa_user_sgpr_kernarg_segment_ptr 1
		.amdhsa_user_sgpr_dispatch_id 0
		.amdhsa_user_sgpr_flat_scratch_init 0
		.amdhsa_user_sgpr_private_segment_size 0
		.amdhsa_uses_dynamic_stack 0
		.amdhsa_system_sgpr_private_segment_wavefront_offset 0
		.amdhsa_system_sgpr_workgroup_id_x 1
		.amdhsa_system_sgpr_workgroup_id_y 0
		.amdhsa_system_sgpr_workgroup_id_z 0
		.amdhsa_system_sgpr_workgroup_info 0
		.amdhsa_system_vgpr_workitem_id 0
		.amdhsa_next_free_vgpr 85
		.amdhsa_next_free_sgpr 98
		.amdhsa_reserve_vcc 1
		.amdhsa_reserve_flat_scratch 0
		.amdhsa_float_round_mode_32 0
		.amdhsa_float_round_mode_16_64 0
		.amdhsa_float_denorm_mode_32 3
		.amdhsa_float_denorm_mode_16_64 3
		.amdhsa_dx10_clamp 1
		.amdhsa_ieee_mode 1
		.amdhsa_fp16_overflow 0
		.amdhsa_exception_fp_ieee_invalid_op 0
		.amdhsa_exception_fp_denorm_src 0
		.amdhsa_exception_fp_ieee_div_zero 0
		.amdhsa_exception_fp_ieee_overflow 0
		.amdhsa_exception_fp_ieee_underflow 0
		.amdhsa_exception_fp_ieee_inexact 0
		.amdhsa_exception_int_div_zero 0
	.end_amdhsa_kernel
	.section	.text._ZN7rocprim17ROCPRIM_304000_NS6detail26onesweep_histograms_kernelINS1_34wrapped_radix_sort_onesweep_configINS0_14default_configEdN2at4cuda3cub6detail10OpaqueTypeILi8EEEEELb1EPKdmNS0_19identity_decomposerEEEvT1_PT2_SG_SG_T3_jj,"axG",@progbits,_ZN7rocprim17ROCPRIM_304000_NS6detail26onesweep_histograms_kernelINS1_34wrapped_radix_sort_onesweep_configINS0_14default_configEdN2at4cuda3cub6detail10OpaqueTypeILi8EEEEELb1EPKdmNS0_19identity_decomposerEEEvT1_PT2_SG_SG_T3_jj,comdat
.Lfunc_end146:
	.size	_ZN7rocprim17ROCPRIM_304000_NS6detail26onesweep_histograms_kernelINS1_34wrapped_radix_sort_onesweep_configINS0_14default_configEdN2at4cuda3cub6detail10OpaqueTypeILi8EEEEELb1EPKdmNS0_19identity_decomposerEEEvT1_PT2_SG_SG_T3_jj, .Lfunc_end146-_ZN7rocprim17ROCPRIM_304000_NS6detail26onesweep_histograms_kernelINS1_34wrapped_radix_sort_onesweep_configINS0_14default_configEdN2at4cuda3cub6detail10OpaqueTypeILi8EEEEELb1EPKdmNS0_19identity_decomposerEEEvT1_PT2_SG_SG_T3_jj
                                        ; -- End function
	.set _ZN7rocprim17ROCPRIM_304000_NS6detail26onesweep_histograms_kernelINS1_34wrapped_radix_sort_onesweep_configINS0_14default_configEdN2at4cuda3cub6detail10OpaqueTypeILi8EEEEELb1EPKdmNS0_19identity_decomposerEEEvT1_PT2_SG_SG_T3_jj.num_vgpr, 37
	.set _ZN7rocprim17ROCPRIM_304000_NS6detail26onesweep_histograms_kernelINS1_34wrapped_radix_sort_onesweep_configINS0_14default_configEdN2at4cuda3cub6detail10OpaqueTypeILi8EEEEELb1EPKdmNS0_19identity_decomposerEEEvT1_PT2_SG_SG_T3_jj.num_agpr, 0
	.set _ZN7rocprim17ROCPRIM_304000_NS6detail26onesweep_histograms_kernelINS1_34wrapped_radix_sort_onesweep_configINS0_14default_configEdN2at4cuda3cub6detail10OpaqueTypeILi8EEEEELb1EPKdmNS0_19identity_decomposerEEEvT1_PT2_SG_SG_T3_jj.numbered_sgpr, 39
	.set _ZN7rocprim17ROCPRIM_304000_NS6detail26onesweep_histograms_kernelINS1_34wrapped_radix_sort_onesweep_configINS0_14default_configEdN2at4cuda3cub6detail10OpaqueTypeILi8EEEEELb1EPKdmNS0_19identity_decomposerEEEvT1_PT2_SG_SG_T3_jj.num_named_barrier, 0
	.set _ZN7rocprim17ROCPRIM_304000_NS6detail26onesweep_histograms_kernelINS1_34wrapped_radix_sort_onesweep_configINS0_14default_configEdN2at4cuda3cub6detail10OpaqueTypeILi8EEEEELb1EPKdmNS0_19identity_decomposerEEEvT1_PT2_SG_SG_T3_jj.private_seg_size, 0
	.set _ZN7rocprim17ROCPRIM_304000_NS6detail26onesweep_histograms_kernelINS1_34wrapped_radix_sort_onesweep_configINS0_14default_configEdN2at4cuda3cub6detail10OpaqueTypeILi8EEEEELb1EPKdmNS0_19identity_decomposerEEEvT1_PT2_SG_SG_T3_jj.uses_vcc, 1
	.set _ZN7rocprim17ROCPRIM_304000_NS6detail26onesweep_histograms_kernelINS1_34wrapped_radix_sort_onesweep_configINS0_14default_configEdN2at4cuda3cub6detail10OpaqueTypeILi8EEEEELb1EPKdmNS0_19identity_decomposerEEEvT1_PT2_SG_SG_T3_jj.uses_flat_scratch, 0
	.set _ZN7rocprim17ROCPRIM_304000_NS6detail26onesweep_histograms_kernelINS1_34wrapped_radix_sort_onesweep_configINS0_14default_configEdN2at4cuda3cub6detail10OpaqueTypeILi8EEEEELb1EPKdmNS0_19identity_decomposerEEEvT1_PT2_SG_SG_T3_jj.has_dyn_sized_stack, 0
	.set _ZN7rocprim17ROCPRIM_304000_NS6detail26onesweep_histograms_kernelINS1_34wrapped_radix_sort_onesweep_configINS0_14default_configEdN2at4cuda3cub6detail10OpaqueTypeILi8EEEEELb1EPKdmNS0_19identity_decomposerEEEvT1_PT2_SG_SG_T3_jj.has_recursion, 0
	.set _ZN7rocprim17ROCPRIM_304000_NS6detail26onesweep_histograms_kernelINS1_34wrapped_radix_sort_onesweep_configINS0_14default_configEdN2at4cuda3cub6detail10OpaqueTypeILi8EEEEELb1EPKdmNS0_19identity_decomposerEEEvT1_PT2_SG_SG_T3_jj.has_indirect_call, 0
	.section	.AMDGPU.csdata,"",@progbits
; Kernel info:
; codeLenInByte = 8088
; TotalNumSgprs: 43
; NumVgprs: 37
; ScratchSize: 0
; MemoryBound: 0
; FloatMode: 240
; IeeeMode: 1
; LDSByteSize: 32768 bytes/workgroup (compile time only)
; SGPRBlocks: 12
; VGPRBlocks: 21
; NumSGPRsForWavesPerEU: 102
; NumVGPRsForWavesPerEU: 85
; Occupancy: 2
; WaveLimiterHint : 1
; COMPUTE_PGM_RSRC2:SCRATCH_EN: 0
; COMPUTE_PGM_RSRC2:USER_SGPR: 6
; COMPUTE_PGM_RSRC2:TRAP_HANDLER: 0
; COMPUTE_PGM_RSRC2:TGID_X_EN: 1
; COMPUTE_PGM_RSRC2:TGID_Y_EN: 0
; COMPUTE_PGM_RSRC2:TGID_Z_EN: 0
; COMPUTE_PGM_RSRC2:TIDIG_COMP_CNT: 0
	.section	.text._ZN7rocprim17ROCPRIM_304000_NS6detail31onesweep_scan_histograms_kernelINS1_34wrapped_radix_sort_onesweep_configINS0_14default_configEdN2at4cuda3cub6detail10OpaqueTypeILi8EEEEEmEEvPT0_,"axG",@progbits,_ZN7rocprim17ROCPRIM_304000_NS6detail31onesweep_scan_histograms_kernelINS1_34wrapped_radix_sort_onesweep_configINS0_14default_configEdN2at4cuda3cub6detail10OpaqueTypeILi8EEEEEmEEvPT0_,comdat
	.protected	_ZN7rocprim17ROCPRIM_304000_NS6detail31onesweep_scan_histograms_kernelINS1_34wrapped_radix_sort_onesweep_configINS0_14default_configEdN2at4cuda3cub6detail10OpaqueTypeILi8EEEEEmEEvPT0_ ; -- Begin function _ZN7rocprim17ROCPRIM_304000_NS6detail31onesweep_scan_histograms_kernelINS1_34wrapped_radix_sort_onesweep_configINS0_14default_configEdN2at4cuda3cub6detail10OpaqueTypeILi8EEEEEmEEvPT0_
	.globl	_ZN7rocprim17ROCPRIM_304000_NS6detail31onesweep_scan_histograms_kernelINS1_34wrapped_radix_sort_onesweep_configINS0_14default_configEdN2at4cuda3cub6detail10OpaqueTypeILi8EEEEEmEEvPT0_
	.p2align	8
	.type	_ZN7rocprim17ROCPRIM_304000_NS6detail31onesweep_scan_histograms_kernelINS1_34wrapped_radix_sort_onesweep_configINS0_14default_configEdN2at4cuda3cub6detail10OpaqueTypeILi8EEEEEmEEvPT0_,@function
_ZN7rocprim17ROCPRIM_304000_NS6detail31onesweep_scan_histograms_kernelINS1_34wrapped_radix_sort_onesweep_configINS0_14default_configEdN2at4cuda3cub6detail10OpaqueTypeILi8EEEEEmEEvPT0_: ; @_ZN7rocprim17ROCPRIM_304000_NS6detail31onesweep_scan_histograms_kernelINS1_34wrapped_radix_sort_onesweep_configINS0_14default_configEdN2at4cuda3cub6detail10OpaqueTypeILi8EEEEEmEEvPT0_
; %bb.0:
	s_load_dwordx2 s[0:1], s[4:5], 0x0
	s_lshl_b32 s2, s6, 8
	s_mov_b32 s3, 0
	s_lshl_b64 s[2:3], s[2:3], 3
	v_lshlrev_b32_e32 v5, 3, v0
	s_waitcnt lgkmcnt(0)
	s_add_u32 s2, s0, s2
	s_movk_i32 s0, 0x100
	s_addc_u32 s3, s1, s3
	v_cmp_gt_u32_e32 vcc, s0, v0
                                        ; implicit-def: $vgpr1_vgpr2
	s_and_saveexec_b64 s[0:1], vcc
	s_cbranch_execz .LBB147_2
; %bb.1:
	global_load_dwordx2 v[1:2], v5, s[2:3]
.LBB147_2:
	s_or_b64 exec, exec, s[0:1]
	v_mbcnt_lo_u32_b32 v3, -1, 0
	v_mbcnt_hi_u32_b32 v6, -1, v3
	v_and_b32_e32 v4, 15, v6
	s_waitcnt vmcnt(0)
	v_mov_b32_dpp v8, v1 row_shr:1 row_mask:0xf bank_mask:0xf
	v_mov_b32_dpp v7, v2 row_shr:1 row_mask:0xf bank_mask:0xf
	v_cmp_ne_u32_e64 s[0:1], 0, v4
	v_mov_b32_e32 v3, v1
	s_and_saveexec_b64 s[4:5], s[0:1]
; %bb.3:
	v_add_co_u32_e64 v3, s[0:1], v1, v8
	v_addc_co_u32_e64 v2, s[0:1], 0, v2, s[0:1]
	v_add_co_u32_e64 v1, s[0:1], 0, v3
	v_addc_co_u32_e64 v2, s[0:1], v7, v2, s[0:1]
; %bb.4:
	s_or_b64 exec, exec, s[4:5]
	v_mov_b32_dpp v8, v3 row_shr:2 row_mask:0xf bank_mask:0xf
	v_mov_b32_dpp v7, v2 row_shr:2 row_mask:0xf bank_mask:0xf
	v_cmp_lt_u32_e64 s[0:1], 1, v4
	s_and_saveexec_b64 s[4:5], s[0:1]
; %bb.5:
	v_add_co_u32_e64 v3, s[0:1], v1, v8
	v_addc_co_u32_e64 v2, s[0:1], 0, v2, s[0:1]
	v_add_co_u32_e64 v1, s[0:1], 0, v3
	v_addc_co_u32_e64 v2, s[0:1], v7, v2, s[0:1]
; %bb.6:
	s_or_b64 exec, exec, s[4:5]
	v_mov_b32_dpp v8, v3 row_shr:4 row_mask:0xf bank_mask:0xf
	v_mov_b32_dpp v7, v2 row_shr:4 row_mask:0xf bank_mask:0xf
	v_cmp_lt_u32_e64 s[0:1], 3, v4
	;; [unrolled: 11-line block ×3, first 2 shown]
	s_and_saveexec_b64 s[4:5], s[0:1]
; %bb.9:
	v_add_co_u32_e64 v3, s[0:1], v1, v8
	v_addc_co_u32_e64 v2, s[0:1], 0, v2, s[0:1]
	v_add_co_u32_e64 v1, s[0:1], 0, v3
	v_addc_co_u32_e64 v2, s[0:1], v7, v2, s[0:1]
; %bb.10:
	s_or_b64 exec, exec, s[4:5]
	v_and_b32_e32 v8, 16, v6
	v_mov_b32_dpp v7, v3 row_bcast:15 row_mask:0xf bank_mask:0xf
	v_mov_b32_dpp v4, v2 row_bcast:15 row_mask:0xf bank_mask:0xf
	v_cmp_ne_u32_e64 s[0:1], 0, v8
	s_and_saveexec_b64 s[4:5], s[0:1]
; %bb.11:
	v_add_co_u32_e64 v3, s[0:1], v1, v7
	v_addc_co_u32_e64 v2, s[0:1], 0, v2, s[0:1]
	v_add_co_u32_e64 v1, s[0:1], 0, v3
	v_addc_co_u32_e64 v2, s[0:1], v4, v2, s[0:1]
; %bb.12:
	s_or_b64 exec, exec, s[4:5]
	v_mov_b32_dpp v3, v3 row_bcast:31 row_mask:0xf bank_mask:0xf
	v_add_co_u32_e64 v3, s[0:1], v1, v3
	v_addc_co_u32_e64 v7, s[0:1], 0, v2, s[0:1]
	v_mov_b32_dpp v4, v2 row_bcast:31 row_mask:0xf bank_mask:0xf
	v_add_co_u32_e64 v3, s[0:1], 0, v3
	v_addc_co_u32_e64 v4, s[0:1], v7, v4, s[0:1]
	v_cmp_lt_u32_e64 s[0:1], 31, v6
	v_cndmask_b32_e64 v1, v1, v3, s[0:1]
	v_or_b32_e32 v3, 63, v0
	v_cndmask_b32_e64 v2, v2, v4, s[0:1]
	v_lshrrev_b32_e32 v7, 6, v0
	v_cmp_eq_u32_e64 s[0:1], v0, v3
	s_and_saveexec_b64 s[4:5], s[0:1]
; %bb.13:
	v_lshlrev_b32_e32 v3, 3, v7
	ds_write_b64 v3, v[1:2]
; %bb.14:
	s_or_b64 exec, exec, s[4:5]
	v_cmp_gt_u32_e64 s[0:1], 4, v0
	s_waitcnt lgkmcnt(0)
	s_barrier
	s_and_saveexec_b64 s[4:5], s[0:1]
	s_cbranch_execz .LBB147_18
; %bb.15:
	ds_read_b64 v[3:4], v5
	v_and_b32_e32 v8, 3, v6
	v_cmp_ne_u32_e64 s[0:1], 0, v8
	s_waitcnt lgkmcnt(0)
	v_mov_b32_dpp v11, v3 row_shr:1 row_mask:0xf bank_mask:0xf
	v_mov_b32_dpp v10, v4 row_shr:1 row_mask:0xf bank_mask:0xf
	v_mov_b32_e32 v9, v3
	s_and_saveexec_b64 s[6:7], s[0:1]
; %bb.16:
	v_add_co_u32_e64 v9, s[0:1], v3, v11
	v_addc_co_u32_e64 v4, s[0:1], 0, v4, s[0:1]
	v_add_co_u32_e64 v3, s[0:1], 0, v9
	v_addc_co_u32_e64 v4, s[0:1], v10, v4, s[0:1]
; %bb.17:
	s_or_b64 exec, exec, s[6:7]
	v_mov_b32_dpp v9, v9 row_shr:2 row_mask:0xf bank_mask:0xf
	v_cmp_lt_u32_e64 s[0:1], 1, v8
	v_mov_b32_dpp v10, v4 row_shr:2 row_mask:0xf bank_mask:0xf
	v_cndmask_b32_e64 v9, 0, v9, s[0:1]
	v_cndmask_b32_e64 v8, 0, v10, s[0:1]
	v_add_co_u32_e64 v3, s[0:1], v9, v3
	v_addc_co_u32_e64 v4, s[0:1], v8, v4, s[0:1]
	ds_write_b64 v5, v[3:4]
.LBB147_18:
	s_or_b64 exec, exec, s[4:5]
	v_mov_b32_e32 v3, 0
	v_mov_b32_e32 v4, 0
	v_cmp_lt_u32_e64 s[0:1], 63, v0
	s_waitcnt lgkmcnt(0)
	s_barrier
	s_and_saveexec_b64 s[4:5], s[0:1]
; %bb.19:
	v_lshl_add_u32 v0, v7, 3, -8
	ds_read_b64 v[3:4], v0
; %bb.20:
	s_or_b64 exec, exec, s[4:5]
	s_waitcnt lgkmcnt(0)
	v_add_co_u32_e64 v0, s[0:1], v3, v1
	v_addc_co_u32_e64 v1, s[0:1], v4, v2, s[0:1]
	v_add_u32_e32 v2, -1, v6
	v_and_b32_e32 v7, 64, v6
	v_cmp_lt_i32_e64 s[0:1], v2, v7
	v_cndmask_b32_e64 v2, v2, v6, s[0:1]
	v_lshlrev_b32_e32 v2, 2, v2
	ds_bpermute_b32 v0, v2, v0
	ds_bpermute_b32 v1, v2, v1
	s_and_saveexec_b64 s[0:1], vcc
	s_cbranch_execz .LBB147_22
; %bb.21:
	v_cmp_eq_u32_e32 vcc, 0, v6
	s_waitcnt lgkmcnt(0)
	v_cndmask_b32_e32 v1, v1, v4, vcc
	v_cndmask_b32_e32 v0, v0, v3, vcc
	global_store_dwordx2 v5, v[0:1], s[2:3]
.LBB147_22:
	s_endpgm
	.section	.rodata,"a",@progbits
	.p2align	6, 0x0
	.amdhsa_kernel _ZN7rocprim17ROCPRIM_304000_NS6detail31onesweep_scan_histograms_kernelINS1_34wrapped_radix_sort_onesweep_configINS0_14default_configEdN2at4cuda3cub6detail10OpaqueTypeILi8EEEEEmEEvPT0_
		.amdhsa_group_segment_fixed_size 32
		.amdhsa_private_segment_fixed_size 0
		.amdhsa_kernarg_size 8
		.amdhsa_user_sgpr_count 6
		.amdhsa_user_sgpr_private_segment_buffer 1
		.amdhsa_user_sgpr_dispatch_ptr 0
		.amdhsa_user_sgpr_queue_ptr 0
		.amdhsa_user_sgpr_kernarg_segment_ptr 1
		.amdhsa_user_sgpr_dispatch_id 0
		.amdhsa_user_sgpr_flat_scratch_init 0
		.amdhsa_user_sgpr_private_segment_size 0
		.amdhsa_uses_dynamic_stack 0
		.amdhsa_system_sgpr_private_segment_wavefront_offset 0
		.amdhsa_system_sgpr_workgroup_id_x 1
		.amdhsa_system_sgpr_workgroup_id_y 0
		.amdhsa_system_sgpr_workgroup_id_z 0
		.amdhsa_system_sgpr_workgroup_info 0
		.amdhsa_system_vgpr_workitem_id 0
		.amdhsa_next_free_vgpr 12
		.amdhsa_next_free_sgpr 8
		.amdhsa_reserve_vcc 1
		.amdhsa_reserve_flat_scratch 0
		.amdhsa_float_round_mode_32 0
		.amdhsa_float_round_mode_16_64 0
		.amdhsa_float_denorm_mode_32 3
		.amdhsa_float_denorm_mode_16_64 3
		.amdhsa_dx10_clamp 1
		.amdhsa_ieee_mode 1
		.amdhsa_fp16_overflow 0
		.amdhsa_exception_fp_ieee_invalid_op 0
		.amdhsa_exception_fp_denorm_src 0
		.amdhsa_exception_fp_ieee_div_zero 0
		.amdhsa_exception_fp_ieee_overflow 0
		.amdhsa_exception_fp_ieee_underflow 0
		.amdhsa_exception_fp_ieee_inexact 0
		.amdhsa_exception_int_div_zero 0
	.end_amdhsa_kernel
	.section	.text._ZN7rocprim17ROCPRIM_304000_NS6detail31onesweep_scan_histograms_kernelINS1_34wrapped_radix_sort_onesweep_configINS0_14default_configEdN2at4cuda3cub6detail10OpaqueTypeILi8EEEEEmEEvPT0_,"axG",@progbits,_ZN7rocprim17ROCPRIM_304000_NS6detail31onesweep_scan_histograms_kernelINS1_34wrapped_radix_sort_onesweep_configINS0_14default_configEdN2at4cuda3cub6detail10OpaqueTypeILi8EEEEEmEEvPT0_,comdat
.Lfunc_end147:
	.size	_ZN7rocprim17ROCPRIM_304000_NS6detail31onesweep_scan_histograms_kernelINS1_34wrapped_radix_sort_onesweep_configINS0_14default_configEdN2at4cuda3cub6detail10OpaqueTypeILi8EEEEEmEEvPT0_, .Lfunc_end147-_ZN7rocprim17ROCPRIM_304000_NS6detail31onesweep_scan_histograms_kernelINS1_34wrapped_radix_sort_onesweep_configINS0_14default_configEdN2at4cuda3cub6detail10OpaqueTypeILi8EEEEEmEEvPT0_
                                        ; -- End function
	.set _ZN7rocprim17ROCPRIM_304000_NS6detail31onesweep_scan_histograms_kernelINS1_34wrapped_radix_sort_onesweep_configINS0_14default_configEdN2at4cuda3cub6detail10OpaqueTypeILi8EEEEEmEEvPT0_.num_vgpr, 12
	.set _ZN7rocprim17ROCPRIM_304000_NS6detail31onesweep_scan_histograms_kernelINS1_34wrapped_radix_sort_onesweep_configINS0_14default_configEdN2at4cuda3cub6detail10OpaqueTypeILi8EEEEEmEEvPT0_.num_agpr, 0
	.set _ZN7rocprim17ROCPRIM_304000_NS6detail31onesweep_scan_histograms_kernelINS1_34wrapped_radix_sort_onesweep_configINS0_14default_configEdN2at4cuda3cub6detail10OpaqueTypeILi8EEEEEmEEvPT0_.numbered_sgpr, 8
	.set _ZN7rocprim17ROCPRIM_304000_NS6detail31onesweep_scan_histograms_kernelINS1_34wrapped_radix_sort_onesweep_configINS0_14default_configEdN2at4cuda3cub6detail10OpaqueTypeILi8EEEEEmEEvPT0_.num_named_barrier, 0
	.set _ZN7rocprim17ROCPRIM_304000_NS6detail31onesweep_scan_histograms_kernelINS1_34wrapped_radix_sort_onesweep_configINS0_14default_configEdN2at4cuda3cub6detail10OpaqueTypeILi8EEEEEmEEvPT0_.private_seg_size, 0
	.set _ZN7rocprim17ROCPRIM_304000_NS6detail31onesweep_scan_histograms_kernelINS1_34wrapped_radix_sort_onesweep_configINS0_14default_configEdN2at4cuda3cub6detail10OpaqueTypeILi8EEEEEmEEvPT0_.uses_vcc, 1
	.set _ZN7rocprim17ROCPRIM_304000_NS6detail31onesweep_scan_histograms_kernelINS1_34wrapped_radix_sort_onesweep_configINS0_14default_configEdN2at4cuda3cub6detail10OpaqueTypeILi8EEEEEmEEvPT0_.uses_flat_scratch, 0
	.set _ZN7rocprim17ROCPRIM_304000_NS6detail31onesweep_scan_histograms_kernelINS1_34wrapped_radix_sort_onesweep_configINS0_14default_configEdN2at4cuda3cub6detail10OpaqueTypeILi8EEEEEmEEvPT0_.has_dyn_sized_stack, 0
	.set _ZN7rocprim17ROCPRIM_304000_NS6detail31onesweep_scan_histograms_kernelINS1_34wrapped_radix_sort_onesweep_configINS0_14default_configEdN2at4cuda3cub6detail10OpaqueTypeILi8EEEEEmEEvPT0_.has_recursion, 0
	.set _ZN7rocprim17ROCPRIM_304000_NS6detail31onesweep_scan_histograms_kernelINS1_34wrapped_radix_sort_onesweep_configINS0_14default_configEdN2at4cuda3cub6detail10OpaqueTypeILi8EEEEEmEEvPT0_.has_indirect_call, 0
	.section	.AMDGPU.csdata,"",@progbits
; Kernel info:
; codeLenInByte = 848
; TotalNumSgprs: 12
; NumVgprs: 12
; ScratchSize: 0
; MemoryBound: 0
; FloatMode: 240
; IeeeMode: 1
; LDSByteSize: 32 bytes/workgroup (compile time only)
; SGPRBlocks: 1
; VGPRBlocks: 2
; NumSGPRsForWavesPerEU: 12
; NumVGPRsForWavesPerEU: 12
; Occupancy: 10
; WaveLimiterHint : 0
; COMPUTE_PGM_RSRC2:SCRATCH_EN: 0
; COMPUTE_PGM_RSRC2:USER_SGPR: 6
; COMPUTE_PGM_RSRC2:TRAP_HANDLER: 0
; COMPUTE_PGM_RSRC2:TGID_X_EN: 1
; COMPUTE_PGM_RSRC2:TGID_Y_EN: 0
; COMPUTE_PGM_RSRC2:TGID_Z_EN: 0
; COMPUTE_PGM_RSRC2:TIDIG_COMP_CNT: 0
	.section	.text._ZN7rocprim17ROCPRIM_304000_NS6detail16transform_kernelINS1_24wrapped_transform_configINS0_14default_configEdEEdPKdPdNS0_8identityIdEEEEvT1_mT2_T3_,"axG",@progbits,_ZN7rocprim17ROCPRIM_304000_NS6detail16transform_kernelINS1_24wrapped_transform_configINS0_14default_configEdEEdPKdPdNS0_8identityIdEEEEvT1_mT2_T3_,comdat
	.protected	_ZN7rocprim17ROCPRIM_304000_NS6detail16transform_kernelINS1_24wrapped_transform_configINS0_14default_configEdEEdPKdPdNS0_8identityIdEEEEvT1_mT2_T3_ ; -- Begin function _ZN7rocprim17ROCPRIM_304000_NS6detail16transform_kernelINS1_24wrapped_transform_configINS0_14default_configEdEEdPKdPdNS0_8identityIdEEEEvT1_mT2_T3_
	.globl	_ZN7rocprim17ROCPRIM_304000_NS6detail16transform_kernelINS1_24wrapped_transform_configINS0_14default_configEdEEdPKdPdNS0_8identityIdEEEEvT1_mT2_T3_
	.p2align	8
	.type	_ZN7rocprim17ROCPRIM_304000_NS6detail16transform_kernelINS1_24wrapped_transform_configINS0_14default_configEdEEdPKdPdNS0_8identityIdEEEEvT1_mT2_T3_,@function
_ZN7rocprim17ROCPRIM_304000_NS6detail16transform_kernelINS1_24wrapped_transform_configINS0_14default_configEdEEdPKdPdNS0_8identityIdEEEEvT1_mT2_T3_: ; @_ZN7rocprim17ROCPRIM_304000_NS6detail16transform_kernelINS1_24wrapped_transform_configINS0_14default_configEdEEdPKdPdNS0_8identityIdEEEEvT1_mT2_T3_
; %bb.0:
	s_load_dword s7, s[4:5], 0x20
	s_load_dwordx4 s[0:3], s[4:5], 0x0
	s_lshl_b32 s8, s6, 10
	s_waitcnt lgkmcnt(0)
	s_add_i32 s7, s7, -1
	s_cmp_lg_u32 s6, s7
	s_cselect_b64 s[6:7], -1, 0
	s_sub_i32 s2, s2, s8
	v_cmp_gt_u32_e32 vcc, s2, v0
	s_or_b64 s[2:3], vcc, s[6:7]
	s_and_saveexec_b64 s[6:7], s[2:3]
	s_cbranch_execz .LBB148_2
; %bb.1:
	s_load_dwordx2 s[2:3], s[4:5], 0x10
	s_mov_b32 s9, 0
	s_lshl_b64 s[4:5], s[8:9], 3
	v_lshlrev_b32_e32 v2, 3, v0
	s_waitcnt lgkmcnt(0)
	s_add_u32 s2, s2, s4
	s_addc_u32 s3, s3, s5
	s_add_u32 s0, s0, s4
	s_addc_u32 s1, s1, s5
	global_load_dwordx2 v[0:1], v2, s[0:1]
	s_waitcnt vmcnt(0)
	global_store_dwordx2 v2, v[0:1], s[2:3]
.LBB148_2:
	s_endpgm
	.section	.rodata,"a",@progbits
	.p2align	6, 0x0
	.amdhsa_kernel _ZN7rocprim17ROCPRIM_304000_NS6detail16transform_kernelINS1_24wrapped_transform_configINS0_14default_configEdEEdPKdPdNS0_8identityIdEEEEvT1_mT2_T3_
		.amdhsa_group_segment_fixed_size 0
		.amdhsa_private_segment_fixed_size 0
		.amdhsa_kernarg_size 288
		.amdhsa_user_sgpr_count 6
		.amdhsa_user_sgpr_private_segment_buffer 1
		.amdhsa_user_sgpr_dispatch_ptr 0
		.amdhsa_user_sgpr_queue_ptr 0
		.amdhsa_user_sgpr_kernarg_segment_ptr 1
		.amdhsa_user_sgpr_dispatch_id 0
		.amdhsa_user_sgpr_flat_scratch_init 0
		.amdhsa_user_sgpr_private_segment_size 0
		.amdhsa_uses_dynamic_stack 0
		.amdhsa_system_sgpr_private_segment_wavefront_offset 0
		.amdhsa_system_sgpr_workgroup_id_x 1
		.amdhsa_system_sgpr_workgroup_id_y 0
		.amdhsa_system_sgpr_workgroup_id_z 0
		.amdhsa_system_sgpr_workgroup_info 0
		.amdhsa_system_vgpr_workitem_id 0
		.amdhsa_next_free_vgpr 3
		.amdhsa_next_free_sgpr 10
		.amdhsa_reserve_vcc 1
		.amdhsa_reserve_flat_scratch 0
		.amdhsa_float_round_mode_32 0
		.amdhsa_float_round_mode_16_64 0
		.amdhsa_float_denorm_mode_32 3
		.amdhsa_float_denorm_mode_16_64 3
		.amdhsa_dx10_clamp 1
		.amdhsa_ieee_mode 1
		.amdhsa_fp16_overflow 0
		.amdhsa_exception_fp_ieee_invalid_op 0
		.amdhsa_exception_fp_denorm_src 0
		.amdhsa_exception_fp_ieee_div_zero 0
		.amdhsa_exception_fp_ieee_overflow 0
		.amdhsa_exception_fp_ieee_underflow 0
		.amdhsa_exception_fp_ieee_inexact 0
		.amdhsa_exception_int_div_zero 0
	.end_amdhsa_kernel
	.section	.text._ZN7rocprim17ROCPRIM_304000_NS6detail16transform_kernelINS1_24wrapped_transform_configINS0_14default_configEdEEdPKdPdNS0_8identityIdEEEEvT1_mT2_T3_,"axG",@progbits,_ZN7rocprim17ROCPRIM_304000_NS6detail16transform_kernelINS1_24wrapped_transform_configINS0_14default_configEdEEdPKdPdNS0_8identityIdEEEEvT1_mT2_T3_,comdat
.Lfunc_end148:
	.size	_ZN7rocprim17ROCPRIM_304000_NS6detail16transform_kernelINS1_24wrapped_transform_configINS0_14default_configEdEEdPKdPdNS0_8identityIdEEEEvT1_mT2_T3_, .Lfunc_end148-_ZN7rocprim17ROCPRIM_304000_NS6detail16transform_kernelINS1_24wrapped_transform_configINS0_14default_configEdEEdPKdPdNS0_8identityIdEEEEvT1_mT2_T3_
                                        ; -- End function
	.set _ZN7rocprim17ROCPRIM_304000_NS6detail16transform_kernelINS1_24wrapped_transform_configINS0_14default_configEdEEdPKdPdNS0_8identityIdEEEEvT1_mT2_T3_.num_vgpr, 3
	.set _ZN7rocprim17ROCPRIM_304000_NS6detail16transform_kernelINS1_24wrapped_transform_configINS0_14default_configEdEEdPKdPdNS0_8identityIdEEEEvT1_mT2_T3_.num_agpr, 0
	.set _ZN7rocprim17ROCPRIM_304000_NS6detail16transform_kernelINS1_24wrapped_transform_configINS0_14default_configEdEEdPKdPdNS0_8identityIdEEEEvT1_mT2_T3_.numbered_sgpr, 10
	.set _ZN7rocprim17ROCPRIM_304000_NS6detail16transform_kernelINS1_24wrapped_transform_configINS0_14default_configEdEEdPKdPdNS0_8identityIdEEEEvT1_mT2_T3_.num_named_barrier, 0
	.set _ZN7rocprim17ROCPRIM_304000_NS6detail16transform_kernelINS1_24wrapped_transform_configINS0_14default_configEdEEdPKdPdNS0_8identityIdEEEEvT1_mT2_T3_.private_seg_size, 0
	.set _ZN7rocprim17ROCPRIM_304000_NS6detail16transform_kernelINS1_24wrapped_transform_configINS0_14default_configEdEEdPKdPdNS0_8identityIdEEEEvT1_mT2_T3_.uses_vcc, 1
	.set _ZN7rocprim17ROCPRIM_304000_NS6detail16transform_kernelINS1_24wrapped_transform_configINS0_14default_configEdEEdPKdPdNS0_8identityIdEEEEvT1_mT2_T3_.uses_flat_scratch, 0
	.set _ZN7rocprim17ROCPRIM_304000_NS6detail16transform_kernelINS1_24wrapped_transform_configINS0_14default_configEdEEdPKdPdNS0_8identityIdEEEEvT1_mT2_T3_.has_dyn_sized_stack, 0
	.set _ZN7rocprim17ROCPRIM_304000_NS6detail16transform_kernelINS1_24wrapped_transform_configINS0_14default_configEdEEdPKdPdNS0_8identityIdEEEEvT1_mT2_T3_.has_recursion, 0
	.set _ZN7rocprim17ROCPRIM_304000_NS6detail16transform_kernelINS1_24wrapped_transform_configINS0_14default_configEdEEdPKdPdNS0_8identityIdEEEEvT1_mT2_T3_.has_indirect_call, 0
	.section	.AMDGPU.csdata,"",@progbits
; Kernel info:
; codeLenInByte = 120
; TotalNumSgprs: 14
; NumVgprs: 3
; ScratchSize: 0
; MemoryBound: 0
; FloatMode: 240
; IeeeMode: 1
; LDSByteSize: 0 bytes/workgroup (compile time only)
; SGPRBlocks: 1
; VGPRBlocks: 0
; NumSGPRsForWavesPerEU: 14
; NumVGPRsForWavesPerEU: 3
; Occupancy: 10
; WaveLimiterHint : 0
; COMPUTE_PGM_RSRC2:SCRATCH_EN: 0
; COMPUTE_PGM_RSRC2:USER_SGPR: 6
; COMPUTE_PGM_RSRC2:TRAP_HANDLER: 0
; COMPUTE_PGM_RSRC2:TGID_X_EN: 1
; COMPUTE_PGM_RSRC2:TGID_Y_EN: 0
; COMPUTE_PGM_RSRC2:TGID_Z_EN: 0
; COMPUTE_PGM_RSRC2:TIDIG_COMP_CNT: 0
	.section	.text._ZN7rocprim17ROCPRIM_304000_NS6detail25onesweep_iteration_kernelINS1_34wrapped_radix_sort_onesweep_configINS0_14default_configEdN2at4cuda3cub6detail10OpaqueTypeILi8EEEEELb1EPKdPdPKSA_PSA_mNS0_19identity_decomposerEEEvT1_T2_T3_T4_jPT5_SO_PNS1_23onesweep_lookback_stateET6_jjj,"axG",@progbits,_ZN7rocprim17ROCPRIM_304000_NS6detail25onesweep_iteration_kernelINS1_34wrapped_radix_sort_onesweep_configINS0_14default_configEdN2at4cuda3cub6detail10OpaqueTypeILi8EEEEELb1EPKdPdPKSA_PSA_mNS0_19identity_decomposerEEEvT1_T2_T3_T4_jPT5_SO_PNS1_23onesweep_lookback_stateET6_jjj,comdat
	.protected	_ZN7rocprim17ROCPRIM_304000_NS6detail25onesweep_iteration_kernelINS1_34wrapped_radix_sort_onesweep_configINS0_14default_configEdN2at4cuda3cub6detail10OpaqueTypeILi8EEEEELb1EPKdPdPKSA_PSA_mNS0_19identity_decomposerEEEvT1_T2_T3_T4_jPT5_SO_PNS1_23onesweep_lookback_stateET6_jjj ; -- Begin function _ZN7rocprim17ROCPRIM_304000_NS6detail25onesweep_iteration_kernelINS1_34wrapped_radix_sort_onesweep_configINS0_14default_configEdN2at4cuda3cub6detail10OpaqueTypeILi8EEEEELb1EPKdPdPKSA_PSA_mNS0_19identity_decomposerEEEvT1_T2_T3_T4_jPT5_SO_PNS1_23onesweep_lookback_stateET6_jjj
	.globl	_ZN7rocprim17ROCPRIM_304000_NS6detail25onesweep_iteration_kernelINS1_34wrapped_radix_sort_onesweep_configINS0_14default_configEdN2at4cuda3cub6detail10OpaqueTypeILi8EEEEELb1EPKdPdPKSA_PSA_mNS0_19identity_decomposerEEEvT1_T2_T3_T4_jPT5_SO_PNS1_23onesweep_lookback_stateET6_jjj
	.p2align	8
	.type	_ZN7rocprim17ROCPRIM_304000_NS6detail25onesweep_iteration_kernelINS1_34wrapped_radix_sort_onesweep_configINS0_14default_configEdN2at4cuda3cub6detail10OpaqueTypeILi8EEEEELb1EPKdPdPKSA_PSA_mNS0_19identity_decomposerEEEvT1_T2_T3_T4_jPT5_SO_PNS1_23onesweep_lookback_stateET6_jjj,@function
_ZN7rocprim17ROCPRIM_304000_NS6detail25onesweep_iteration_kernelINS1_34wrapped_radix_sort_onesweep_configINS0_14default_configEdN2at4cuda3cub6detail10OpaqueTypeILi8EEEEELb1EPKdPdPKSA_PSA_mNS0_19identity_decomposerEEEvT1_T2_T3_T4_jPT5_SO_PNS1_23onesweep_lookback_stateET6_jjj: ; @_ZN7rocprim17ROCPRIM_304000_NS6detail25onesweep_iteration_kernelINS1_34wrapped_radix_sort_onesweep_configINS0_14default_configEdN2at4cuda3cub6detail10OpaqueTypeILi8EEEEELb1EPKdPdPKSA_PSA_mNS0_19identity_decomposerEEEvT1_T2_T3_T4_jPT5_SO_PNS1_23onesweep_lookback_stateET6_jjj
; %bb.0:
	s_load_dwordx8 s[56:63], s[4:5], 0x0
	s_load_dwordx4 s[68:71], s[4:5], 0x44
	s_load_dwordx4 s[64:67], s[4:5], 0x28
	s_load_dwordx2 s[54:55], s[4:5], 0x38
	s_mov_b32 s7, s6
	s_mov_b64 s[0:1], -1
	s_waitcnt lgkmcnt(0)
	s_cmp_ge_u32 s6, s70
	s_mul_i32 s72, s6, 0xc00
	v_mbcnt_lo_u32_b32 v31, -1, 0
	s_cbranch_scc0 .LBB149_152
; %bb.1:
	s_load_dword s0, s[4:5], 0x20
	s_mul_i32 s74, s70, 0xfffff400
	s_mov_b32 s73, 0
	s_lshl_b64 s[70:71], s[72:73], 3
	v_mbcnt_hi_u32_b32 v34, -1, v31
	s_waitcnt lgkmcnt(0)
	s_add_i32 s74, s74, s0
	s_add_u32 s0, s56, s70
	s_addc_u32 s1, s57, s71
	v_and_b32_e32 v35, 0xc0, v0
	v_lshlrev_b32_e32 v32, 3, v34
	v_mul_u32_u24_e32 v3, 12, v35
	v_mov_b32_e32 v4, s1
	v_add_co_u32_e32 v5, vcc, s0, v32
	v_addc_co_u32_e32 v4, vcc, 0, v4, vcc
	v_lshlrev_b32_e32 v33, 3, v3
	v_add_co_u32_e32 v27, vcc, v5, v33
	v_addc_co_u32_e32 v28, vcc, 0, v4, vcc
	v_or_b32_e32 v29, v34, v3
	v_mov_b32_e32 v5, -1
	v_mov_b32_e32 v3, -1
	;; [unrolled: 1-line block ×4, first 2 shown]
	v_cmp_gt_u32_e64 s[0:1], s74, v29
	s_and_saveexec_b64 s[2:3], s[0:1]
	s_cbranch_execz .LBB149_3
; %bb.2:
	global_load_dwordx2 v[3:4], v[27:28], off
.LBB149_3:
	s_or_b64 exec, exec, s[2:3]
	v_add_u32_e32 v7, 64, v29
	v_cmp_gt_u32_e64 s[2:3], s74, v7
	s_and_saveexec_b64 s[8:9], s[2:3]
	s_cbranch_execz .LBB149_5
; %bb.4:
	global_load_dwordx2 v[5:6], v[27:28], off offset:512
.LBB149_5:
	s_or_b64 exec, exec, s[8:9]
	v_add_u32_e32 v7, 0x80, v29
	v_mov_b32_e32 v13, -1
	v_mov_b32_e32 v9, -1
	v_mov_b32_e32 v14, -1
	v_mov_b32_e32 v10, -1
	v_cmp_gt_u32_e64 s[52:53], s74, v7
	s_and_saveexec_b64 s[8:9], s[52:53]
	s_cbranch_execz .LBB149_7
; %bb.6:
	global_load_dwordx2 v[9:10], v[27:28], off offset:1024
.LBB149_7:
	s_or_b64 exec, exec, s[8:9]
	v_add_u32_e32 v7, 0xc0, v29
	v_cmp_gt_u32_e64 s[8:9], s74, v7
	s_and_saveexec_b64 s[10:11], s[8:9]
	s_cbranch_execz .LBB149_9
; %bb.8:
	global_load_dwordx2 v[13:14], v[27:28], off offset:1536
.LBB149_9:
	s_or_b64 exec, exec, s[10:11]
	v_add_u32_e32 v7, 0x100, v29
	v_mov_b32_e32 v23, -1
	v_mov_b32_e32 v17, -1
	v_mov_b32_e32 v24, -1
	v_mov_b32_e32 v18, -1
	v_cmp_gt_u32_e64 s[10:11], s74, v7
	s_and_saveexec_b64 s[12:13], s[10:11]
	s_cbranch_execz .LBB149_11
; %bb.10:
	global_load_dwordx2 v[17:18], v[27:28], off offset:2048
.LBB149_11:
	;; [unrolled: 20-line block ×3, first 2 shown]
	s_or_b64 exec, exec, s[16:17]
	v_add_u32_e32 v7, 0x1c0, v29
	v_cmp_gt_u32_e64 s[16:17], s74, v7
	s_and_saveexec_b64 s[18:19], s[16:17]
	s_cbranch_execz .LBB149_17
; %bb.16:
	global_load_dwordx2 v[21:22], v[27:28], off offset:3584
.LBB149_17:
	s_or_b64 exec, exec, s[18:19]
	v_add_u32_e32 v7, 0x200, v29
	v_mov_b32_e32 v15, -1
	v_mov_b32_e32 v19, -1
	;; [unrolled: 1-line block ×4, first 2 shown]
	v_cmp_gt_u32_e64 s[18:19], s74, v7
	s_and_saveexec_b64 s[20:21], s[18:19]
	s_cbranch_execz .LBB149_19
; %bb.18:
	v_add_co_u32_e32 v7, vcc, 0x1000, v27
	v_addc_co_u32_e32 v8, vcc, 0, v28, vcc
	global_load_dwordx2 v[19:20], v[7:8], off
.LBB149_19:
	s_or_b64 exec, exec, s[20:21]
	v_add_u32_e32 v7, 0x240, v29
	v_cmp_gt_u32_e64 s[20:21], s74, v7
	s_and_saveexec_b64 s[22:23], s[20:21]
	s_cbranch_execz .LBB149_21
; %bb.20:
	v_add_co_u32_e32 v7, vcc, 0x1000, v27
	v_addc_co_u32_e32 v8, vcc, 0, v28, vcc
	global_load_dwordx2 v[15:16], v[7:8], off offset:512
.LBB149_21:
	s_or_b64 exec, exec, s[22:23]
	v_add_u32_e32 v30, 0x280, v29
	v_mov_b32_e32 v7, -1
	v_mov_b32_e32 v11, -1
	;; [unrolled: 1-line block ×4, first 2 shown]
	v_cmp_gt_u32_e64 s[22:23], s74, v30
	s_and_saveexec_b64 s[24:25], s[22:23]
	s_cbranch_execz .LBB149_23
; %bb.22:
	v_add_co_u32_e32 v11, vcc, 0x1000, v27
	v_addc_co_u32_e32 v12, vcc, 0, v28, vcc
	global_load_dwordx2 v[11:12], v[11:12], off offset:1024
.LBB149_23:
	s_or_b64 exec, exec, s[24:25]
	v_add_u32_e32 v29, 0x2c0, v29
	v_cmp_gt_u32_e64 s[24:25], s74, v29
	s_and_saveexec_b64 s[26:27], s[24:25]
	s_cbranch_execz .LBB149_25
; %bb.24:
	v_add_co_u32_e32 v7, vcc, 0x1000, v27
	v_addc_co_u32_e32 v8, vcc, 0, v28, vcc
	global_load_dwordx2 v[7:8], v[7:8], off offset:1536
.LBB149_25:
	s_or_b64 exec, exec, s[26:27]
	s_load_dword s26, s[4:5], 0x5c
	s_load_dword s33, s[4:5], 0x50
	s_add_u32 s27, s4, 0x50
	s_addc_u32 s28, s5, 0
	v_mov_b32_e32 v27, 0
	s_waitcnt lgkmcnt(0)
	s_lshr_b32 s30, s26, 16
	s_cmp_lt_u32 s6, s33
	s_cselect_b32 s26, 12, 18
	s_add_u32 s26, s27, s26
	s_addc_u32 s27, s28, 0
	global_load_ushort v30, v27, s[26:27]
	s_waitcnt vmcnt(1)
	v_cmp_gt_i64_e32 vcc, 0, v[3:4]
	v_bfrev_b32_e32 v39, -2
	v_ashrrev_i32_e32 v28, 31, v4
	s_mov_b32 s28, 0
	v_cndmask_b32_e64 v29, v39, 0, vcc
	v_not_b32_e32 v28, v28
	s_brev_b32 s29, 1
	v_xor_b32_e32 v4, v29, v4
	v_xor_b32_e32 v3, v28, v3
	v_cmp_ne_u64_e32 vcc, s[28:29], v[3:4]
	s_lshl_b32 s26, -1, s69
	v_cndmask_b32_e32 v29, v39, v4, vcc
	v_cndmask_b32_e32 v28, -1, v3, vcc
	v_lshrrev_b64 v[28:29], s68, v[28:29]
	s_not_b32 s73, s26
	v_and_b32_e32 v40, s73, v28
	v_and_b32_e32 v29, 1, v40
	v_add_co_u32_e32 v41, vcc, -1, v29
	v_lshlrev_b32_e32 v28, 30, v40
	v_addc_co_u32_e64 v42, s[26:27], 0, -1, vcc
	v_cmp_ne_u32_e32 vcc, 0, v29
	v_cmp_gt_i64_e64 s[26:27], 0, v[27:28]
	v_not_b32_e32 v29, v28
	v_lshlrev_b32_e32 v28, 29, v40
	v_xor_b32_e32 v42, vcc_hi, v42
	v_xor_b32_e32 v41, vcc_lo, v41
	v_ashrrev_i32_e32 v29, 31, v29
	v_cmp_gt_i64_e32 vcc, 0, v[27:28]
	v_not_b32_e32 v43, v28
	v_lshlrev_b32_e32 v28, 28, v40
	v_and_b32_e32 v42, exec_hi, v42
	v_and_b32_e32 v41, exec_lo, v41
	v_xor_b32_e32 v44, s27, v29
	v_xor_b32_e32 v29, s26, v29
	v_ashrrev_i32_e32 v43, 31, v43
	v_cmp_gt_i64_e64 s[26:27], 0, v[27:28]
	v_not_b32_e32 v45, v28
	v_lshlrev_b32_e32 v28, 27, v40
	v_and_b32_e32 v42, v42, v44
	v_and_b32_e32 v29, v41, v29
	v_xor_b32_e32 v41, vcc_hi, v43
	v_xor_b32_e32 v43, vcc_lo, v43
	v_ashrrev_i32_e32 v44, 31, v45
	v_cmp_gt_i64_e32 vcc, 0, v[27:28]
	v_not_b32_e32 v45, v28
	v_lshlrev_b32_e32 v28, 26, v40
	v_and_b32_e32 v41, v42, v41
	v_and_b32_e32 v29, v29, v43
	v_xor_b32_e32 v42, s27, v44
	v_xor_b32_e32 v43, s26, v44
	v_ashrrev_i32_e32 v44, 31, v45
	v_cmp_gt_i64_e64 s[26:27], 0, v[27:28]
	v_not_b32_e32 v45, v28
	v_lshlrev_b32_e32 v28, 25, v40
	v_and_b32_e32 v41, v41, v42
	v_and_b32_e32 v29, v29, v43
	v_xor_b32_e32 v42, vcc_hi, v44
	v_xor_b32_e32 v43, vcc_lo, v44
	v_ashrrev_i32_e32 v44, 31, v45
	v_mad_u32_u24 v37, v2, s30, v1
	v_cmp_gt_i64_e32 vcc, 0, v[27:28]
	v_not_b32_e32 v28, v28
	v_and_b32_e32 v41, v41, v42
	v_and_b32_e32 v42, v29, v43
	v_xor_b32_e32 v29, s27, v44
	v_xor_b32_e32 v43, s26, v44
	v_ashrrev_i32_e32 v44, 31, v28
	v_and_b32_e32 v41, v41, v29
	v_mul_lo_u32 v38, v40, 20
	v_mul_u32_u24_e32 v36, 20, v0
	ds_write2_b32 v36, v27, v27 offset0:4 offset1:5
	ds_write2_b32 v36, v27, v27 offset0:6 offset1:7
	ds_write_b32 v36, v27 offset:32
	s_waitcnt vmcnt(0) lgkmcnt(0)
	s_barrier
	; wave barrier
	v_mad_u64_u32 v[28:29], s[26:27], v37, v30, v[0:1]
	v_and_b32_e32 v29, v42, v43
	v_xor_b32_e32 v37, vcc_hi, v44
	v_lshrrev_b32_e32 v30, 6, v28
	v_lshlrev_b32_e32 v28, 24, v40
	v_xor_b32_e32 v42, vcc_lo, v44
	v_cmp_gt_i64_e32 vcc, 0, v[27:28]
	v_not_b32_e32 v28, v28
	v_ashrrev_i32_e32 v28, 31, v28
	v_and_b32_e32 v37, v41, v37
	v_and_b32_e32 v41, v29, v42
	v_xor_b32_e32 v29, vcc_hi, v28
	v_xor_b32_e32 v28, vcc_lo, v28
	v_and_b32_e32 v28, v41, v28
	v_and_b32_e32 v29, v37, v29
	v_mbcnt_lo_u32_b32 v37, v28, 0
	v_mbcnt_hi_u32_b32 v37, v29, v37
	v_cmp_ne_u64_e32 vcc, 0, v[28:29]
	v_cmp_eq_u32_e64 s[26:27], 0, v37
	v_lshl_add_u32 v38, v30, 2, v38
	s_and_b64 s[30:31], vcc, s[26:27]
	s_and_saveexec_b64 s[26:27], s[30:31]
; %bb.26:
	v_bcnt_u32_b32 v28, v28, 0
	v_bcnt_u32_b32 v28, v29, v28
	ds_write_b32 v38, v28 offset:16
; %bb.27:
	s_or_b64 exec, exec, s[26:27]
	v_cmp_gt_i64_e32 vcc, 0, v[5:6]
	v_ashrrev_i32_e32 v29, 31, v6
	v_cndmask_b32_e64 v28, v39, 0, vcc
	v_not_b32_e32 v29, v29
	v_xor_b32_e32 v6, v28, v6
	v_xor_b32_e32 v5, v29, v5
	v_cmp_ne_u64_e32 vcc, s[28:29], v[5:6]
	v_cndmask_b32_e32 v29, v39, v6, vcc
	v_cndmask_b32_e32 v28, -1, v5, vcc
	v_lshrrev_b64 v[28:29], s68, v[28:29]
	; wave barrier
	v_and_b32_e32 v29, s73, v28
	v_mul_lo_u32 v28, v29, 20
	v_lshl_add_u32 v40, v30, 2, v28
	v_and_b32_e32 v28, 1, v29
	v_add_co_u32_e32 v41, vcc, -1, v28
	v_addc_co_u32_e64 v42, s[26:27], 0, -1, vcc
	v_cmp_ne_u32_e32 vcc, 0, v28
	v_xor_b32_e32 v28, vcc_hi, v42
	v_and_b32_e32 v42, exec_hi, v28
	v_lshlrev_b32_e32 v28, 30, v29
	v_xor_b32_e32 v41, vcc_lo, v41
	v_cmp_gt_i64_e32 vcc, 0, v[27:28]
	v_not_b32_e32 v28, v28
	v_ashrrev_i32_e32 v28, 31, v28
	v_and_b32_e32 v41, exec_lo, v41
	v_xor_b32_e32 v43, vcc_hi, v28
	v_xor_b32_e32 v28, vcc_lo, v28
	v_and_b32_e32 v41, v41, v28
	v_lshlrev_b32_e32 v28, 29, v29
	v_cmp_gt_i64_e32 vcc, 0, v[27:28]
	v_not_b32_e32 v28, v28
	v_ashrrev_i32_e32 v28, 31, v28
	v_and_b32_e32 v42, v42, v43
	v_xor_b32_e32 v43, vcc_hi, v28
	v_xor_b32_e32 v28, vcc_lo, v28
	v_and_b32_e32 v41, v41, v28
	v_lshlrev_b32_e32 v28, 28, v29
	v_cmp_gt_i64_e32 vcc, 0, v[27:28]
	v_not_b32_e32 v28, v28
	v_ashrrev_i32_e32 v28, 31, v28
	v_and_b32_e32 v42, v42, v43
	;; [unrolled: 8-line block ×5, first 2 shown]
	v_xor_b32_e32 v43, vcc_hi, v28
	v_xor_b32_e32 v28, vcc_lo, v28
	v_and_b32_e32 v41, v41, v28
	v_lshlrev_b32_e32 v28, 24, v29
	v_cmp_gt_i64_e32 vcc, 0, v[27:28]
	v_not_b32_e32 v27, v28
	v_ashrrev_i32_e32 v27, 31, v27
	v_xor_b32_e32 v28, vcc_hi, v27
	v_xor_b32_e32 v27, vcc_lo, v27
	ds_read_b32 v39, v40 offset:16
	v_and_b32_e32 v42, v42, v43
	v_and_b32_e32 v27, v41, v27
	;; [unrolled: 1-line block ×3, first 2 shown]
	v_mbcnt_lo_u32_b32 v29, v27, 0
	v_mbcnt_hi_u32_b32 v41, v28, v29
	v_cmp_ne_u64_e32 vcc, 0, v[27:28]
	v_cmp_eq_u32_e64 s[26:27], 0, v41
	s_and_b64 s[28:29], vcc, s[26:27]
	; wave barrier
	s_and_saveexec_b64 s[26:27], s[28:29]
	s_cbranch_execz .LBB149_29
; %bb.28:
	v_bcnt_u32_b32 v27, v27, 0
	v_bcnt_u32_b32 v27, v28, v27
	s_waitcnt lgkmcnt(0)
	v_add_u32_e32 v27, v39, v27
	ds_write_b32 v40, v27 offset:16
.LBB149_29:
	s_or_b64 exec, exec, s[26:27]
	v_cmp_gt_i64_e32 vcc, 0, v[9:10]
	v_bfrev_b32_e32 v45, -2
	v_ashrrev_i32_e32 v28, 31, v10
	s_mov_b32 s28, 0
	v_cndmask_b32_e64 v27, v45, 0, vcc
	v_not_b32_e32 v28, v28
	s_brev_b32 s29, 1
	v_xor_b32_e32 v10, v27, v10
	v_xor_b32_e32 v9, v28, v9
	v_cmp_ne_u64_e32 vcc, s[28:29], v[9:10]
	v_cndmask_b32_e32 v28, v45, v10, vcc
	v_cndmask_b32_e32 v27, -1, v9, vcc
	v_lshrrev_b64 v[27:28], s68, v[27:28]
	; wave barrier
	v_and_b32_e32 v29, s73, v27
	v_mul_lo_u32 v27, v29, 20
	v_and_b32_e32 v28, 1, v29
	v_add_co_u32_e32 v44, vcc, -1, v28
	v_addc_co_u32_e64 v46, s[26:27], 0, -1, vcc
	v_cmp_ne_u32_e32 vcc, 0, v28
	v_xor_b32_e32 v28, vcc_hi, v46
	v_lshl_add_u32 v43, v30, 2, v27
	v_mov_b32_e32 v27, 0
	v_and_b32_e32 v46, exec_hi, v28
	v_lshlrev_b32_e32 v28, 30, v29
	v_xor_b32_e32 v44, vcc_lo, v44
	v_cmp_gt_i64_e32 vcc, 0, v[27:28]
	v_not_b32_e32 v28, v28
	v_ashrrev_i32_e32 v28, 31, v28
	v_and_b32_e32 v44, exec_lo, v44
	v_xor_b32_e32 v47, vcc_hi, v28
	v_xor_b32_e32 v28, vcc_lo, v28
	v_and_b32_e32 v44, v44, v28
	v_lshlrev_b32_e32 v28, 29, v29
	v_cmp_gt_i64_e32 vcc, 0, v[27:28]
	v_not_b32_e32 v28, v28
	v_ashrrev_i32_e32 v28, 31, v28
	v_and_b32_e32 v46, v46, v47
	v_xor_b32_e32 v47, vcc_hi, v28
	v_xor_b32_e32 v28, vcc_lo, v28
	v_and_b32_e32 v44, v44, v28
	v_lshlrev_b32_e32 v28, 28, v29
	v_cmp_gt_i64_e32 vcc, 0, v[27:28]
	v_not_b32_e32 v28, v28
	v_ashrrev_i32_e32 v28, 31, v28
	v_and_b32_e32 v46, v46, v47
	;; [unrolled: 8-line block ×5, first 2 shown]
	v_xor_b32_e32 v47, vcc_hi, v28
	v_xor_b32_e32 v28, vcc_lo, v28
	v_and_b32_e32 v44, v44, v28
	v_lshlrev_b32_e32 v28, 24, v29
	v_cmp_gt_i64_e32 vcc, 0, v[27:28]
	v_not_b32_e32 v28, v28
	v_ashrrev_i32_e32 v28, 31, v28
	v_xor_b32_e32 v29, vcc_hi, v28
	v_xor_b32_e32 v28, vcc_lo, v28
	ds_read_b32 v42, v43 offset:16
	v_and_b32_e32 v46, v46, v47
	v_and_b32_e32 v28, v44, v28
	;; [unrolled: 1-line block ×3, first 2 shown]
	v_mbcnt_lo_u32_b32 v44, v28, 0
	v_mbcnt_hi_u32_b32 v44, v29, v44
	v_cmp_ne_u64_e32 vcc, 0, v[28:29]
	v_cmp_eq_u32_e64 s[26:27], 0, v44
	s_and_b64 s[30:31], vcc, s[26:27]
	; wave barrier
	s_and_saveexec_b64 s[26:27], s[30:31]
	s_cbranch_execz .LBB149_31
; %bb.30:
	v_bcnt_u32_b32 v28, v28, 0
	v_bcnt_u32_b32 v28, v29, v28
	s_waitcnt lgkmcnt(0)
	v_add_u32_e32 v28, v42, v28
	ds_write_b32 v43, v28 offset:16
.LBB149_31:
	s_or_b64 exec, exec, s[26:27]
	v_cmp_gt_i64_e32 vcc, 0, v[13:14]
	v_ashrrev_i32_e32 v29, 31, v14
	v_cndmask_b32_e64 v28, v45, 0, vcc
	v_not_b32_e32 v29, v29
	v_xor_b32_e32 v14, v28, v14
	v_xor_b32_e32 v13, v29, v13
	v_cmp_ne_u64_e32 vcc, s[28:29], v[13:14]
	v_cndmask_b32_e32 v29, v45, v14, vcc
	v_cndmask_b32_e32 v28, -1, v13, vcc
	v_lshrrev_b64 v[28:29], s68, v[28:29]
	; wave barrier
	v_and_b32_e32 v29, s73, v28
	v_mul_lo_u32 v28, v29, 20
	v_lshl_add_u32 v46, v30, 2, v28
	v_and_b32_e32 v28, 1, v29
	v_add_co_u32_e32 v47, vcc, -1, v28
	v_addc_co_u32_e64 v48, s[26:27], 0, -1, vcc
	v_cmp_ne_u32_e32 vcc, 0, v28
	v_xor_b32_e32 v28, vcc_hi, v48
	v_and_b32_e32 v48, exec_hi, v28
	v_lshlrev_b32_e32 v28, 30, v29
	v_xor_b32_e32 v47, vcc_lo, v47
	v_cmp_gt_i64_e32 vcc, 0, v[27:28]
	v_not_b32_e32 v28, v28
	v_ashrrev_i32_e32 v28, 31, v28
	v_and_b32_e32 v47, exec_lo, v47
	v_xor_b32_e32 v49, vcc_hi, v28
	v_xor_b32_e32 v28, vcc_lo, v28
	v_and_b32_e32 v47, v47, v28
	v_lshlrev_b32_e32 v28, 29, v29
	v_cmp_gt_i64_e32 vcc, 0, v[27:28]
	v_not_b32_e32 v28, v28
	v_ashrrev_i32_e32 v28, 31, v28
	v_and_b32_e32 v48, v48, v49
	v_xor_b32_e32 v49, vcc_hi, v28
	v_xor_b32_e32 v28, vcc_lo, v28
	v_and_b32_e32 v47, v47, v28
	v_lshlrev_b32_e32 v28, 28, v29
	v_cmp_gt_i64_e32 vcc, 0, v[27:28]
	v_not_b32_e32 v28, v28
	v_ashrrev_i32_e32 v28, 31, v28
	v_and_b32_e32 v48, v48, v49
	;; [unrolled: 8-line block ×5, first 2 shown]
	v_xor_b32_e32 v49, vcc_hi, v28
	v_xor_b32_e32 v28, vcc_lo, v28
	v_and_b32_e32 v47, v47, v28
	v_lshlrev_b32_e32 v28, 24, v29
	v_cmp_gt_i64_e32 vcc, 0, v[27:28]
	v_not_b32_e32 v27, v28
	v_ashrrev_i32_e32 v27, 31, v27
	v_xor_b32_e32 v28, vcc_hi, v27
	v_xor_b32_e32 v27, vcc_lo, v27
	ds_read_b32 v45, v46 offset:16
	v_and_b32_e32 v48, v48, v49
	v_and_b32_e32 v27, v47, v27
	;; [unrolled: 1-line block ×3, first 2 shown]
	v_mbcnt_lo_u32_b32 v29, v27, 0
	v_mbcnt_hi_u32_b32 v47, v28, v29
	v_cmp_ne_u64_e32 vcc, 0, v[27:28]
	v_cmp_eq_u32_e64 s[26:27], 0, v47
	s_and_b64 s[28:29], vcc, s[26:27]
	; wave barrier
	s_and_saveexec_b64 s[26:27], s[28:29]
	s_cbranch_execz .LBB149_33
; %bb.32:
	v_bcnt_u32_b32 v27, v27, 0
	v_bcnt_u32_b32 v27, v28, v27
	s_waitcnt lgkmcnt(0)
	v_add_u32_e32 v27, v45, v27
	ds_write_b32 v46, v27 offset:16
.LBB149_33:
	s_or_b64 exec, exec, s[26:27]
	v_cmp_gt_i64_e32 vcc, 0, v[17:18]
	v_bfrev_b32_e32 v51, -2
	v_ashrrev_i32_e32 v28, 31, v18
	s_mov_b32 s28, 0
	v_cndmask_b32_e64 v27, v51, 0, vcc
	v_not_b32_e32 v28, v28
	s_brev_b32 s29, 1
	v_xor_b32_e32 v18, v27, v18
	v_xor_b32_e32 v17, v28, v17
	v_cmp_ne_u64_e32 vcc, s[28:29], v[17:18]
	v_cndmask_b32_e32 v28, v51, v18, vcc
	v_cndmask_b32_e32 v27, -1, v17, vcc
	v_lshrrev_b64 v[27:28], s68, v[27:28]
	; wave barrier
	v_and_b32_e32 v29, s73, v27
	v_mul_lo_u32 v27, v29, 20
	v_and_b32_e32 v28, 1, v29
	v_add_co_u32_e32 v50, vcc, -1, v28
	v_addc_co_u32_e64 v52, s[26:27], 0, -1, vcc
	v_cmp_ne_u32_e32 vcc, 0, v28
	v_xor_b32_e32 v28, vcc_hi, v52
	v_lshl_add_u32 v49, v30, 2, v27
	v_mov_b32_e32 v27, 0
	v_and_b32_e32 v52, exec_hi, v28
	v_lshlrev_b32_e32 v28, 30, v29
	v_xor_b32_e32 v50, vcc_lo, v50
	v_cmp_gt_i64_e32 vcc, 0, v[27:28]
	v_not_b32_e32 v28, v28
	v_ashrrev_i32_e32 v28, 31, v28
	v_and_b32_e32 v50, exec_lo, v50
	v_xor_b32_e32 v53, vcc_hi, v28
	v_xor_b32_e32 v28, vcc_lo, v28
	v_and_b32_e32 v50, v50, v28
	v_lshlrev_b32_e32 v28, 29, v29
	v_cmp_gt_i64_e32 vcc, 0, v[27:28]
	v_not_b32_e32 v28, v28
	v_ashrrev_i32_e32 v28, 31, v28
	v_and_b32_e32 v52, v52, v53
	v_xor_b32_e32 v53, vcc_hi, v28
	v_xor_b32_e32 v28, vcc_lo, v28
	v_and_b32_e32 v50, v50, v28
	v_lshlrev_b32_e32 v28, 28, v29
	v_cmp_gt_i64_e32 vcc, 0, v[27:28]
	v_not_b32_e32 v28, v28
	v_ashrrev_i32_e32 v28, 31, v28
	v_and_b32_e32 v52, v52, v53
	;; [unrolled: 8-line block ×5, first 2 shown]
	v_xor_b32_e32 v53, vcc_hi, v28
	v_xor_b32_e32 v28, vcc_lo, v28
	v_and_b32_e32 v50, v50, v28
	v_lshlrev_b32_e32 v28, 24, v29
	v_cmp_gt_i64_e32 vcc, 0, v[27:28]
	v_not_b32_e32 v28, v28
	v_ashrrev_i32_e32 v28, 31, v28
	v_xor_b32_e32 v29, vcc_hi, v28
	v_xor_b32_e32 v28, vcc_lo, v28
	ds_read_b32 v48, v49 offset:16
	v_and_b32_e32 v52, v52, v53
	v_and_b32_e32 v28, v50, v28
	;; [unrolled: 1-line block ×3, first 2 shown]
	v_mbcnt_lo_u32_b32 v50, v28, 0
	v_mbcnt_hi_u32_b32 v50, v29, v50
	v_cmp_ne_u64_e32 vcc, 0, v[28:29]
	v_cmp_eq_u32_e64 s[26:27], 0, v50
	s_and_b64 s[30:31], vcc, s[26:27]
	; wave barrier
	s_and_saveexec_b64 s[26:27], s[30:31]
	s_cbranch_execz .LBB149_35
; %bb.34:
	v_bcnt_u32_b32 v28, v28, 0
	v_bcnt_u32_b32 v28, v29, v28
	s_waitcnt lgkmcnt(0)
	v_add_u32_e32 v28, v48, v28
	ds_write_b32 v49, v28 offset:16
.LBB149_35:
	s_or_b64 exec, exec, s[26:27]
	v_cmp_gt_i64_e32 vcc, 0, v[23:24]
	v_ashrrev_i32_e32 v29, 31, v24
	v_cndmask_b32_e64 v28, v51, 0, vcc
	v_not_b32_e32 v29, v29
	v_xor_b32_e32 v24, v28, v24
	v_xor_b32_e32 v23, v29, v23
	v_cmp_ne_u64_e32 vcc, s[28:29], v[23:24]
	v_cndmask_b32_e32 v29, v51, v24, vcc
	v_cndmask_b32_e32 v28, -1, v23, vcc
	v_lshrrev_b64 v[28:29], s68, v[28:29]
	; wave barrier
	v_and_b32_e32 v29, s73, v28
	v_mul_lo_u32 v28, v29, 20
	v_lshl_add_u32 v52, v30, 2, v28
	v_and_b32_e32 v28, 1, v29
	v_add_co_u32_e32 v53, vcc, -1, v28
	v_addc_co_u32_e64 v54, s[26:27], 0, -1, vcc
	v_cmp_ne_u32_e32 vcc, 0, v28
	v_xor_b32_e32 v28, vcc_hi, v54
	v_and_b32_e32 v54, exec_hi, v28
	v_lshlrev_b32_e32 v28, 30, v29
	v_xor_b32_e32 v53, vcc_lo, v53
	v_cmp_gt_i64_e32 vcc, 0, v[27:28]
	v_not_b32_e32 v28, v28
	v_ashrrev_i32_e32 v28, 31, v28
	v_and_b32_e32 v53, exec_lo, v53
	v_xor_b32_e32 v55, vcc_hi, v28
	v_xor_b32_e32 v28, vcc_lo, v28
	v_and_b32_e32 v53, v53, v28
	v_lshlrev_b32_e32 v28, 29, v29
	v_cmp_gt_i64_e32 vcc, 0, v[27:28]
	v_not_b32_e32 v28, v28
	v_ashrrev_i32_e32 v28, 31, v28
	v_and_b32_e32 v54, v54, v55
	v_xor_b32_e32 v55, vcc_hi, v28
	v_xor_b32_e32 v28, vcc_lo, v28
	v_and_b32_e32 v53, v53, v28
	v_lshlrev_b32_e32 v28, 28, v29
	v_cmp_gt_i64_e32 vcc, 0, v[27:28]
	v_not_b32_e32 v28, v28
	v_ashrrev_i32_e32 v28, 31, v28
	v_and_b32_e32 v54, v54, v55
	;; [unrolled: 8-line block ×5, first 2 shown]
	v_xor_b32_e32 v55, vcc_hi, v28
	v_xor_b32_e32 v28, vcc_lo, v28
	v_and_b32_e32 v53, v53, v28
	v_lshlrev_b32_e32 v28, 24, v29
	v_cmp_gt_i64_e32 vcc, 0, v[27:28]
	v_not_b32_e32 v27, v28
	v_ashrrev_i32_e32 v27, 31, v27
	v_xor_b32_e32 v28, vcc_hi, v27
	v_xor_b32_e32 v27, vcc_lo, v27
	ds_read_b32 v51, v52 offset:16
	v_and_b32_e32 v54, v54, v55
	v_and_b32_e32 v27, v53, v27
	;; [unrolled: 1-line block ×3, first 2 shown]
	v_mbcnt_lo_u32_b32 v29, v27, 0
	v_mbcnt_hi_u32_b32 v53, v28, v29
	v_cmp_ne_u64_e32 vcc, 0, v[27:28]
	v_cmp_eq_u32_e64 s[26:27], 0, v53
	s_and_b64 s[28:29], vcc, s[26:27]
	; wave barrier
	s_and_saveexec_b64 s[26:27], s[28:29]
	s_cbranch_execz .LBB149_37
; %bb.36:
	v_bcnt_u32_b32 v27, v27, 0
	v_bcnt_u32_b32 v27, v28, v27
	s_waitcnt lgkmcnt(0)
	v_add_u32_e32 v27, v51, v27
	ds_write_b32 v52, v27 offset:16
.LBB149_37:
	s_or_b64 exec, exec, s[26:27]
	v_cmp_gt_i64_e32 vcc, 0, v[25:26]
	v_bfrev_b32_e32 v57, -2
	v_ashrrev_i32_e32 v28, 31, v26
	s_mov_b32 s28, 0
	v_cndmask_b32_e64 v27, v57, 0, vcc
	v_not_b32_e32 v28, v28
	s_brev_b32 s29, 1
	v_xor_b32_e32 v26, v27, v26
	v_xor_b32_e32 v25, v28, v25
	v_cmp_ne_u64_e32 vcc, s[28:29], v[25:26]
	v_cndmask_b32_e32 v28, v57, v26, vcc
	v_cndmask_b32_e32 v27, -1, v25, vcc
	v_lshrrev_b64 v[27:28], s68, v[27:28]
	; wave barrier
	v_and_b32_e32 v29, s73, v27
	v_mul_lo_u32 v27, v29, 20
	v_and_b32_e32 v28, 1, v29
	v_add_co_u32_e32 v56, vcc, -1, v28
	v_addc_co_u32_e64 v58, s[26:27], 0, -1, vcc
	v_cmp_ne_u32_e32 vcc, 0, v28
	v_xor_b32_e32 v28, vcc_hi, v58
	v_lshl_add_u32 v55, v30, 2, v27
	v_mov_b32_e32 v27, 0
	v_and_b32_e32 v58, exec_hi, v28
	v_lshlrev_b32_e32 v28, 30, v29
	v_xor_b32_e32 v56, vcc_lo, v56
	v_cmp_gt_i64_e32 vcc, 0, v[27:28]
	v_not_b32_e32 v28, v28
	v_ashrrev_i32_e32 v28, 31, v28
	v_and_b32_e32 v56, exec_lo, v56
	v_xor_b32_e32 v59, vcc_hi, v28
	v_xor_b32_e32 v28, vcc_lo, v28
	v_and_b32_e32 v56, v56, v28
	v_lshlrev_b32_e32 v28, 29, v29
	v_cmp_gt_i64_e32 vcc, 0, v[27:28]
	v_not_b32_e32 v28, v28
	v_ashrrev_i32_e32 v28, 31, v28
	v_and_b32_e32 v58, v58, v59
	v_xor_b32_e32 v59, vcc_hi, v28
	v_xor_b32_e32 v28, vcc_lo, v28
	v_and_b32_e32 v56, v56, v28
	v_lshlrev_b32_e32 v28, 28, v29
	v_cmp_gt_i64_e32 vcc, 0, v[27:28]
	v_not_b32_e32 v28, v28
	v_ashrrev_i32_e32 v28, 31, v28
	v_and_b32_e32 v58, v58, v59
	;; [unrolled: 8-line block ×5, first 2 shown]
	v_xor_b32_e32 v59, vcc_hi, v28
	v_xor_b32_e32 v28, vcc_lo, v28
	v_and_b32_e32 v56, v56, v28
	v_lshlrev_b32_e32 v28, 24, v29
	v_cmp_gt_i64_e32 vcc, 0, v[27:28]
	v_not_b32_e32 v28, v28
	v_ashrrev_i32_e32 v28, 31, v28
	v_xor_b32_e32 v29, vcc_hi, v28
	v_xor_b32_e32 v28, vcc_lo, v28
	ds_read_b32 v54, v55 offset:16
	v_and_b32_e32 v58, v58, v59
	v_and_b32_e32 v28, v56, v28
	;; [unrolled: 1-line block ×3, first 2 shown]
	v_mbcnt_lo_u32_b32 v56, v28, 0
	v_mbcnt_hi_u32_b32 v56, v29, v56
	v_cmp_ne_u64_e32 vcc, 0, v[28:29]
	v_cmp_eq_u32_e64 s[26:27], 0, v56
	s_and_b64 s[30:31], vcc, s[26:27]
	; wave barrier
	s_and_saveexec_b64 s[26:27], s[30:31]
	s_cbranch_execz .LBB149_39
; %bb.38:
	v_bcnt_u32_b32 v28, v28, 0
	v_bcnt_u32_b32 v28, v29, v28
	s_waitcnt lgkmcnt(0)
	v_add_u32_e32 v28, v54, v28
	ds_write_b32 v55, v28 offset:16
.LBB149_39:
	s_or_b64 exec, exec, s[26:27]
	v_cmp_gt_i64_e32 vcc, 0, v[21:22]
	v_ashrrev_i32_e32 v29, 31, v22
	v_cndmask_b32_e64 v28, v57, 0, vcc
	v_not_b32_e32 v29, v29
	v_xor_b32_e32 v22, v28, v22
	v_xor_b32_e32 v21, v29, v21
	v_cmp_ne_u64_e32 vcc, s[28:29], v[21:22]
	v_cndmask_b32_e32 v29, v57, v22, vcc
	v_cndmask_b32_e32 v28, -1, v21, vcc
	v_lshrrev_b64 v[28:29], s68, v[28:29]
	; wave barrier
	v_and_b32_e32 v29, s73, v28
	v_mul_lo_u32 v28, v29, 20
	v_lshl_add_u32 v58, v30, 2, v28
	v_and_b32_e32 v28, 1, v29
	v_add_co_u32_e32 v59, vcc, -1, v28
	v_addc_co_u32_e64 v60, s[26:27], 0, -1, vcc
	v_cmp_ne_u32_e32 vcc, 0, v28
	v_xor_b32_e32 v28, vcc_hi, v60
	v_and_b32_e32 v60, exec_hi, v28
	v_lshlrev_b32_e32 v28, 30, v29
	v_xor_b32_e32 v59, vcc_lo, v59
	v_cmp_gt_i64_e32 vcc, 0, v[27:28]
	v_not_b32_e32 v28, v28
	v_ashrrev_i32_e32 v28, 31, v28
	v_and_b32_e32 v59, exec_lo, v59
	v_xor_b32_e32 v61, vcc_hi, v28
	v_xor_b32_e32 v28, vcc_lo, v28
	v_and_b32_e32 v59, v59, v28
	v_lshlrev_b32_e32 v28, 29, v29
	v_cmp_gt_i64_e32 vcc, 0, v[27:28]
	v_not_b32_e32 v28, v28
	v_ashrrev_i32_e32 v28, 31, v28
	v_and_b32_e32 v60, v60, v61
	v_xor_b32_e32 v61, vcc_hi, v28
	v_xor_b32_e32 v28, vcc_lo, v28
	v_and_b32_e32 v59, v59, v28
	v_lshlrev_b32_e32 v28, 28, v29
	v_cmp_gt_i64_e32 vcc, 0, v[27:28]
	v_not_b32_e32 v28, v28
	v_ashrrev_i32_e32 v28, 31, v28
	v_and_b32_e32 v60, v60, v61
	;; [unrolled: 8-line block ×5, first 2 shown]
	v_xor_b32_e32 v61, vcc_hi, v28
	v_xor_b32_e32 v28, vcc_lo, v28
	v_and_b32_e32 v59, v59, v28
	v_lshlrev_b32_e32 v28, 24, v29
	v_cmp_gt_i64_e32 vcc, 0, v[27:28]
	v_not_b32_e32 v27, v28
	v_ashrrev_i32_e32 v27, 31, v27
	v_xor_b32_e32 v28, vcc_hi, v27
	v_xor_b32_e32 v27, vcc_lo, v27
	ds_read_b32 v57, v58 offset:16
	v_and_b32_e32 v60, v60, v61
	v_and_b32_e32 v27, v59, v27
	;; [unrolled: 1-line block ×3, first 2 shown]
	v_mbcnt_lo_u32_b32 v29, v27, 0
	v_mbcnt_hi_u32_b32 v59, v28, v29
	v_cmp_ne_u64_e32 vcc, 0, v[27:28]
	v_cmp_eq_u32_e64 s[26:27], 0, v59
	s_and_b64 s[28:29], vcc, s[26:27]
	; wave barrier
	s_and_saveexec_b64 s[26:27], s[28:29]
	s_cbranch_execz .LBB149_41
; %bb.40:
	v_bcnt_u32_b32 v27, v27, 0
	v_bcnt_u32_b32 v27, v28, v27
	s_waitcnt lgkmcnt(0)
	v_add_u32_e32 v27, v57, v27
	ds_write_b32 v58, v27 offset:16
.LBB149_41:
	s_or_b64 exec, exec, s[26:27]
	v_cmp_gt_i64_e32 vcc, 0, v[19:20]
	v_bfrev_b32_e32 v63, -2
	v_ashrrev_i32_e32 v28, 31, v20
	s_mov_b32 s28, 0
	v_cndmask_b32_e64 v27, v63, 0, vcc
	v_not_b32_e32 v28, v28
	s_brev_b32 s29, 1
	v_xor_b32_e32 v20, v27, v20
	v_xor_b32_e32 v19, v28, v19
	v_cmp_ne_u64_e32 vcc, s[28:29], v[19:20]
	v_cndmask_b32_e32 v28, v63, v20, vcc
	v_cndmask_b32_e32 v27, -1, v19, vcc
	v_lshrrev_b64 v[27:28], s68, v[27:28]
	; wave barrier
	v_and_b32_e32 v29, s73, v27
	v_mul_lo_u32 v27, v29, 20
	v_and_b32_e32 v28, 1, v29
	v_add_co_u32_e32 v62, vcc, -1, v28
	v_addc_co_u32_e64 v64, s[26:27], 0, -1, vcc
	v_cmp_ne_u32_e32 vcc, 0, v28
	v_xor_b32_e32 v28, vcc_hi, v64
	v_lshl_add_u32 v61, v30, 2, v27
	v_mov_b32_e32 v27, 0
	v_and_b32_e32 v64, exec_hi, v28
	v_lshlrev_b32_e32 v28, 30, v29
	v_xor_b32_e32 v62, vcc_lo, v62
	v_cmp_gt_i64_e32 vcc, 0, v[27:28]
	v_not_b32_e32 v28, v28
	v_ashrrev_i32_e32 v28, 31, v28
	v_and_b32_e32 v62, exec_lo, v62
	v_xor_b32_e32 v65, vcc_hi, v28
	v_xor_b32_e32 v28, vcc_lo, v28
	v_and_b32_e32 v62, v62, v28
	v_lshlrev_b32_e32 v28, 29, v29
	v_cmp_gt_i64_e32 vcc, 0, v[27:28]
	v_not_b32_e32 v28, v28
	v_ashrrev_i32_e32 v28, 31, v28
	v_and_b32_e32 v64, v64, v65
	v_xor_b32_e32 v65, vcc_hi, v28
	v_xor_b32_e32 v28, vcc_lo, v28
	v_and_b32_e32 v62, v62, v28
	v_lshlrev_b32_e32 v28, 28, v29
	v_cmp_gt_i64_e32 vcc, 0, v[27:28]
	v_not_b32_e32 v28, v28
	v_ashrrev_i32_e32 v28, 31, v28
	v_and_b32_e32 v64, v64, v65
	;; [unrolled: 8-line block ×5, first 2 shown]
	v_xor_b32_e32 v65, vcc_hi, v28
	v_xor_b32_e32 v28, vcc_lo, v28
	v_and_b32_e32 v62, v62, v28
	v_lshlrev_b32_e32 v28, 24, v29
	v_cmp_gt_i64_e32 vcc, 0, v[27:28]
	v_not_b32_e32 v28, v28
	v_ashrrev_i32_e32 v28, 31, v28
	v_xor_b32_e32 v29, vcc_hi, v28
	v_xor_b32_e32 v28, vcc_lo, v28
	ds_read_b32 v60, v61 offset:16
	v_and_b32_e32 v64, v64, v65
	v_and_b32_e32 v28, v62, v28
	;; [unrolled: 1-line block ×3, first 2 shown]
	v_mbcnt_lo_u32_b32 v62, v28, 0
	v_mbcnt_hi_u32_b32 v62, v29, v62
	v_cmp_ne_u64_e32 vcc, 0, v[28:29]
	v_cmp_eq_u32_e64 s[26:27], 0, v62
	s_and_b64 s[30:31], vcc, s[26:27]
	; wave barrier
	s_and_saveexec_b64 s[26:27], s[30:31]
	s_cbranch_execz .LBB149_43
; %bb.42:
	v_bcnt_u32_b32 v28, v28, 0
	v_bcnt_u32_b32 v28, v29, v28
	s_waitcnt lgkmcnt(0)
	v_add_u32_e32 v28, v60, v28
	ds_write_b32 v61, v28 offset:16
.LBB149_43:
	s_or_b64 exec, exec, s[26:27]
	v_cmp_gt_i64_e32 vcc, 0, v[15:16]
	v_ashrrev_i32_e32 v29, 31, v16
	v_cndmask_b32_e64 v28, v63, 0, vcc
	v_not_b32_e32 v29, v29
	v_xor_b32_e32 v16, v28, v16
	v_xor_b32_e32 v15, v29, v15
	v_cmp_ne_u64_e32 vcc, s[28:29], v[15:16]
	v_cndmask_b32_e32 v29, v63, v16, vcc
	v_cndmask_b32_e32 v28, -1, v15, vcc
	v_lshrrev_b64 v[28:29], s68, v[28:29]
	; wave barrier
	v_and_b32_e32 v29, s73, v28
	v_mul_lo_u32 v28, v29, 20
	v_lshl_add_u32 v64, v30, 2, v28
	v_and_b32_e32 v28, 1, v29
	v_add_co_u32_e32 v65, vcc, -1, v28
	v_addc_co_u32_e64 v66, s[26:27], 0, -1, vcc
	v_cmp_ne_u32_e32 vcc, 0, v28
	v_xor_b32_e32 v28, vcc_hi, v66
	v_and_b32_e32 v66, exec_hi, v28
	v_lshlrev_b32_e32 v28, 30, v29
	v_xor_b32_e32 v65, vcc_lo, v65
	v_cmp_gt_i64_e32 vcc, 0, v[27:28]
	v_not_b32_e32 v28, v28
	v_ashrrev_i32_e32 v28, 31, v28
	v_and_b32_e32 v65, exec_lo, v65
	v_xor_b32_e32 v67, vcc_hi, v28
	v_xor_b32_e32 v28, vcc_lo, v28
	v_and_b32_e32 v65, v65, v28
	v_lshlrev_b32_e32 v28, 29, v29
	v_cmp_gt_i64_e32 vcc, 0, v[27:28]
	v_not_b32_e32 v28, v28
	v_ashrrev_i32_e32 v28, 31, v28
	v_and_b32_e32 v66, v66, v67
	v_xor_b32_e32 v67, vcc_hi, v28
	v_xor_b32_e32 v28, vcc_lo, v28
	v_and_b32_e32 v65, v65, v28
	v_lshlrev_b32_e32 v28, 28, v29
	v_cmp_gt_i64_e32 vcc, 0, v[27:28]
	v_not_b32_e32 v28, v28
	v_ashrrev_i32_e32 v28, 31, v28
	v_and_b32_e32 v66, v66, v67
	;; [unrolled: 8-line block ×5, first 2 shown]
	v_xor_b32_e32 v67, vcc_hi, v28
	v_xor_b32_e32 v28, vcc_lo, v28
	v_and_b32_e32 v65, v65, v28
	v_lshlrev_b32_e32 v28, 24, v29
	v_cmp_gt_i64_e32 vcc, 0, v[27:28]
	v_not_b32_e32 v27, v28
	v_ashrrev_i32_e32 v27, 31, v27
	v_xor_b32_e32 v28, vcc_hi, v27
	v_xor_b32_e32 v27, vcc_lo, v27
	ds_read_b32 v63, v64 offset:16
	v_and_b32_e32 v66, v66, v67
	v_and_b32_e32 v27, v65, v27
	;; [unrolled: 1-line block ×3, first 2 shown]
	v_mbcnt_lo_u32_b32 v29, v27, 0
	v_mbcnt_hi_u32_b32 v65, v28, v29
	v_cmp_ne_u64_e32 vcc, 0, v[27:28]
	v_cmp_eq_u32_e64 s[26:27], 0, v65
	s_and_b64 s[28:29], vcc, s[26:27]
	; wave barrier
	s_and_saveexec_b64 s[26:27], s[28:29]
	s_cbranch_execz .LBB149_45
; %bb.44:
	v_bcnt_u32_b32 v27, v27, 0
	v_bcnt_u32_b32 v27, v28, v27
	s_waitcnt lgkmcnt(0)
	v_add_u32_e32 v27, v63, v27
	ds_write_b32 v64, v27 offset:16
.LBB149_45:
	s_or_b64 exec, exec, s[26:27]
	v_cmp_gt_i64_e32 vcc, 0, v[11:12]
	v_bfrev_b32_e32 v69, -2
	v_ashrrev_i32_e32 v28, 31, v12
	s_mov_b32 s28, 0
	v_cndmask_b32_e64 v27, v69, 0, vcc
	v_not_b32_e32 v28, v28
	s_brev_b32 s29, 1
	v_xor_b32_e32 v12, v27, v12
	v_xor_b32_e32 v11, v28, v11
	v_cmp_ne_u64_e32 vcc, s[28:29], v[11:12]
	v_cndmask_b32_e32 v28, v69, v12, vcc
	v_cndmask_b32_e32 v27, -1, v11, vcc
	v_lshrrev_b64 v[27:28], s68, v[27:28]
	; wave barrier
	v_and_b32_e32 v29, s73, v27
	v_mul_lo_u32 v27, v29, 20
	v_and_b32_e32 v28, 1, v29
	v_add_co_u32_e32 v68, vcc, -1, v28
	v_addc_co_u32_e64 v70, s[26:27], 0, -1, vcc
	v_cmp_ne_u32_e32 vcc, 0, v28
	v_xor_b32_e32 v28, vcc_hi, v70
	v_lshl_add_u32 v67, v30, 2, v27
	v_mov_b32_e32 v27, 0
	v_and_b32_e32 v70, exec_hi, v28
	v_lshlrev_b32_e32 v28, 30, v29
	v_xor_b32_e32 v68, vcc_lo, v68
	v_cmp_gt_i64_e32 vcc, 0, v[27:28]
	v_not_b32_e32 v28, v28
	v_ashrrev_i32_e32 v28, 31, v28
	v_and_b32_e32 v68, exec_lo, v68
	v_xor_b32_e32 v71, vcc_hi, v28
	v_xor_b32_e32 v28, vcc_lo, v28
	v_and_b32_e32 v68, v68, v28
	v_lshlrev_b32_e32 v28, 29, v29
	v_cmp_gt_i64_e32 vcc, 0, v[27:28]
	v_not_b32_e32 v28, v28
	v_ashrrev_i32_e32 v28, 31, v28
	v_and_b32_e32 v70, v70, v71
	v_xor_b32_e32 v71, vcc_hi, v28
	v_xor_b32_e32 v28, vcc_lo, v28
	v_and_b32_e32 v68, v68, v28
	v_lshlrev_b32_e32 v28, 28, v29
	v_cmp_gt_i64_e32 vcc, 0, v[27:28]
	v_not_b32_e32 v28, v28
	v_ashrrev_i32_e32 v28, 31, v28
	v_and_b32_e32 v70, v70, v71
	v_xor_b32_e32 v71, vcc_hi, v28
	v_xor_b32_e32 v28, vcc_lo, v28
	v_and_b32_e32 v68, v68, v28
	v_lshlrev_b32_e32 v28, 27, v29
	v_cmp_gt_i64_e32 vcc, 0, v[27:28]
	v_not_b32_e32 v28, v28
	v_ashrrev_i32_e32 v28, 31, v28
	v_and_b32_e32 v70, v70, v71
	v_xor_b32_e32 v71, vcc_hi, v28
	v_xor_b32_e32 v28, vcc_lo, v28
	v_and_b32_e32 v68, v68, v28
	v_lshlrev_b32_e32 v28, 26, v29
	v_cmp_gt_i64_e32 vcc, 0, v[27:28]
	v_not_b32_e32 v28, v28
	v_ashrrev_i32_e32 v28, 31, v28
	v_and_b32_e32 v70, v70, v71
	v_xor_b32_e32 v71, vcc_hi, v28
	v_xor_b32_e32 v28, vcc_lo, v28
	v_and_b32_e32 v68, v68, v28
	v_lshlrev_b32_e32 v28, 25, v29
	v_cmp_gt_i64_e32 vcc, 0, v[27:28]
	v_not_b32_e32 v28, v28
	v_ashrrev_i32_e32 v28, 31, v28
	v_and_b32_e32 v70, v70, v71
	v_xor_b32_e32 v71, vcc_hi, v28
	v_xor_b32_e32 v28, vcc_lo, v28
	v_and_b32_e32 v68, v68, v28
	v_lshlrev_b32_e32 v28, 24, v29
	v_cmp_gt_i64_e32 vcc, 0, v[27:28]
	v_not_b32_e32 v28, v28
	v_ashrrev_i32_e32 v28, 31, v28
	v_xor_b32_e32 v29, vcc_hi, v28
	v_xor_b32_e32 v28, vcc_lo, v28
	ds_read_b32 v66, v67 offset:16
	v_and_b32_e32 v70, v70, v71
	v_and_b32_e32 v28, v68, v28
	;; [unrolled: 1-line block ×3, first 2 shown]
	v_mbcnt_lo_u32_b32 v68, v28, 0
	v_mbcnt_hi_u32_b32 v68, v29, v68
	v_cmp_ne_u64_e32 vcc, 0, v[28:29]
	v_cmp_eq_u32_e64 s[26:27], 0, v68
	s_and_b64 s[30:31], vcc, s[26:27]
	; wave barrier
	s_and_saveexec_b64 s[26:27], s[30:31]
	s_cbranch_execz .LBB149_47
; %bb.46:
	v_bcnt_u32_b32 v28, v28, 0
	v_bcnt_u32_b32 v28, v29, v28
	s_waitcnt lgkmcnt(0)
	v_add_u32_e32 v28, v66, v28
	ds_write_b32 v67, v28 offset:16
.LBB149_47:
	s_or_b64 exec, exec, s[26:27]
	v_cmp_gt_i64_e32 vcc, 0, v[7:8]
	v_ashrrev_i32_e32 v29, 31, v8
	v_cndmask_b32_e64 v28, v69, 0, vcc
	v_not_b32_e32 v29, v29
	v_xor_b32_e32 v8, v28, v8
	v_xor_b32_e32 v7, v29, v7
	v_cmp_ne_u64_e32 vcc, s[28:29], v[7:8]
	v_cndmask_b32_e32 v29, v69, v8, vcc
	v_cndmask_b32_e32 v28, -1, v7, vcc
	v_lshrrev_b64 v[28:29], s68, v[28:29]
	; wave barrier
	v_and_b32_e32 v29, s73, v28
	v_mul_lo_u32 v28, v29, 20
	v_lshl_add_u32 v70, v30, 2, v28
	v_and_b32_e32 v28, 1, v29
	v_add_co_u32_e32 v30, vcc, -1, v28
	v_addc_co_u32_e64 v71, s[26:27], 0, -1, vcc
	v_cmp_ne_u32_e32 vcc, 0, v28
	v_xor_b32_e32 v28, vcc_hi, v71
	v_and_b32_e32 v71, exec_hi, v28
	v_lshlrev_b32_e32 v28, 30, v29
	v_xor_b32_e32 v30, vcc_lo, v30
	v_cmp_gt_i64_e32 vcc, 0, v[27:28]
	v_not_b32_e32 v28, v28
	v_ashrrev_i32_e32 v28, 31, v28
	v_and_b32_e32 v30, exec_lo, v30
	v_xor_b32_e32 v72, vcc_hi, v28
	v_xor_b32_e32 v28, vcc_lo, v28
	v_and_b32_e32 v30, v30, v28
	v_lshlrev_b32_e32 v28, 29, v29
	v_cmp_gt_i64_e32 vcc, 0, v[27:28]
	v_not_b32_e32 v28, v28
	v_ashrrev_i32_e32 v28, 31, v28
	v_and_b32_e32 v71, v71, v72
	v_xor_b32_e32 v72, vcc_hi, v28
	v_xor_b32_e32 v28, vcc_lo, v28
	v_and_b32_e32 v30, v30, v28
	v_lshlrev_b32_e32 v28, 28, v29
	v_cmp_gt_i64_e32 vcc, 0, v[27:28]
	v_not_b32_e32 v28, v28
	v_ashrrev_i32_e32 v28, 31, v28
	v_and_b32_e32 v71, v71, v72
	;; [unrolled: 8-line block ×5, first 2 shown]
	v_xor_b32_e32 v72, vcc_hi, v28
	v_xor_b32_e32 v28, vcc_lo, v28
	v_and_b32_e32 v30, v30, v28
	v_lshlrev_b32_e32 v28, 24, v29
	v_cmp_gt_i64_e32 vcc, 0, v[27:28]
	v_not_b32_e32 v27, v28
	v_ashrrev_i32_e32 v27, 31, v27
	v_xor_b32_e32 v28, vcc_hi, v27
	v_xor_b32_e32 v27, vcc_lo, v27
	ds_read_b32 v69, v70 offset:16
	v_and_b32_e32 v71, v71, v72
	v_and_b32_e32 v27, v30, v27
	v_and_b32_e32 v28, v71, v28
	v_mbcnt_lo_u32_b32 v29, v27, 0
	v_mbcnt_hi_u32_b32 v71, v28, v29
	v_cmp_ne_u64_e32 vcc, 0, v[27:28]
	v_cmp_eq_u32_e64 s[26:27], 0, v71
	s_and_b64 s[28:29], vcc, s[26:27]
	; wave barrier
	s_and_saveexec_b64 s[26:27], s[28:29]
	s_cbranch_execz .LBB149_49
; %bb.48:
	v_bcnt_u32_b32 v27, v27, 0
	v_bcnt_u32_b32 v27, v28, v27
	s_waitcnt lgkmcnt(0)
	v_add_u32_e32 v27, v69, v27
	ds_write_b32 v70, v27 offset:16
.LBB149_49:
	s_or_b64 exec, exec, s[26:27]
	; wave barrier
	s_waitcnt lgkmcnt(0)
	s_barrier
	ds_read2_b32 v[29:30], v36 offset0:4 offset1:5
	ds_read2_b32 v[27:28], v36 offset0:6 offset1:7
	ds_read_b32 v72, v36 offset:32
	v_min_u32_e32 v35, 0xc0, v35
	v_or_b32_e32 v35, 63, v35
	s_waitcnt lgkmcnt(1)
	v_add3_u32 v73, v30, v29, v27
	s_waitcnt lgkmcnt(0)
	v_add3_u32 v72, v73, v28, v72
	v_and_b32_e32 v73, 15, v34
	v_cmp_ne_u32_e32 vcc, 0, v73
	v_mov_b32_dpp v74, v72 row_shr:1 row_mask:0xf bank_mask:0xf
	v_cndmask_b32_e32 v74, 0, v74, vcc
	v_add_u32_e32 v72, v74, v72
	v_cmp_lt_u32_e32 vcc, 1, v73
	s_nop 0
	v_mov_b32_dpp v74, v72 row_shr:2 row_mask:0xf bank_mask:0xf
	v_cndmask_b32_e32 v74, 0, v74, vcc
	v_add_u32_e32 v72, v72, v74
	v_cmp_lt_u32_e32 vcc, 3, v73
	s_nop 0
	;; [unrolled: 5-line block ×3, first 2 shown]
	v_mov_b32_dpp v74, v72 row_shr:8 row_mask:0xf bank_mask:0xf
	v_cndmask_b32_e32 v73, 0, v74, vcc
	v_add_u32_e32 v72, v72, v73
	v_bfe_i32 v74, v34, 4, 1
	v_cmp_lt_u32_e32 vcc, 31, v34
	v_mov_b32_dpp v73, v72 row_bcast:15 row_mask:0xf bank_mask:0xf
	v_and_b32_e32 v73, v74, v73
	v_add_u32_e32 v72, v72, v73
	s_nop 1
	v_mov_b32_dpp v73, v72 row_bcast:31 row_mask:0xf bank_mask:0xf
	v_cndmask_b32_e32 v73, 0, v73, vcc
	v_add_u32_e32 v72, v72, v73
	v_lshrrev_b32_e32 v73, 6, v0
	v_cmp_eq_u32_e32 vcc, v0, v35
	s_and_saveexec_b64 s[26:27], vcc
; %bb.50:
	v_lshlrev_b32_e32 v35, 2, v73
	ds_write_b32 v35, v72
; %bb.51:
	s_or_b64 exec, exec, s[26:27]
	v_cmp_gt_u32_e32 vcc, 4, v0
	s_waitcnt lgkmcnt(0)
	s_barrier
	s_and_saveexec_b64 s[26:27], vcc
	s_cbranch_execz .LBB149_53
; %bb.52:
	v_lshlrev_b32_e32 v35, 2, v0
	ds_read_b32 v74, v35
	v_and_b32_e32 v75, 3, v34
	v_cmp_ne_u32_e32 vcc, 0, v75
	s_waitcnt lgkmcnt(0)
	v_mov_b32_dpp v76, v74 row_shr:1 row_mask:0xf bank_mask:0xf
	v_cndmask_b32_e32 v76, 0, v76, vcc
	v_add_u32_e32 v74, v76, v74
	v_cmp_lt_u32_e32 vcc, 1, v75
	s_nop 0
	v_mov_b32_dpp v76, v74 row_shr:2 row_mask:0xf bank_mask:0xf
	v_cndmask_b32_e32 v75, 0, v76, vcc
	v_add_u32_e32 v74, v74, v75
	ds_write_b32 v35, v74
.LBB149_53:
	s_or_b64 exec, exec, s[26:27]
	v_cmp_lt_u32_e32 vcc, 63, v0
	v_mov_b32_e32 v35, 0
	s_waitcnt lgkmcnt(0)
	s_barrier
	s_and_saveexec_b64 s[26:27], vcc
; %bb.54:
	v_lshl_add_u32 v35, v73, 2, -4
	ds_read_b32 v35, v35
; %bb.55:
	s_or_b64 exec, exec, s[26:27]
	v_add_u32_e32 v73, -1, v34
	v_and_b32_e32 v74, 64, v34
	v_cmp_lt_i32_e32 vcc, v73, v74
	v_cndmask_b32_e32 v73, v73, v34, vcc
	s_waitcnt lgkmcnt(0)
	v_add_u32_e32 v72, v35, v72
	v_lshlrev_b32_e32 v73, 2, v73
	ds_bpermute_b32 v72, v73, v72
	v_cmp_eq_u32_e32 vcc, 0, v34
	s_movk_i32 s26, 0x100
	s_waitcnt lgkmcnt(0)
	v_cndmask_b32_e32 v34, v72, v35, vcc
	v_cmp_ne_u32_e32 vcc, 0, v0
	v_cndmask_b32_e32 v34, 0, v34, vcc
	v_add_u32_e32 v29, v34, v29
	v_add_u32_e32 v30, v29, v30
	;; [unrolled: 1-line block ×4, first 2 shown]
	ds_write2_b32 v36, v34, v29 offset0:4 offset1:5
	ds_write2_b32 v36, v30, v27 offset0:6 offset1:7
	ds_write_b32 v36, v28 offset:32
	s_waitcnt lgkmcnt(0)
	s_barrier
	ds_read_b32 v58, v58 offset:16
	ds_read_b32 v34, v61 offset:16
	;; [unrolled: 1-line block ×13, first 2 shown]
	v_add_u32_e32 v36, 1, v0
	v_cmp_ne_u32_e32 vcc, s26, v36
	v_mov_b32_e32 v49, 0xc00
	s_and_saveexec_b64 s[26:27], vcc
; %bb.56:
	v_mul_u32_u24_e32 v36, 20, v36
	ds_read_b32 v49, v36 offset:16
; %bb.57:
	s_or_b64 exec, exec, s[26:27]
	v_lshlrev_b32_e32 v36, 3, v37
	s_waitcnt lgkmcnt(7)
	v_lshl_add_u32 v35, v35, 3, v36
	s_waitcnt lgkmcnt(0)
	s_barrier
	ds_write_b64 v35, v[3:4] offset:2048
	v_lshlrev_b32_e32 v3, 3, v64
	v_lshlrev_b32_e32 v4, 3, v41
	;; [unrolled: 1-line block ×3, first 2 shown]
	v_add3_u32 v36, v3, v4, v36
	ds_write_b64 v36, v[5:6] offset:2048
	v_lshlrev_b32_e32 v3, 3, v61
	v_lshlrev_b32_e32 v4, 3, v44
	v_lshlrev_b32_e32 v5, 3, v42
	v_add3_u32 v37, v3, v4, v5
	v_lshlrev_b32_e32 v3, 3, v38
	v_lshlrev_b32_e32 v4, 3, v47
	v_lshlrev_b32_e32 v5, 3, v45
	v_add3_u32 v38, v3, v4, v5
	;; [unrolled: 4-line block ×10, first 2 shown]
	v_lshl_or_b32 v5, s6, 8, v0
	v_mov_b32_e32 v6, 0
	v_lshlrev_b64 v[3:4], 2, v[5:6]
	ds_write_b64 v37, v[9:10] offset:2048
	v_sub_u32_e32 v30, v49, v29
	v_mov_b32_e32 v9, s55
	v_add_co_u32_e32 v3, vcc, s54, v3
	v_addc_co_u32_e32 v4, vcc, v9, v4, vcc
	v_or_b32_e32 v5, 2.0, v30
	s_mov_b64 s[26:27], 0
	s_brev_b32 s34, -4
	s_mov_b32 s35, s7
	v_mov_b32_e32 v10, 0
	ds_write_b64 v38, v[13:14] offset:2048
	ds_write_b64 v39, v[17:18] offset:2048
	;; [unrolled: 1-line block ×9, first 2 shown]
	s_waitcnt lgkmcnt(0)
	s_barrier
	global_store_dword v[3:4], v5, off
                                        ; implicit-def: $sgpr28_sgpr29
	s_branch .LBB149_60
.LBB149_58:                             ;   in Loop: Header=BB149_60 Depth=1
	s_or_b64 exec, exec, s[30:31]
.LBB149_59:                             ;   in Loop: Header=BB149_60 Depth=1
	s_or_b64 exec, exec, s[28:29]
	v_and_b32_e32 v7, 0x3fffffff, v5
	v_add_u32_e32 v10, v7, v10
	v_cmp_gt_i32_e64 s[28:29], -2.0, v5
	s_and_b64 s[30:31], exec, s[28:29]
	s_or_b64 s[26:27], s[30:31], s[26:27]
	s_andn2_b64 exec, exec, s[26:27]
	s_cbranch_execz .LBB149_65
.LBB149_60:                             ; =>This Loop Header: Depth=1
                                        ;     Child Loop BB149_63 Depth 2
	s_or_b64 s[28:29], s[28:29], exec
	s_cmp_eq_u32 s35, 0
	s_cbranch_scc1 .LBB149_64
; %bb.61:                               ;   in Loop: Header=BB149_60 Depth=1
	s_add_i32 s35, s35, -1
	v_lshl_or_b32 v5, s35, 8, v0
	v_lshlrev_b64 v[7:8], 2, v[5:6]
	v_add_co_u32_e32 v7, vcc, s54, v7
	v_addc_co_u32_e32 v8, vcc, v9, v8, vcc
	global_load_dword v5, v[7:8], off glc
	s_waitcnt vmcnt(0)
	v_cmp_gt_u32_e32 vcc, 2.0, v5
	s_and_saveexec_b64 s[28:29], vcc
	s_cbranch_execz .LBB149_59
; %bb.62:                               ;   in Loop: Header=BB149_60 Depth=1
	s_mov_b64 s[30:31], 0
.LBB149_63:                             ;   Parent Loop BB149_60 Depth=1
                                        ; =>  This Inner Loop Header: Depth=2
	global_load_dword v5, v[7:8], off glc
	s_waitcnt vmcnt(0)
	v_cmp_lt_u32_e32 vcc, s34, v5
	s_or_b64 s[30:31], vcc, s[30:31]
	s_andn2_b64 exec, exec, s[30:31]
	s_cbranch_execnz .LBB149_63
	s_branch .LBB149_58
.LBB149_64:                             ;   in Loop: Header=BB149_60 Depth=1
                                        ; implicit-def: $sgpr35
	s_and_b64 s[30:31], exec, s[28:29]
	s_or_b64 s[26:27], s[30:31], s[26:27]
	s_andn2_b64 exec, exec, s[26:27]
	s_cbranch_execnz .LBB149_60
.LBB149_65:
	s_or_b64 exec, exec, s[26:27]
	v_add_u32_e32 v5, v10, v30
	v_or_b32_e32 v5, 0x80000000, v5
	v_lshlrev_b32_e32 v34, 3, v0
	global_store_dword v[3:4], v5, off
	global_load_dwordx2 v[3:4], v34, s[64:65]
	v_sub_co_u32_e32 v5, vcc, v10, v29
	v_subb_co_u32_e64 v6, s[26:27], 0, 0, vcc
	s_brev_b32 s31, 1
	v_cmp_gt_u32_e64 s[26:27], s74, v0
	s_waitcnt vmcnt(0)
	v_add_co_u32_e32 v3, vcc, v5, v3
	v_addc_co_u32_e32 v4, vcc, v6, v4, vcc
	ds_write_b64 v34, v[3:4]
	s_waitcnt lgkmcnt(0)
	s_barrier
	s_and_saveexec_b64 s[28:29], s[26:27]
	s_cbranch_execz .LBB149_67
; %bb.66:
	ds_read_b64 v[3:4], v34 offset:2048
	s_mov_b32 s30, 0
	v_bfrev_b32_e32 v7, -2
	v_mov_b32_e32 v8, s59
	s_waitcnt lgkmcnt(0)
	v_cmp_ne_u64_e32 vcc, s[30:31], v[3:4]
	v_ashrrev_i32_e32 v9, 31, v4
	v_cndmask_b32_e32 v6, v7, v4, vcc
	v_cndmask_b32_e32 v5, -1, v3, vcc
	v_lshrrev_b64 v[5:6], s68, v[5:6]
	v_cmp_gt_i64_e32 vcc, 0, v[3:4]
	v_and_b32_e32 v5, s73, v5
	v_lshlrev_b32_e32 v5, 3, v5
	ds_read_b64 v[5:6], v5
	v_cndmask_b32_e64 v7, v7, 0, vcc
	v_not_b32_e32 v9, v9
	v_xor_b32_e32 v4, v7, v4
	v_xor_b32_e32 v3, v9, v3
	s_waitcnt lgkmcnt(0)
	v_lshlrev_b64 v[5:6], 3, v[5:6]
	v_add_co_u32_e32 v5, vcc, s58, v5
	v_addc_co_u32_e32 v6, vcc, v8, v6, vcc
	v_add_co_u32_e32 v5, vcc, v5, v34
	v_addc_co_u32_e32 v6, vcc, 0, v6, vcc
	global_store_dwordx2 v[5:6], v[3:4], off
.LBB149_67:
	s_or_b64 exec, exec, s[28:29]
	v_or_b32_e32 v3, 0x100, v0
	v_cmp_gt_u32_e64 s[28:29], s74, v3
	s_and_saveexec_b64 s[30:31], s[28:29]
	s_cbranch_execz .LBB149_69
; %bb.68:
	ds_read_b64 v[3:4], v34 offset:4096
	s_mov_b32 s34, 0
	s_brev_b32 s35, 1
	v_bfrev_b32_e32 v7, -2
	s_waitcnt lgkmcnt(0)
	v_cmp_ne_u64_e32 vcc, s[34:35], v[3:4]
	v_ashrrev_i32_e32 v8, 31, v4
	v_cndmask_b32_e32 v6, v7, v4, vcc
	v_cndmask_b32_e32 v5, -1, v3, vcc
	v_lshrrev_b64 v[5:6], s68, v[5:6]
	v_cmp_gt_i64_e32 vcc, 0, v[3:4]
	v_and_b32_e32 v5, s73, v5
	v_lshlrev_b32_e32 v5, 3, v5
	ds_read_b64 v[5:6], v5
	v_cndmask_b32_e64 v7, v7, 0, vcc
	v_xor_b32_e32 v4, v7, v4
	v_mov_b32_e32 v7, s59
	v_not_b32_e32 v8, v8
	s_waitcnt lgkmcnt(0)
	v_lshlrev_b64 v[5:6], 3, v[5:6]
	v_xor_b32_e32 v3, v8, v3
	v_add_co_u32_e32 v5, vcc, s58, v5
	v_addc_co_u32_e32 v6, vcc, v7, v6, vcc
	v_add_co_u32_e32 v5, vcc, v5, v34
	v_addc_co_u32_e32 v6, vcc, 0, v6, vcc
	global_store_dwordx2 v[5:6], v[3:4], off offset:2048
.LBB149_69:
	s_or_b64 exec, exec, s[30:31]
	v_or_b32_e32 v47, 0x200, v0
	v_cmp_gt_u32_e64 s[30:31], s74, v47
	s_and_saveexec_b64 s[34:35], s[30:31]
	s_cbranch_execz .LBB149_71
; %bb.70:
	ds_read_b64 v[3:4], v34 offset:6144
	s_mov_b32 s36, 0
	s_brev_b32 s37, 1
	v_bfrev_b32_e32 v7, -2
	s_waitcnt lgkmcnt(0)
	v_cmp_ne_u64_e32 vcc, s[36:37], v[3:4]
	v_ashrrev_i32_e32 v8, 31, v4
	v_cndmask_b32_e32 v6, v7, v4, vcc
	v_cndmask_b32_e32 v5, -1, v3, vcc
	v_lshrrev_b64 v[5:6], s68, v[5:6]
	v_cmp_gt_i64_e32 vcc, 0, v[3:4]
	v_and_b32_e32 v5, s73, v5
	v_lshlrev_b32_e32 v5, 3, v5
	ds_read_b64 v[5:6], v5
	v_cndmask_b32_e64 v7, v7, 0, vcc
	v_xor_b32_e32 v4, v7, v4
	v_mov_b32_e32 v7, s59
	v_not_b32_e32 v8, v8
	s_waitcnt lgkmcnt(0)
	v_lshlrev_b64 v[5:6], 3, v[5:6]
	v_xor_b32_e32 v3, v8, v3
	v_add_co_u32_e32 v5, vcc, s58, v5
	v_addc_co_u32_e32 v6, vcc, v7, v6, vcc
	v_lshlrev_b32_e32 v7, 3, v47
	v_add_co_u32_e32 v5, vcc, v5, v7
	v_addc_co_u32_e32 v6, vcc, 0, v6, vcc
	global_store_dwordx2 v[5:6], v[3:4], off
.LBB149_71:
	s_or_b64 exec, exec, s[34:35]
	v_or_b32_e32 v48, 0x300, v0
	v_cmp_gt_u32_e64 s[34:35], s74, v48
	s_and_saveexec_b64 s[36:37], s[34:35]
	s_cbranch_execz .LBB149_73
; %bb.72:
	ds_read_b64 v[3:4], v34 offset:8192
	s_mov_b32 s38, 0
	s_brev_b32 s39, 1
	v_bfrev_b32_e32 v7, -2
	s_waitcnt lgkmcnt(0)
	v_cmp_ne_u64_e32 vcc, s[38:39], v[3:4]
	v_ashrrev_i32_e32 v8, 31, v4
	v_cndmask_b32_e32 v6, v7, v4, vcc
	v_cndmask_b32_e32 v5, -1, v3, vcc
	v_lshrrev_b64 v[5:6], s68, v[5:6]
	v_cmp_gt_i64_e32 vcc, 0, v[3:4]
	v_and_b32_e32 v5, s73, v5
	v_lshlrev_b32_e32 v5, 3, v5
	ds_read_b64 v[5:6], v5
	v_cndmask_b32_e64 v7, v7, 0, vcc
	v_xor_b32_e32 v4, v7, v4
	v_mov_b32_e32 v7, s59
	v_not_b32_e32 v8, v8
	s_waitcnt lgkmcnt(0)
	v_lshlrev_b64 v[5:6], 3, v[5:6]
	v_xor_b32_e32 v3, v8, v3
	v_add_co_u32_e32 v5, vcc, s58, v5
	v_addc_co_u32_e32 v6, vcc, v7, v6, vcc
	v_lshlrev_b32_e32 v7, 3, v48
	v_add_co_u32_e32 v5, vcc, v5, v7
	v_addc_co_u32_e32 v6, vcc, 0, v6, vcc
	global_store_dwordx2 v[5:6], v[3:4], off
.LBB149_73:
	;; [unrolled: 34-line block ×10, first 2 shown]
	s_or_b64 exec, exec, s[74:75]
	s_add_u32 s70, s60, s70
	s_addc_u32 s71, s61, s71
	v_mov_b32_e32 v3, s71
	v_add_co_u32_e32 v4, vcc, s70, v32
	v_addc_co_u32_e32 v3, vcc, 0, v3, vcc
	v_add_co_u32_e32 v27, vcc, v4, v33
	v_addc_co_u32_e32 v28, vcc, 0, v3, vcc
                                        ; implicit-def: $vgpr3_vgpr4
	s_and_saveexec_b64 s[70:71], s[0:1]
	s_xor_b64 s[0:1], exec, s[70:71]
	s_cbranch_execz .LBB149_101
; %bb.90:
	global_load_dwordx2 v[3:4], v[27:28], off
	s_or_b64 exec, exec, s[0:1]
                                        ; implicit-def: $vgpr5_vgpr6
	s_and_saveexec_b64 s[0:1], s[2:3]
	s_cbranch_execnz .LBB149_102
.LBB149_91:
	s_or_b64 exec, exec, s[0:1]
                                        ; implicit-def: $vgpr7_vgpr8
	s_and_saveexec_b64 s[0:1], s[52:53]
	s_cbranch_execz .LBB149_103
.LBB149_92:
	global_load_dwordx2 v[7:8], v[27:28], off offset:1024
	s_or_b64 exec, exec, s[0:1]
                                        ; implicit-def: $vgpr9_vgpr10
	s_and_saveexec_b64 s[0:1], s[8:9]
	s_cbranch_execnz .LBB149_104
.LBB149_93:
	s_or_b64 exec, exec, s[0:1]
                                        ; implicit-def: $vgpr11_vgpr12
	s_and_saveexec_b64 s[0:1], s[10:11]
	s_cbranch_execz .LBB149_105
.LBB149_94:
	global_load_dwordx2 v[11:12], v[27:28], off offset:2048
	s_or_b64 exec, exec, s[0:1]
                                        ; implicit-def: $vgpr13_vgpr14
	s_and_saveexec_b64 s[0:1], s[12:13]
	s_cbranch_execnz .LBB149_106
.LBB149_95:
	s_or_b64 exec, exec, s[0:1]
                                        ; implicit-def: $vgpr15_vgpr16
	s_and_saveexec_b64 s[0:1], s[14:15]
	s_cbranch_execz .LBB149_107
.LBB149_96:
	global_load_dwordx2 v[15:16], v[27:28], off offset:3072
	s_or_b64 exec, exec, s[0:1]
                                        ; implicit-def: $vgpr17_vgpr18
	s_and_saveexec_b64 s[0:1], s[16:17]
	s_cbranch_execnz .LBB149_108
.LBB149_97:
	s_or_b64 exec, exec, s[0:1]
                                        ; implicit-def: $vgpr19_vgpr20
	s_and_saveexec_b64 s[0:1], s[18:19]
	s_cbranch_execz .LBB149_109
.LBB149_98:
	v_add_co_u32_e32 v19, vcc, 0x1000, v27
	v_addc_co_u32_e32 v20, vcc, 0, v28, vcc
	global_load_dwordx2 v[19:20], v[19:20], off
	s_or_b64 exec, exec, s[0:1]
                                        ; implicit-def: $vgpr21_vgpr22
	s_and_saveexec_b64 s[0:1], s[20:21]
	s_cbranch_execnz .LBB149_110
.LBB149_99:
	s_or_b64 exec, exec, s[0:1]
                                        ; implicit-def: $vgpr23_vgpr24
	s_and_saveexec_b64 s[0:1], s[22:23]
	s_cbranch_execz .LBB149_111
.LBB149_100:
	v_add_co_u32_e32 v23, vcc, 0x1000, v27
	v_addc_co_u32_e32 v24, vcc, 0, v28, vcc
	global_load_dwordx2 v[23:24], v[23:24], off offset:1024
	s_or_b64 exec, exec, s[0:1]
                                        ; implicit-def: $vgpr25_vgpr26
	s_and_saveexec_b64 s[0:1], s[24:25]
	s_cbranch_execnz .LBB149_112
	s_branch .LBB149_113
.LBB149_101:
	s_or_b64 exec, exec, s[0:1]
                                        ; implicit-def: $vgpr5_vgpr6
	s_and_saveexec_b64 s[0:1], s[2:3]
	s_cbranch_execz .LBB149_91
.LBB149_102:
	global_load_dwordx2 v[5:6], v[27:28], off offset:512
	s_or_b64 exec, exec, s[0:1]
                                        ; implicit-def: $vgpr7_vgpr8
	s_and_saveexec_b64 s[0:1], s[52:53]
	s_cbranch_execnz .LBB149_92
.LBB149_103:
	s_or_b64 exec, exec, s[0:1]
                                        ; implicit-def: $vgpr9_vgpr10
	s_and_saveexec_b64 s[0:1], s[8:9]
	s_cbranch_execz .LBB149_93
.LBB149_104:
	global_load_dwordx2 v[9:10], v[27:28], off offset:1536
	s_or_b64 exec, exec, s[0:1]
                                        ; implicit-def: $vgpr11_vgpr12
	s_and_saveexec_b64 s[0:1], s[10:11]
	s_cbranch_execnz .LBB149_94
.LBB149_105:
	s_or_b64 exec, exec, s[0:1]
                                        ; implicit-def: $vgpr13_vgpr14
	s_and_saveexec_b64 s[0:1], s[12:13]
	s_cbranch_execz .LBB149_95
.LBB149_106:
	global_load_dwordx2 v[13:14], v[27:28], off offset:2560
	s_or_b64 exec, exec, s[0:1]
                                        ; implicit-def: $vgpr15_vgpr16
	s_and_saveexec_b64 s[0:1], s[14:15]
	s_cbranch_execnz .LBB149_96
.LBB149_107:
	s_or_b64 exec, exec, s[0:1]
                                        ; implicit-def: $vgpr17_vgpr18
	s_and_saveexec_b64 s[0:1], s[16:17]
	s_cbranch_execz .LBB149_97
.LBB149_108:
	global_load_dwordx2 v[17:18], v[27:28], off offset:3584
	s_or_b64 exec, exec, s[0:1]
                                        ; implicit-def: $vgpr19_vgpr20
	s_and_saveexec_b64 s[0:1], s[18:19]
	s_cbranch_execnz .LBB149_98
.LBB149_109:
	s_or_b64 exec, exec, s[0:1]
                                        ; implicit-def: $vgpr21_vgpr22
	s_and_saveexec_b64 s[0:1], s[20:21]
	s_cbranch_execz .LBB149_99
.LBB149_110:
	v_add_co_u32_e32 v21, vcc, 0x1000, v27
	v_addc_co_u32_e32 v22, vcc, 0, v28, vcc
	global_load_dwordx2 v[21:22], v[21:22], off offset:512
	s_or_b64 exec, exec, s[0:1]
                                        ; implicit-def: $vgpr23_vgpr24
	s_and_saveexec_b64 s[0:1], s[22:23]
	s_cbranch_execnz .LBB149_100
.LBB149_111:
	s_or_b64 exec, exec, s[0:1]
                                        ; implicit-def: $vgpr25_vgpr26
	s_and_saveexec_b64 s[0:1], s[24:25]
	s_cbranch_execz .LBB149_113
.LBB149_112:
	v_add_co_u32_e32 v25, vcc, 0x1000, v27
	v_addc_co_u32_e32 v26, vcc, 0, v28, vcc
	global_load_dwordx2 v[25:26], v[25:26], off offset:1536
.LBB149_113:
	s_or_b64 exec, exec, s[0:1]
	v_mov_b32_e32 v27, 0
	v_mov_b32_e32 v58, 0
	s_and_saveexec_b64 s[0:1], s[26:27]
	s_cbranch_execz .LBB149_115
; %bb.114:
	ds_read_b64 v[32:33], v34 offset:2048
	s_mov_b32 s2, 0
	s_brev_b32 s3, 1
	v_bfrev_b32_e32 v28, -2
	s_waitcnt lgkmcnt(0)
	v_cmp_ne_u64_e32 vcc, s[2:3], v[32:33]
	v_cndmask_b32_e32 v33, v28, v33, vcc
	v_cndmask_b32_e32 v32, -1, v32, vcc
	v_lshrrev_b64 v[32:33], s68, v[32:33]
	v_and_b32_e32 v58, s73, v32
.LBB149_115:
	s_or_b64 exec, exec, s[0:1]
	s_and_saveexec_b64 s[0:1], s[28:29]
	s_cbranch_execz .LBB149_117
; %bb.116:
	ds_read_b64 v[27:28], v34 offset:4096
	s_mov_b32 s2, 0
	s_brev_b32 s3, 1
	v_bfrev_b32_e32 v32, -2
	s_waitcnt lgkmcnt(0)
	v_cmp_ne_u64_e32 vcc, s[2:3], v[27:28]
	v_cndmask_b32_e32 v28, v32, v28, vcc
	v_cndmask_b32_e32 v27, -1, v27, vcc
	v_lshrrev_b64 v[27:28], s68, v[27:28]
	v_and_b32_e32 v27, s73, v27
.LBB149_117:
	s_or_b64 exec, exec, s[0:1]
	v_mov_b32_e32 v28, 0
	v_mov_b32_e32 v60, 0
	s_and_saveexec_b64 s[0:1], s[30:31]
	s_cbranch_execz .LBB149_119
; %bb.118:
	ds_read_b64 v[32:33], v34 offset:6144
	s_mov_b32 s2, 0
	s_brev_b32 s3, 1
	v_bfrev_b32_e32 v57, -2
	s_waitcnt lgkmcnt(0)
	v_cmp_ne_u64_e32 vcc, s[2:3], v[32:33]
	v_cndmask_b32_e32 v33, v57, v33, vcc
	v_cndmask_b32_e32 v32, -1, v32, vcc
	v_lshrrev_b64 v[32:33], s68, v[32:33]
	v_and_b32_e32 v60, s73, v32
.LBB149_119:
	s_or_b64 exec, exec, s[0:1]
	s_and_saveexec_b64 s[0:1], s[34:35]
	s_cbranch_execz .LBB149_121
; %bb.120:
	ds_read_b64 v[32:33], v34 offset:8192
	s_mov_b32 s2, 0
	s_brev_b32 s3, 1
	v_bfrev_b32_e32 v28, -2
	s_waitcnt lgkmcnt(0)
	v_cmp_ne_u64_e32 vcc, s[2:3], v[32:33]
	v_cndmask_b32_e32 v33, v28, v33, vcc
	v_cndmask_b32_e32 v32, -1, v32, vcc
	v_lshrrev_b64 v[32:33], s68, v[32:33]
	v_and_b32_e32 v28, s73, v32
.LBB149_121:
	;; [unrolled: 32-line block ×6, first 2 shown]
	s_or_b64 exec, exec, s[0:1]
	s_waitcnt vmcnt(0)
	s_barrier
	ds_write_b64 v35, v[3:4] offset:2048
	ds_write_b64 v36, v[5:6] offset:2048
	;; [unrolled: 1-line block ×12, first 2 shown]
	s_waitcnt lgkmcnt(0)
	s_barrier
	s_and_saveexec_b64 s[0:1], s[26:27]
	s_cbranch_execz .LBB149_196
; %bb.138:
	v_lshlrev_b32_e32 v3, 3, v58
	ds_read_b64 v[3:4], v3
	ds_read_b64 v[5:6], v34 offset:2048
	v_mov_b32_e32 v7, s63
	s_waitcnt lgkmcnt(1)
	v_lshlrev_b64 v[3:4], 3, v[3:4]
	v_add_co_u32_e32 v3, vcc, s62, v3
	v_addc_co_u32_e32 v4, vcc, v7, v4, vcc
	v_add_co_u32_e32 v3, vcc, v3, v34
	v_addc_co_u32_e32 v4, vcc, 0, v4, vcc
	s_waitcnt lgkmcnt(0)
	global_store_dwordx2 v[3:4], v[5:6], off
	s_or_b64 exec, exec, s[0:1]
	s_and_saveexec_b64 s[0:1], s[28:29]
	s_cbranch_execnz .LBB149_197
.LBB149_139:
	s_or_b64 exec, exec, s[0:1]
	s_and_saveexec_b64 s[0:1], s[30:31]
	s_cbranch_execz .LBB149_198
.LBB149_140:
	v_lshlrev_b32_e32 v3, 3, v60
	ds_read_b64 v[3:4], v3
	ds_read_b64 v[5:6], v34 offset:6144
	v_mov_b32_e32 v7, s63
	s_waitcnt lgkmcnt(1)
	v_lshlrev_b64 v[3:4], 3, v[3:4]
	v_add_co_u32_e32 v3, vcc, s62, v3
	v_addc_co_u32_e32 v4, vcc, v7, v4, vcc
	v_lshlrev_b32_e32 v7, 3, v47
	v_add_co_u32_e32 v3, vcc, v3, v7
	v_addc_co_u32_e32 v4, vcc, 0, v4, vcc
	s_waitcnt lgkmcnt(0)
	global_store_dwordx2 v[3:4], v[5:6], off
	s_or_b64 exec, exec, s[0:1]
	s_and_saveexec_b64 s[0:1], s[34:35]
	s_cbranch_execnz .LBB149_199
.LBB149_141:
	s_or_b64 exec, exec, s[0:1]
	s_and_saveexec_b64 s[0:1], s[36:37]
	s_cbranch_execz .LBB149_200
.LBB149_142:
	v_lshlrev_b32_e32 v3, 3, v61
	ds_read_b64 v[3:4], v3
	ds_read_b64 v[5:6], v34 offset:10240
	v_mov_b32_e32 v7, s63
	s_waitcnt lgkmcnt(1)
	v_lshlrev_b64 v[3:4], 3, v[3:4]
	v_add_co_u32_e32 v3, vcc, s62, v3
	v_addc_co_u32_e32 v4, vcc, v7, v4, vcc
	v_lshlrev_b32_e32 v7, 3, v49
	v_add_co_u32_e32 v3, vcc, v3, v7
	v_addc_co_u32_e32 v4, vcc, 0, v4, vcc
	s_waitcnt lgkmcnt(0)
	global_store_dwordx2 v[3:4], v[5:6], off
	s_or_b64 exec, exec, s[0:1]
	s_and_saveexec_b64 s[0:1], s[38:39]
	s_cbranch_execnz .LBB149_201
.LBB149_143:
	s_or_b64 exec, exec, s[0:1]
	s_and_saveexec_b64 s[0:1], s[40:41]
	s_cbranch_execz .LBB149_202
.LBB149_144:
	v_lshlrev_b32_e32 v3, 3, v62
	ds_read_b64 v[3:4], v3
	ds_read_b64 v[5:6], v34 offset:14336
	v_mov_b32_e32 v7, s63
	s_waitcnt lgkmcnt(1)
	v_lshlrev_b64 v[3:4], 3, v[3:4]
	v_add_co_u32_e32 v3, vcc, s62, v3
	v_addc_co_u32_e32 v4, vcc, v7, v4, vcc
	v_lshlrev_b32_e32 v7, 3, v51
	v_add_co_u32_e32 v3, vcc, v3, v7
	v_addc_co_u32_e32 v4, vcc, 0, v4, vcc
	s_waitcnt lgkmcnt(0)
	global_store_dwordx2 v[3:4], v[5:6], off
	s_or_b64 exec, exec, s[0:1]
	s_and_saveexec_b64 s[0:1], s[42:43]
	s_cbranch_execnz .LBB149_203
.LBB149_145:
	s_or_b64 exec, exec, s[0:1]
	s_and_saveexec_b64 s[0:1], s[44:45]
	s_cbranch_execz .LBB149_204
.LBB149_146:
	v_lshlrev_b32_e32 v3, 3, v63
	ds_read_b64 v[3:4], v3
	ds_read_b64 v[5:6], v34 offset:18432
	v_mov_b32_e32 v7, s63
	s_waitcnt lgkmcnt(1)
	v_lshlrev_b64 v[3:4], 3, v[3:4]
	v_add_co_u32_e32 v3, vcc, s62, v3
	v_addc_co_u32_e32 v4, vcc, v7, v4, vcc
	v_lshlrev_b32_e32 v7, 3, v53
	v_add_co_u32_e32 v3, vcc, v3, v7
	v_addc_co_u32_e32 v4, vcc, 0, v4, vcc
	s_waitcnt lgkmcnt(0)
	global_store_dwordx2 v[3:4], v[5:6], off
	s_or_b64 exec, exec, s[0:1]
	s_and_saveexec_b64 s[0:1], s[46:47]
	s_cbranch_execnz .LBB149_205
.LBB149_147:
	s_or_b64 exec, exec, s[0:1]
	s_and_saveexec_b64 s[0:1], s[48:49]
	s_cbranch_execz .LBB149_206
.LBB149_148:
	v_lshlrev_b32_e32 v3, 3, v64
	ds_read_b64 v[3:4], v3
	ds_read_b64 v[5:6], v34 offset:22528
	v_mov_b32_e32 v7, s63
	s_waitcnt lgkmcnt(1)
	v_lshlrev_b64 v[3:4], 3, v[3:4]
	v_add_co_u32_e32 v3, vcc, s62, v3
	v_addc_co_u32_e32 v4, vcc, v7, v4, vcc
	v_lshlrev_b32_e32 v7, 3, v55
	v_add_co_u32_e32 v3, vcc, v3, v7
	v_addc_co_u32_e32 v4, vcc, 0, v4, vcc
	s_waitcnt lgkmcnt(0)
	global_store_dwordx2 v[3:4], v[5:6], off
	s_or_b64 exec, exec, s[0:1]
	s_and_saveexec_b64 s[0:1], s[50:51]
	s_cbranch_execnz .LBB149_207
.LBB149_149:
	s_or_b64 exec, exec, s[0:1]
	s_add_i32 s33, s33, -1
	s_cmp_eq_u32 s6, s33
	s_cbranch_scc0 .LBB149_151
.LBB149_150:
	ds_read_b64 v[3:4], v34
	v_add_co_u32_e32 v5, vcc, v30, v29
	v_addc_co_u32_e64 v6, s[0:1], 0, 0, vcc
	s_waitcnt lgkmcnt(0)
	v_add_co_u32_e32 v3, vcc, v5, v3
	v_addc_co_u32_e32 v4, vcc, v6, v4, vcc
	global_store_dwordx2 v34, v[3:4], s[66:67]
.LBB149_151:
	s_mov_b64 s[0:1], 0
.LBB149_152:
	s_and_b64 vcc, exec, s[0:1]
	s_cbranch_vccz .LBB149_195
; %bb.153:
	s_mov_b32 s73, 0
	s_lshl_b64 s[10:11], s[72:73], 3
	v_mbcnt_hi_u32_b32 v31, -1, v31
	s_add_u32 s0, s56, s10
	v_lshlrev_b32_e32 v29, 3, v31
	s_addc_u32 s1, s57, s11
	v_and_b32_e32 v33, 0xc0, v0
	v_add_co_u32_e32 v6, vcc, s0, v29
	s_load_dword s14, s[4:5], 0x50
	s_load_dword s0, s[4:5], 0x5c
	v_mul_u32_u24_e32 v3, 12, v33
	v_mov_b32_e32 v4, s1
	v_addc_co_u32_e32 v4, vcc, 0, v4, vcc
	v_lshlrev_b32_e32 v30, 3, v3
	v_add_co_u32_e32 v6, vcc, v6, v30
	v_addc_co_u32_e32 v7, vcc, 0, v4, vcc
	s_add_u32 s1, s4, 0x50
	global_load_dwordx2 v[27:28], v[6:7], off
	s_addc_u32 s2, s5, 0
	s_waitcnt lgkmcnt(0)
	s_lshr_b32 s4, s0, 16
	s_cmp_lt_u32 s6, s14
	s_cselect_b32 s0, 12, 18
	s_add_u32 s0, s1, s0
	v_mov_b32_e32 v5, 0
	s_addc_u32 s1, s2, 0
	global_load_ushort v34, v5, s[0:1]
	v_mul_u32_u24_e32 v32, 20, v0
	ds_write2_b32 v32, v5, v5 offset0:4 offset1:5
	ds_write2_b32 v32, v5, v5 offset0:6 offset1:7
	ds_write_b32 v32, v5 offset:32
	s_movk_i32 s0, 0x1000
	global_load_dwordx2 v[3:4], v[6:7], off offset:512
	global_load_dwordx2 v[25:26], v[6:7], off offset:1024
	;; [unrolled: 1-line block ×7, first 2 shown]
	v_mad_u32_u24 v35, v2, s4, v1
	v_add_co_u32_e32 v1, vcc, s0, v6
	v_addc_co_u32_e32 v2, vcc, 0, v7, vcc
	global_load_dwordx2 v[19:20], v[1:2], off
	global_load_dwordx2 v[15:16], v[1:2], off offset:512
	global_load_dwordx2 v[11:12], v[1:2], off offset:1024
	;; [unrolled: 1-line block ×3, first 2 shown]
	v_bfrev_b32_e32 v36, -2
	s_brev_b32 s3, 1
	s_mov_b32 s2, s73
	s_lshl_b32 s0, -1, s69
	s_not_b32 s15, s0
	s_waitcnt vmcnt(0) lgkmcnt(0)
	s_barrier
	; wave barrier
	v_cmp_gt_i64_e32 vcc, 0, v[27:28]
	v_ashrrev_i32_e32 v2, 31, v28
	v_cndmask_b32_e64 v1, v36, 0, vcc
	v_not_b32_e32 v6, v2
	v_xor_b32_e32 v2, v1, v28
	v_xor_b32_e32 v1, v6, v27
	v_cmp_ne_u64_e32 vcc, s[2:3], v[1:2]
	v_mad_u64_u32 v[27:28], s[0:1], v35, v34, v[0:1]
	v_cndmask_b32_e32 v35, v36, v2, vcc
	v_cndmask_b32_e32 v34, -1, v1, vcc
	v_lshrrev_b64 v[34:35], s68, v[34:35]
	v_lshrrev_b32_e32 v39, 6, v27
	v_and_b32_e32 v27, s15, v34
	v_and_b32_e32 v34, 1, v27
	v_add_co_u32_e32 v35, vcc, -1, v34
	v_mul_lo_u32 v28, v27, 20
	v_lshlrev_b32_e32 v6, 30, v27
	v_addc_co_u32_e64 v37, s[0:1], 0, -1, vcc
	v_cmp_ne_u32_e32 vcc, 0, v34
	v_cmp_gt_i64_e64 s[0:1], 0, v[5:6]
	v_not_b32_e32 v34, v6
	v_lshlrev_b32_e32 v6, 29, v27
	v_xor_b32_e32 v37, vcc_hi, v37
	v_xor_b32_e32 v35, vcc_lo, v35
	v_ashrrev_i32_e32 v34, 31, v34
	v_cmp_gt_i64_e32 vcc, 0, v[5:6]
	v_not_b32_e32 v38, v6
	v_lshlrev_b32_e32 v6, 28, v27
	v_and_b32_e32 v37, exec_hi, v37
	v_xor_b32_e32 v40, s1, v34
	v_ashrrev_i32_e32 v38, 31, v38
	v_and_b32_e32 v35, exec_lo, v35
	v_xor_b32_e32 v41, s0, v34
	v_lshl_add_u32 v34, v39, 2, v28
	v_and_b32_e32 v28, v37, v40
	v_xor_b32_e32 v37, vcc_hi, v38
	v_xor_b32_e32 v38, vcc_lo, v38
	v_cmp_gt_i64_e32 vcc, 0, v[5:6]
	v_not_b32_e32 v6, v6
	v_and_b32_e32 v35, v35, v41
	v_ashrrev_i32_e32 v6, 31, v6
	v_and_b32_e32 v28, v28, v37
	v_and_b32_e32 v35, v35, v38
	v_xor_b32_e32 v37, vcc_hi, v6
	v_xor_b32_e32 v6, vcc_lo, v6
	v_and_b32_e32 v35, v35, v6
	v_lshlrev_b32_e32 v6, 27, v27
	v_cmp_gt_i64_e32 vcc, 0, v[5:6]
	v_not_b32_e32 v6, v6
	v_ashrrev_i32_e32 v6, 31, v6
	v_and_b32_e32 v28, v28, v37
	v_xor_b32_e32 v37, vcc_hi, v6
	v_xor_b32_e32 v6, vcc_lo, v6
	v_and_b32_e32 v35, v35, v6
	v_lshlrev_b32_e32 v6, 26, v27
	v_cmp_gt_i64_e32 vcc, 0, v[5:6]
	v_not_b32_e32 v6, v6
	v_ashrrev_i32_e32 v6, 31, v6
	;; [unrolled: 8-line block ×4, first 2 shown]
	v_and_b32_e32 v28, v28, v37
	v_xor_b32_e32 v27, vcc_hi, v6
	v_xor_b32_e32 v6, vcc_lo, v6
	v_and_b32_e32 v28, v28, v27
	v_and_b32_e32 v27, v35, v6
	v_mbcnt_lo_u32_b32 v6, v27, 0
	v_mbcnt_hi_u32_b32 v35, v28, v6
	v_cmp_ne_u64_e32 vcc, 0, v[27:28]
	v_cmp_eq_u32_e64 s[0:1], 0, v35
	s_and_b64 s[4:5], vcc, s[0:1]
	s_and_saveexec_b64 s[0:1], s[4:5]
; %bb.154:
	v_bcnt_u32_b32 v6, v27, 0
	v_bcnt_u32_b32 v6, v28, v6
	ds_write_b32 v34, v6 offset:16
; %bb.155:
	s_or_b64 exec, exec, s[0:1]
	v_cmp_gt_i64_e32 vcc, 0, v[3:4]
	v_ashrrev_i32_e32 v27, 31, v4
	v_cndmask_b32_e64 v6, v36, 0, vcc
	v_not_b32_e32 v27, v27
	v_xor_b32_e32 v4, v6, v4
	v_xor_b32_e32 v3, v27, v3
	v_cmp_ne_u64_e32 vcc, s[2:3], v[3:4]
	v_cndmask_b32_e32 v28, v36, v4, vcc
	v_cndmask_b32_e32 v27, -1, v3, vcc
	v_lshrrev_b64 v[27:28], s68, v[27:28]
	; wave barrier
	v_and_b32_e32 v27, s15, v27
	v_mul_lo_u32 v6, v27, 20
	v_lshl_add_u32 v37, v39, 2, v6
	v_and_b32_e32 v6, 1, v27
	v_add_co_u32_e32 v28, vcc, -1, v6
	v_addc_co_u32_e64 v38, s[0:1], 0, -1, vcc
	v_cmp_ne_u32_e32 vcc, 0, v6
	v_xor_b32_e32 v6, vcc_hi, v38
	v_and_b32_e32 v38, exec_hi, v6
	v_lshlrev_b32_e32 v6, 30, v27
	v_xor_b32_e32 v28, vcc_lo, v28
	v_cmp_gt_i64_e32 vcc, 0, v[5:6]
	v_not_b32_e32 v6, v6
	v_ashrrev_i32_e32 v6, 31, v6
	v_and_b32_e32 v28, exec_lo, v28
	v_xor_b32_e32 v40, vcc_hi, v6
	v_xor_b32_e32 v6, vcc_lo, v6
	v_and_b32_e32 v28, v28, v6
	v_lshlrev_b32_e32 v6, 29, v27
	v_cmp_gt_i64_e32 vcc, 0, v[5:6]
	v_not_b32_e32 v6, v6
	v_ashrrev_i32_e32 v6, 31, v6
	v_and_b32_e32 v38, v38, v40
	v_xor_b32_e32 v40, vcc_hi, v6
	v_xor_b32_e32 v6, vcc_lo, v6
	v_and_b32_e32 v28, v28, v6
	v_lshlrev_b32_e32 v6, 28, v27
	v_cmp_gt_i64_e32 vcc, 0, v[5:6]
	v_not_b32_e32 v6, v6
	v_ashrrev_i32_e32 v6, 31, v6
	v_and_b32_e32 v38, v38, v40
	;; [unrolled: 8-line block ×5, first 2 shown]
	v_xor_b32_e32 v40, vcc_hi, v6
	v_xor_b32_e32 v6, vcc_lo, v6
	v_and_b32_e32 v28, v28, v6
	v_lshlrev_b32_e32 v6, 24, v27
	v_cmp_gt_i64_e32 vcc, 0, v[5:6]
	v_not_b32_e32 v5, v6
	v_ashrrev_i32_e32 v5, 31, v5
	v_xor_b32_e32 v6, vcc_hi, v5
	v_xor_b32_e32 v5, vcc_lo, v5
	ds_read_b32 v36, v37 offset:16
	v_and_b32_e32 v38, v38, v40
	v_and_b32_e32 v5, v28, v5
	;; [unrolled: 1-line block ×3, first 2 shown]
	v_mbcnt_lo_u32_b32 v27, v5, 0
	v_mbcnt_hi_u32_b32 v38, v6, v27
	v_cmp_ne_u64_e32 vcc, 0, v[5:6]
	v_cmp_eq_u32_e64 s[0:1], 0, v38
	s_and_b64 s[2:3], vcc, s[0:1]
	; wave barrier
	s_and_saveexec_b64 s[0:1], s[2:3]
	s_cbranch_execz .LBB149_157
; %bb.156:
	v_bcnt_u32_b32 v5, v5, 0
	v_bcnt_u32_b32 v5, v6, v5
	s_waitcnt lgkmcnt(0)
	v_add_u32_e32 v5, v36, v5
	ds_write_b32 v37, v5 offset:16
.LBB149_157:
	s_or_b64 exec, exec, s[0:1]
	v_cmp_gt_i64_e32 vcc, 0, v[25:26]
	v_bfrev_b32_e32 v28, -2
	v_ashrrev_i32_e32 v6, 31, v26
	s_mov_b32 s2, 0
	v_cndmask_b32_e64 v5, v28, 0, vcc
	v_not_b32_e32 v27, v6
	s_brev_b32 s3, 1
	v_xor_b32_e32 v6, v5, v26
	v_xor_b32_e32 v5, v27, v25
	v_cmp_ne_u64_e32 vcc, s[2:3], v[5:6]
	v_cndmask_b32_e32 v26, v28, v6, vcc
	v_cndmask_b32_e32 v25, -1, v5, vcc
	v_lshrrev_b64 v[25:26], s68, v[25:26]
	; wave barrier
	v_and_b32_e32 v27, s15, v25
	v_mul_lo_u32 v25, v27, 20
	v_and_b32_e32 v26, 1, v27
	v_add_co_u32_e32 v42, vcc, -1, v26
	v_addc_co_u32_e64 v43, s[0:1], 0, -1, vcc
	v_cmp_ne_u32_e32 vcc, 0, v26
	v_xor_b32_e32 v26, vcc_hi, v43
	v_lshl_add_u32 v41, v39, 2, v25
	v_mov_b32_e32 v25, 0
	v_and_b32_e32 v43, exec_hi, v26
	v_lshlrev_b32_e32 v26, 30, v27
	v_xor_b32_e32 v42, vcc_lo, v42
	v_cmp_gt_i64_e32 vcc, 0, v[25:26]
	v_not_b32_e32 v26, v26
	v_ashrrev_i32_e32 v26, 31, v26
	v_and_b32_e32 v42, exec_lo, v42
	v_xor_b32_e32 v44, vcc_hi, v26
	v_xor_b32_e32 v26, vcc_lo, v26
	v_and_b32_e32 v42, v42, v26
	v_lshlrev_b32_e32 v26, 29, v27
	v_cmp_gt_i64_e32 vcc, 0, v[25:26]
	v_not_b32_e32 v26, v26
	v_ashrrev_i32_e32 v26, 31, v26
	v_and_b32_e32 v43, v43, v44
	v_xor_b32_e32 v44, vcc_hi, v26
	v_xor_b32_e32 v26, vcc_lo, v26
	v_and_b32_e32 v42, v42, v26
	v_lshlrev_b32_e32 v26, 28, v27
	v_cmp_gt_i64_e32 vcc, 0, v[25:26]
	v_not_b32_e32 v26, v26
	v_ashrrev_i32_e32 v26, 31, v26
	v_and_b32_e32 v43, v43, v44
	;; [unrolled: 8-line block ×5, first 2 shown]
	v_xor_b32_e32 v44, vcc_hi, v26
	v_xor_b32_e32 v26, vcc_lo, v26
	v_and_b32_e32 v42, v42, v26
	v_lshlrev_b32_e32 v26, 24, v27
	v_cmp_gt_i64_e32 vcc, 0, v[25:26]
	v_not_b32_e32 v26, v26
	v_ashrrev_i32_e32 v26, 31, v26
	v_xor_b32_e32 v27, vcc_hi, v26
	v_xor_b32_e32 v26, vcc_lo, v26
	ds_read_b32 v40, v41 offset:16
	v_and_b32_e32 v43, v43, v44
	v_and_b32_e32 v26, v42, v26
	;; [unrolled: 1-line block ×3, first 2 shown]
	v_mbcnt_lo_u32_b32 v42, v26, 0
	v_mbcnt_hi_u32_b32 v42, v27, v42
	v_cmp_ne_u64_e32 vcc, 0, v[26:27]
	v_cmp_eq_u32_e64 s[0:1], 0, v42
	s_and_b64 s[4:5], vcc, s[0:1]
	; wave barrier
	s_and_saveexec_b64 s[0:1], s[4:5]
	s_cbranch_execz .LBB149_159
; %bb.158:
	v_bcnt_u32_b32 v26, v26, 0
	v_bcnt_u32_b32 v26, v27, v26
	s_waitcnt lgkmcnt(0)
	v_add_u32_e32 v26, v40, v26
	ds_write_b32 v41, v26 offset:16
.LBB149_159:
	s_or_b64 exec, exec, s[0:1]
	v_cmp_gt_i64_e32 vcc, 0, v[9:10]
	v_ashrrev_i32_e32 v27, 31, v10
	v_cndmask_b32_e64 v26, v28, 0, vcc
	v_not_b32_e32 v27, v27
	v_xor_b32_e32 v10, v26, v10
	v_xor_b32_e32 v9, v27, v9
	v_cmp_ne_u64_e32 vcc, s[2:3], v[9:10]
	v_cndmask_b32_e32 v27, v28, v10, vcc
	v_cndmask_b32_e32 v26, -1, v9, vcc
	v_lshrrev_b64 v[26:27], s68, v[26:27]
	; wave barrier
	v_and_b32_e32 v27, s15, v26
	v_mul_lo_u32 v26, v27, 20
	v_lshl_add_u32 v44, v39, 2, v26
	v_and_b32_e32 v26, 1, v27
	v_add_co_u32_e32 v28, vcc, -1, v26
	v_addc_co_u32_e64 v45, s[0:1], 0, -1, vcc
	v_cmp_ne_u32_e32 vcc, 0, v26
	v_xor_b32_e32 v26, vcc_hi, v45
	v_and_b32_e32 v45, exec_hi, v26
	v_lshlrev_b32_e32 v26, 30, v27
	v_xor_b32_e32 v28, vcc_lo, v28
	v_cmp_gt_i64_e32 vcc, 0, v[25:26]
	v_not_b32_e32 v26, v26
	v_ashrrev_i32_e32 v26, 31, v26
	v_and_b32_e32 v28, exec_lo, v28
	v_xor_b32_e32 v46, vcc_hi, v26
	v_xor_b32_e32 v26, vcc_lo, v26
	v_and_b32_e32 v28, v28, v26
	v_lshlrev_b32_e32 v26, 29, v27
	v_cmp_gt_i64_e32 vcc, 0, v[25:26]
	v_not_b32_e32 v26, v26
	v_ashrrev_i32_e32 v26, 31, v26
	v_and_b32_e32 v45, v45, v46
	v_xor_b32_e32 v46, vcc_hi, v26
	v_xor_b32_e32 v26, vcc_lo, v26
	v_and_b32_e32 v28, v28, v26
	v_lshlrev_b32_e32 v26, 28, v27
	v_cmp_gt_i64_e32 vcc, 0, v[25:26]
	v_not_b32_e32 v26, v26
	v_ashrrev_i32_e32 v26, 31, v26
	v_and_b32_e32 v45, v45, v46
	;; [unrolled: 8-line block ×5, first 2 shown]
	v_xor_b32_e32 v46, vcc_hi, v26
	v_xor_b32_e32 v26, vcc_lo, v26
	v_and_b32_e32 v28, v28, v26
	v_lshlrev_b32_e32 v26, 24, v27
	v_cmp_gt_i64_e32 vcc, 0, v[25:26]
	v_not_b32_e32 v25, v26
	v_ashrrev_i32_e32 v25, 31, v25
	v_xor_b32_e32 v26, vcc_hi, v25
	v_xor_b32_e32 v25, vcc_lo, v25
	ds_read_b32 v43, v44 offset:16
	v_and_b32_e32 v45, v45, v46
	v_and_b32_e32 v25, v28, v25
	;; [unrolled: 1-line block ×3, first 2 shown]
	v_mbcnt_lo_u32_b32 v27, v25, 0
	v_mbcnt_hi_u32_b32 v45, v26, v27
	v_cmp_ne_u64_e32 vcc, 0, v[25:26]
	v_cmp_eq_u32_e64 s[0:1], 0, v45
	s_and_b64 s[2:3], vcc, s[0:1]
	; wave barrier
	s_and_saveexec_b64 s[0:1], s[2:3]
	s_cbranch_execz .LBB149_161
; %bb.160:
	v_bcnt_u32_b32 v25, v25, 0
	v_bcnt_u32_b32 v25, v26, v25
	s_waitcnt lgkmcnt(0)
	v_add_u32_e32 v25, v43, v25
	ds_write_b32 v44, v25 offset:16
.LBB149_161:
	s_or_b64 exec, exec, s[0:1]
	v_cmp_gt_i64_e32 vcc, 0, v[13:14]
	v_bfrev_b32_e32 v28, -2
	v_ashrrev_i32_e32 v26, 31, v14
	s_mov_b32 s2, 0
	v_cndmask_b32_e64 v25, v28, 0, vcc
	v_not_b32_e32 v26, v26
	s_brev_b32 s3, 1
	v_xor_b32_e32 v14, v25, v14
	v_xor_b32_e32 v13, v26, v13
	v_cmp_ne_u64_e32 vcc, s[2:3], v[13:14]
	v_cndmask_b32_e32 v26, v28, v14, vcc
	v_cndmask_b32_e32 v25, -1, v13, vcc
	v_lshrrev_b64 v[25:26], s68, v[25:26]
	; wave barrier
	v_and_b32_e32 v27, s15, v25
	v_mul_lo_u32 v25, v27, 20
	v_and_b32_e32 v26, 1, v27
	v_add_co_u32_e32 v48, vcc, -1, v26
	v_addc_co_u32_e64 v49, s[0:1], 0, -1, vcc
	v_cmp_ne_u32_e32 vcc, 0, v26
	v_xor_b32_e32 v26, vcc_hi, v49
	v_lshl_add_u32 v47, v39, 2, v25
	v_mov_b32_e32 v25, 0
	v_and_b32_e32 v49, exec_hi, v26
	v_lshlrev_b32_e32 v26, 30, v27
	v_xor_b32_e32 v48, vcc_lo, v48
	v_cmp_gt_i64_e32 vcc, 0, v[25:26]
	v_not_b32_e32 v26, v26
	v_ashrrev_i32_e32 v26, 31, v26
	v_and_b32_e32 v48, exec_lo, v48
	v_xor_b32_e32 v50, vcc_hi, v26
	v_xor_b32_e32 v26, vcc_lo, v26
	v_and_b32_e32 v48, v48, v26
	v_lshlrev_b32_e32 v26, 29, v27
	v_cmp_gt_i64_e32 vcc, 0, v[25:26]
	v_not_b32_e32 v26, v26
	v_ashrrev_i32_e32 v26, 31, v26
	v_and_b32_e32 v49, v49, v50
	v_xor_b32_e32 v50, vcc_hi, v26
	v_xor_b32_e32 v26, vcc_lo, v26
	v_and_b32_e32 v48, v48, v26
	v_lshlrev_b32_e32 v26, 28, v27
	v_cmp_gt_i64_e32 vcc, 0, v[25:26]
	v_not_b32_e32 v26, v26
	v_ashrrev_i32_e32 v26, 31, v26
	v_and_b32_e32 v49, v49, v50
	;; [unrolled: 8-line block ×5, first 2 shown]
	v_xor_b32_e32 v50, vcc_hi, v26
	v_xor_b32_e32 v26, vcc_lo, v26
	v_and_b32_e32 v48, v48, v26
	v_lshlrev_b32_e32 v26, 24, v27
	v_cmp_gt_i64_e32 vcc, 0, v[25:26]
	v_not_b32_e32 v26, v26
	v_ashrrev_i32_e32 v26, 31, v26
	v_xor_b32_e32 v27, vcc_hi, v26
	v_xor_b32_e32 v26, vcc_lo, v26
	ds_read_b32 v46, v47 offset:16
	v_and_b32_e32 v49, v49, v50
	v_and_b32_e32 v26, v48, v26
	;; [unrolled: 1-line block ×3, first 2 shown]
	v_mbcnt_lo_u32_b32 v48, v26, 0
	v_mbcnt_hi_u32_b32 v48, v27, v48
	v_cmp_ne_u64_e32 vcc, 0, v[26:27]
	v_cmp_eq_u32_e64 s[0:1], 0, v48
	s_and_b64 s[4:5], vcc, s[0:1]
	; wave barrier
	s_and_saveexec_b64 s[0:1], s[4:5]
	s_cbranch_execz .LBB149_163
; %bb.162:
	v_bcnt_u32_b32 v26, v26, 0
	v_bcnt_u32_b32 v26, v27, v26
	s_waitcnt lgkmcnt(0)
	v_add_u32_e32 v26, v46, v26
	ds_write_b32 v47, v26 offset:16
.LBB149_163:
	s_or_b64 exec, exec, s[0:1]
	v_cmp_gt_i64_e32 vcc, 0, v[17:18]
	v_ashrrev_i32_e32 v27, 31, v18
	v_cndmask_b32_e64 v26, v28, 0, vcc
	v_not_b32_e32 v27, v27
	v_xor_b32_e32 v18, v26, v18
	v_xor_b32_e32 v17, v27, v17
	v_cmp_ne_u64_e32 vcc, s[2:3], v[17:18]
	v_cndmask_b32_e32 v27, v28, v18, vcc
	v_cndmask_b32_e32 v26, -1, v17, vcc
	v_lshrrev_b64 v[26:27], s68, v[26:27]
	; wave barrier
	v_and_b32_e32 v27, s15, v26
	v_mul_lo_u32 v26, v27, 20
	v_lshl_add_u32 v50, v39, 2, v26
	v_and_b32_e32 v26, 1, v27
	v_add_co_u32_e32 v28, vcc, -1, v26
	v_addc_co_u32_e64 v51, s[0:1], 0, -1, vcc
	v_cmp_ne_u32_e32 vcc, 0, v26
	v_xor_b32_e32 v26, vcc_hi, v51
	v_and_b32_e32 v51, exec_hi, v26
	v_lshlrev_b32_e32 v26, 30, v27
	v_xor_b32_e32 v28, vcc_lo, v28
	v_cmp_gt_i64_e32 vcc, 0, v[25:26]
	v_not_b32_e32 v26, v26
	v_ashrrev_i32_e32 v26, 31, v26
	v_and_b32_e32 v28, exec_lo, v28
	v_xor_b32_e32 v52, vcc_hi, v26
	v_xor_b32_e32 v26, vcc_lo, v26
	v_and_b32_e32 v28, v28, v26
	v_lshlrev_b32_e32 v26, 29, v27
	v_cmp_gt_i64_e32 vcc, 0, v[25:26]
	v_not_b32_e32 v26, v26
	v_ashrrev_i32_e32 v26, 31, v26
	v_and_b32_e32 v51, v51, v52
	v_xor_b32_e32 v52, vcc_hi, v26
	v_xor_b32_e32 v26, vcc_lo, v26
	v_and_b32_e32 v28, v28, v26
	v_lshlrev_b32_e32 v26, 28, v27
	v_cmp_gt_i64_e32 vcc, 0, v[25:26]
	v_not_b32_e32 v26, v26
	v_ashrrev_i32_e32 v26, 31, v26
	v_and_b32_e32 v51, v51, v52
	v_xor_b32_e32 v52, vcc_hi, v26
	v_xor_b32_e32 v26, vcc_lo, v26
	v_and_b32_e32 v28, v28, v26
	v_lshlrev_b32_e32 v26, 27, v27
	v_cmp_gt_i64_e32 vcc, 0, v[25:26]
	v_not_b32_e32 v26, v26
	v_ashrrev_i32_e32 v26, 31, v26
	v_and_b32_e32 v51, v51, v52
	v_xor_b32_e32 v52, vcc_hi, v26
	v_xor_b32_e32 v26, vcc_lo, v26
	v_and_b32_e32 v28, v28, v26
	v_lshlrev_b32_e32 v26, 26, v27
	v_cmp_gt_i64_e32 vcc, 0, v[25:26]
	v_not_b32_e32 v26, v26
	v_ashrrev_i32_e32 v26, 31, v26
	v_and_b32_e32 v51, v51, v52
	v_xor_b32_e32 v52, vcc_hi, v26
	v_xor_b32_e32 v26, vcc_lo, v26
	v_and_b32_e32 v28, v28, v26
	v_lshlrev_b32_e32 v26, 25, v27
	v_cmp_gt_i64_e32 vcc, 0, v[25:26]
	v_not_b32_e32 v26, v26
	v_ashrrev_i32_e32 v26, 31, v26
	v_and_b32_e32 v51, v51, v52
	v_xor_b32_e32 v52, vcc_hi, v26
	v_xor_b32_e32 v26, vcc_lo, v26
	v_and_b32_e32 v28, v28, v26
	v_lshlrev_b32_e32 v26, 24, v27
	v_cmp_gt_i64_e32 vcc, 0, v[25:26]
	v_not_b32_e32 v25, v26
	v_ashrrev_i32_e32 v25, 31, v25
	v_xor_b32_e32 v26, vcc_hi, v25
	v_xor_b32_e32 v25, vcc_lo, v25
	ds_read_b32 v49, v50 offset:16
	v_and_b32_e32 v51, v51, v52
	v_and_b32_e32 v25, v28, v25
	;; [unrolled: 1-line block ×3, first 2 shown]
	v_mbcnt_lo_u32_b32 v27, v25, 0
	v_mbcnt_hi_u32_b32 v51, v26, v27
	v_cmp_ne_u64_e32 vcc, 0, v[25:26]
	v_cmp_eq_u32_e64 s[0:1], 0, v51
	s_and_b64 s[2:3], vcc, s[0:1]
	; wave barrier
	s_and_saveexec_b64 s[0:1], s[2:3]
	s_cbranch_execz .LBB149_165
; %bb.164:
	v_bcnt_u32_b32 v25, v25, 0
	v_bcnt_u32_b32 v25, v26, v25
	s_waitcnt lgkmcnt(0)
	v_add_u32_e32 v25, v49, v25
	ds_write_b32 v50, v25 offset:16
.LBB149_165:
	s_or_b64 exec, exec, s[0:1]
	v_cmp_gt_i64_e32 vcc, 0, v[21:22]
	v_bfrev_b32_e32 v28, -2
	v_ashrrev_i32_e32 v26, 31, v22
	s_mov_b32 s2, 0
	v_cndmask_b32_e64 v25, v28, 0, vcc
	v_not_b32_e32 v26, v26
	s_brev_b32 s3, 1
	v_xor_b32_e32 v22, v25, v22
	v_xor_b32_e32 v21, v26, v21
	v_cmp_ne_u64_e32 vcc, s[2:3], v[21:22]
	v_cndmask_b32_e32 v26, v28, v22, vcc
	v_cndmask_b32_e32 v25, -1, v21, vcc
	v_lshrrev_b64 v[25:26], s68, v[25:26]
	; wave barrier
	v_and_b32_e32 v27, s15, v25
	v_mul_lo_u32 v25, v27, 20
	v_and_b32_e32 v26, 1, v27
	v_add_co_u32_e32 v54, vcc, -1, v26
	v_addc_co_u32_e64 v55, s[0:1], 0, -1, vcc
	v_cmp_ne_u32_e32 vcc, 0, v26
	v_xor_b32_e32 v26, vcc_hi, v55
	v_lshl_add_u32 v53, v39, 2, v25
	v_mov_b32_e32 v25, 0
	v_and_b32_e32 v55, exec_hi, v26
	v_lshlrev_b32_e32 v26, 30, v27
	v_xor_b32_e32 v54, vcc_lo, v54
	v_cmp_gt_i64_e32 vcc, 0, v[25:26]
	v_not_b32_e32 v26, v26
	v_ashrrev_i32_e32 v26, 31, v26
	v_and_b32_e32 v54, exec_lo, v54
	v_xor_b32_e32 v56, vcc_hi, v26
	v_xor_b32_e32 v26, vcc_lo, v26
	v_and_b32_e32 v54, v54, v26
	v_lshlrev_b32_e32 v26, 29, v27
	v_cmp_gt_i64_e32 vcc, 0, v[25:26]
	v_not_b32_e32 v26, v26
	v_ashrrev_i32_e32 v26, 31, v26
	v_and_b32_e32 v55, v55, v56
	v_xor_b32_e32 v56, vcc_hi, v26
	v_xor_b32_e32 v26, vcc_lo, v26
	v_and_b32_e32 v54, v54, v26
	v_lshlrev_b32_e32 v26, 28, v27
	v_cmp_gt_i64_e32 vcc, 0, v[25:26]
	v_not_b32_e32 v26, v26
	v_ashrrev_i32_e32 v26, 31, v26
	v_and_b32_e32 v55, v55, v56
	;; [unrolled: 8-line block ×5, first 2 shown]
	v_xor_b32_e32 v56, vcc_hi, v26
	v_xor_b32_e32 v26, vcc_lo, v26
	v_and_b32_e32 v54, v54, v26
	v_lshlrev_b32_e32 v26, 24, v27
	v_cmp_gt_i64_e32 vcc, 0, v[25:26]
	v_not_b32_e32 v26, v26
	v_ashrrev_i32_e32 v26, 31, v26
	v_xor_b32_e32 v27, vcc_hi, v26
	v_xor_b32_e32 v26, vcc_lo, v26
	ds_read_b32 v52, v53 offset:16
	v_and_b32_e32 v55, v55, v56
	v_and_b32_e32 v26, v54, v26
	;; [unrolled: 1-line block ×3, first 2 shown]
	v_mbcnt_lo_u32_b32 v54, v26, 0
	v_mbcnt_hi_u32_b32 v54, v27, v54
	v_cmp_ne_u64_e32 vcc, 0, v[26:27]
	v_cmp_eq_u32_e64 s[0:1], 0, v54
	s_and_b64 s[4:5], vcc, s[0:1]
	; wave barrier
	s_and_saveexec_b64 s[0:1], s[4:5]
	s_cbranch_execz .LBB149_167
; %bb.166:
	v_bcnt_u32_b32 v26, v26, 0
	v_bcnt_u32_b32 v26, v27, v26
	s_waitcnt lgkmcnt(0)
	v_add_u32_e32 v26, v52, v26
	ds_write_b32 v53, v26 offset:16
.LBB149_167:
	s_or_b64 exec, exec, s[0:1]
	v_cmp_gt_i64_e32 vcc, 0, v[23:24]
	v_ashrrev_i32_e32 v27, 31, v24
	v_cndmask_b32_e64 v26, v28, 0, vcc
	v_not_b32_e32 v27, v27
	v_xor_b32_e32 v24, v26, v24
	v_xor_b32_e32 v23, v27, v23
	v_cmp_ne_u64_e32 vcc, s[2:3], v[23:24]
	v_cndmask_b32_e32 v27, v28, v24, vcc
	v_cndmask_b32_e32 v26, -1, v23, vcc
	v_lshrrev_b64 v[26:27], s68, v[26:27]
	; wave barrier
	v_and_b32_e32 v27, s15, v26
	v_mul_lo_u32 v26, v27, 20
	v_lshl_add_u32 v56, v39, 2, v26
	v_and_b32_e32 v26, 1, v27
	v_add_co_u32_e32 v28, vcc, -1, v26
	v_addc_co_u32_e64 v57, s[0:1], 0, -1, vcc
	v_cmp_ne_u32_e32 vcc, 0, v26
	v_xor_b32_e32 v26, vcc_hi, v57
	v_and_b32_e32 v57, exec_hi, v26
	v_lshlrev_b32_e32 v26, 30, v27
	v_xor_b32_e32 v28, vcc_lo, v28
	v_cmp_gt_i64_e32 vcc, 0, v[25:26]
	v_not_b32_e32 v26, v26
	v_ashrrev_i32_e32 v26, 31, v26
	v_and_b32_e32 v28, exec_lo, v28
	v_xor_b32_e32 v58, vcc_hi, v26
	v_xor_b32_e32 v26, vcc_lo, v26
	v_and_b32_e32 v28, v28, v26
	v_lshlrev_b32_e32 v26, 29, v27
	v_cmp_gt_i64_e32 vcc, 0, v[25:26]
	v_not_b32_e32 v26, v26
	v_ashrrev_i32_e32 v26, 31, v26
	v_and_b32_e32 v57, v57, v58
	v_xor_b32_e32 v58, vcc_hi, v26
	v_xor_b32_e32 v26, vcc_lo, v26
	v_and_b32_e32 v28, v28, v26
	v_lshlrev_b32_e32 v26, 28, v27
	v_cmp_gt_i64_e32 vcc, 0, v[25:26]
	v_not_b32_e32 v26, v26
	v_ashrrev_i32_e32 v26, 31, v26
	v_and_b32_e32 v57, v57, v58
	;; [unrolled: 8-line block ×5, first 2 shown]
	v_xor_b32_e32 v58, vcc_hi, v26
	v_xor_b32_e32 v26, vcc_lo, v26
	v_and_b32_e32 v28, v28, v26
	v_lshlrev_b32_e32 v26, 24, v27
	v_cmp_gt_i64_e32 vcc, 0, v[25:26]
	v_not_b32_e32 v25, v26
	v_ashrrev_i32_e32 v25, 31, v25
	v_xor_b32_e32 v26, vcc_hi, v25
	v_xor_b32_e32 v25, vcc_lo, v25
	ds_read_b32 v55, v56 offset:16
	v_and_b32_e32 v57, v57, v58
	v_and_b32_e32 v25, v28, v25
	;; [unrolled: 1-line block ×3, first 2 shown]
	v_mbcnt_lo_u32_b32 v27, v25, 0
	v_mbcnt_hi_u32_b32 v57, v26, v27
	v_cmp_ne_u64_e32 vcc, 0, v[25:26]
	v_cmp_eq_u32_e64 s[0:1], 0, v57
	s_and_b64 s[2:3], vcc, s[0:1]
	; wave barrier
	s_and_saveexec_b64 s[0:1], s[2:3]
	s_cbranch_execz .LBB149_169
; %bb.168:
	v_bcnt_u32_b32 v25, v25, 0
	v_bcnt_u32_b32 v25, v26, v25
	s_waitcnt lgkmcnt(0)
	v_add_u32_e32 v25, v55, v25
	ds_write_b32 v56, v25 offset:16
.LBB149_169:
	s_or_b64 exec, exec, s[0:1]
	v_cmp_gt_i64_e32 vcc, 0, v[19:20]
	v_bfrev_b32_e32 v28, -2
	v_ashrrev_i32_e32 v26, 31, v20
	s_mov_b32 s2, 0
	v_cndmask_b32_e64 v25, v28, 0, vcc
	v_not_b32_e32 v26, v26
	s_brev_b32 s3, 1
	v_xor_b32_e32 v20, v25, v20
	v_xor_b32_e32 v19, v26, v19
	v_cmp_ne_u64_e32 vcc, s[2:3], v[19:20]
	v_cndmask_b32_e32 v26, v28, v20, vcc
	v_cndmask_b32_e32 v25, -1, v19, vcc
	v_lshrrev_b64 v[25:26], s68, v[25:26]
	; wave barrier
	v_and_b32_e32 v27, s15, v25
	v_mul_lo_u32 v25, v27, 20
	v_and_b32_e32 v26, 1, v27
	v_add_co_u32_e32 v60, vcc, -1, v26
	v_addc_co_u32_e64 v61, s[0:1], 0, -1, vcc
	v_cmp_ne_u32_e32 vcc, 0, v26
	v_xor_b32_e32 v26, vcc_hi, v61
	v_lshl_add_u32 v59, v39, 2, v25
	v_mov_b32_e32 v25, 0
	v_and_b32_e32 v61, exec_hi, v26
	v_lshlrev_b32_e32 v26, 30, v27
	v_xor_b32_e32 v60, vcc_lo, v60
	v_cmp_gt_i64_e32 vcc, 0, v[25:26]
	v_not_b32_e32 v26, v26
	v_ashrrev_i32_e32 v26, 31, v26
	v_and_b32_e32 v60, exec_lo, v60
	v_xor_b32_e32 v62, vcc_hi, v26
	v_xor_b32_e32 v26, vcc_lo, v26
	v_and_b32_e32 v60, v60, v26
	v_lshlrev_b32_e32 v26, 29, v27
	v_cmp_gt_i64_e32 vcc, 0, v[25:26]
	v_not_b32_e32 v26, v26
	v_ashrrev_i32_e32 v26, 31, v26
	v_and_b32_e32 v61, v61, v62
	v_xor_b32_e32 v62, vcc_hi, v26
	v_xor_b32_e32 v26, vcc_lo, v26
	v_and_b32_e32 v60, v60, v26
	v_lshlrev_b32_e32 v26, 28, v27
	v_cmp_gt_i64_e32 vcc, 0, v[25:26]
	v_not_b32_e32 v26, v26
	v_ashrrev_i32_e32 v26, 31, v26
	v_and_b32_e32 v61, v61, v62
	;; [unrolled: 8-line block ×5, first 2 shown]
	v_xor_b32_e32 v62, vcc_hi, v26
	v_xor_b32_e32 v26, vcc_lo, v26
	v_and_b32_e32 v60, v60, v26
	v_lshlrev_b32_e32 v26, 24, v27
	v_cmp_gt_i64_e32 vcc, 0, v[25:26]
	v_not_b32_e32 v26, v26
	v_ashrrev_i32_e32 v26, 31, v26
	v_xor_b32_e32 v27, vcc_hi, v26
	v_xor_b32_e32 v26, vcc_lo, v26
	ds_read_b32 v58, v59 offset:16
	v_and_b32_e32 v61, v61, v62
	v_and_b32_e32 v26, v60, v26
	;; [unrolled: 1-line block ×3, first 2 shown]
	v_mbcnt_lo_u32_b32 v60, v26, 0
	v_mbcnt_hi_u32_b32 v60, v27, v60
	v_cmp_ne_u64_e32 vcc, 0, v[26:27]
	v_cmp_eq_u32_e64 s[0:1], 0, v60
	s_and_b64 s[4:5], vcc, s[0:1]
	; wave barrier
	s_and_saveexec_b64 s[0:1], s[4:5]
	s_cbranch_execz .LBB149_171
; %bb.170:
	v_bcnt_u32_b32 v26, v26, 0
	v_bcnt_u32_b32 v26, v27, v26
	s_waitcnt lgkmcnt(0)
	v_add_u32_e32 v26, v58, v26
	ds_write_b32 v59, v26 offset:16
.LBB149_171:
	s_or_b64 exec, exec, s[0:1]
	v_cmp_gt_i64_e32 vcc, 0, v[15:16]
	v_ashrrev_i32_e32 v27, 31, v16
	v_cndmask_b32_e64 v26, v28, 0, vcc
	v_not_b32_e32 v27, v27
	v_xor_b32_e32 v16, v26, v16
	v_xor_b32_e32 v15, v27, v15
	v_cmp_ne_u64_e32 vcc, s[2:3], v[15:16]
	v_cndmask_b32_e32 v27, v28, v16, vcc
	v_cndmask_b32_e32 v26, -1, v15, vcc
	v_lshrrev_b64 v[26:27], s68, v[26:27]
	; wave barrier
	v_and_b32_e32 v27, s15, v26
	v_mul_lo_u32 v26, v27, 20
	v_lshl_add_u32 v62, v39, 2, v26
	v_and_b32_e32 v26, 1, v27
	v_add_co_u32_e32 v28, vcc, -1, v26
	v_addc_co_u32_e64 v63, s[0:1], 0, -1, vcc
	v_cmp_ne_u32_e32 vcc, 0, v26
	v_xor_b32_e32 v26, vcc_hi, v63
	v_and_b32_e32 v63, exec_hi, v26
	v_lshlrev_b32_e32 v26, 30, v27
	v_xor_b32_e32 v28, vcc_lo, v28
	v_cmp_gt_i64_e32 vcc, 0, v[25:26]
	v_not_b32_e32 v26, v26
	v_ashrrev_i32_e32 v26, 31, v26
	v_and_b32_e32 v28, exec_lo, v28
	v_xor_b32_e32 v64, vcc_hi, v26
	v_xor_b32_e32 v26, vcc_lo, v26
	v_and_b32_e32 v28, v28, v26
	v_lshlrev_b32_e32 v26, 29, v27
	v_cmp_gt_i64_e32 vcc, 0, v[25:26]
	v_not_b32_e32 v26, v26
	v_ashrrev_i32_e32 v26, 31, v26
	v_and_b32_e32 v63, v63, v64
	v_xor_b32_e32 v64, vcc_hi, v26
	v_xor_b32_e32 v26, vcc_lo, v26
	v_and_b32_e32 v28, v28, v26
	v_lshlrev_b32_e32 v26, 28, v27
	v_cmp_gt_i64_e32 vcc, 0, v[25:26]
	v_not_b32_e32 v26, v26
	v_ashrrev_i32_e32 v26, 31, v26
	v_and_b32_e32 v63, v63, v64
	;; [unrolled: 8-line block ×5, first 2 shown]
	v_xor_b32_e32 v64, vcc_hi, v26
	v_xor_b32_e32 v26, vcc_lo, v26
	v_and_b32_e32 v28, v28, v26
	v_lshlrev_b32_e32 v26, 24, v27
	v_cmp_gt_i64_e32 vcc, 0, v[25:26]
	v_not_b32_e32 v25, v26
	v_ashrrev_i32_e32 v25, 31, v25
	v_xor_b32_e32 v26, vcc_hi, v25
	v_xor_b32_e32 v25, vcc_lo, v25
	ds_read_b32 v61, v62 offset:16
	v_and_b32_e32 v63, v63, v64
	v_and_b32_e32 v25, v28, v25
	;; [unrolled: 1-line block ×3, first 2 shown]
	v_mbcnt_lo_u32_b32 v27, v25, 0
	v_mbcnt_hi_u32_b32 v63, v26, v27
	v_cmp_ne_u64_e32 vcc, 0, v[25:26]
	v_cmp_eq_u32_e64 s[0:1], 0, v63
	s_and_b64 s[2:3], vcc, s[0:1]
	; wave barrier
	s_and_saveexec_b64 s[0:1], s[2:3]
	s_cbranch_execz .LBB149_173
; %bb.172:
	v_bcnt_u32_b32 v25, v25, 0
	v_bcnt_u32_b32 v25, v26, v25
	s_waitcnt lgkmcnt(0)
	v_add_u32_e32 v25, v61, v25
	ds_write_b32 v62, v25 offset:16
.LBB149_173:
	s_or_b64 exec, exec, s[0:1]
	v_cmp_gt_i64_e32 vcc, 0, v[11:12]
	v_bfrev_b32_e32 v28, -2
	v_ashrrev_i32_e32 v26, 31, v12
	s_mov_b32 s2, 0
	v_cndmask_b32_e64 v25, v28, 0, vcc
	v_not_b32_e32 v26, v26
	s_brev_b32 s3, 1
	v_xor_b32_e32 v12, v25, v12
	v_xor_b32_e32 v11, v26, v11
	v_cmp_ne_u64_e32 vcc, s[2:3], v[11:12]
	v_cndmask_b32_e32 v26, v28, v12, vcc
	v_cndmask_b32_e32 v25, -1, v11, vcc
	v_lshrrev_b64 v[25:26], s68, v[25:26]
	; wave barrier
	v_and_b32_e32 v27, s15, v25
	v_mul_lo_u32 v25, v27, 20
	v_and_b32_e32 v26, 1, v27
	v_add_co_u32_e32 v66, vcc, -1, v26
	v_addc_co_u32_e64 v67, s[0:1], 0, -1, vcc
	v_cmp_ne_u32_e32 vcc, 0, v26
	v_xor_b32_e32 v26, vcc_hi, v67
	v_lshl_add_u32 v65, v39, 2, v25
	v_mov_b32_e32 v25, 0
	v_and_b32_e32 v67, exec_hi, v26
	v_lshlrev_b32_e32 v26, 30, v27
	v_xor_b32_e32 v66, vcc_lo, v66
	v_cmp_gt_i64_e32 vcc, 0, v[25:26]
	v_not_b32_e32 v26, v26
	v_ashrrev_i32_e32 v26, 31, v26
	v_and_b32_e32 v66, exec_lo, v66
	v_xor_b32_e32 v68, vcc_hi, v26
	v_xor_b32_e32 v26, vcc_lo, v26
	v_and_b32_e32 v66, v66, v26
	v_lshlrev_b32_e32 v26, 29, v27
	v_cmp_gt_i64_e32 vcc, 0, v[25:26]
	v_not_b32_e32 v26, v26
	v_ashrrev_i32_e32 v26, 31, v26
	v_and_b32_e32 v67, v67, v68
	v_xor_b32_e32 v68, vcc_hi, v26
	v_xor_b32_e32 v26, vcc_lo, v26
	v_and_b32_e32 v66, v66, v26
	v_lshlrev_b32_e32 v26, 28, v27
	v_cmp_gt_i64_e32 vcc, 0, v[25:26]
	v_not_b32_e32 v26, v26
	v_ashrrev_i32_e32 v26, 31, v26
	v_and_b32_e32 v67, v67, v68
	;; [unrolled: 8-line block ×5, first 2 shown]
	v_xor_b32_e32 v68, vcc_hi, v26
	v_xor_b32_e32 v26, vcc_lo, v26
	v_and_b32_e32 v66, v66, v26
	v_lshlrev_b32_e32 v26, 24, v27
	v_cmp_gt_i64_e32 vcc, 0, v[25:26]
	v_not_b32_e32 v26, v26
	v_ashrrev_i32_e32 v26, 31, v26
	v_xor_b32_e32 v27, vcc_hi, v26
	v_xor_b32_e32 v26, vcc_lo, v26
	ds_read_b32 v64, v65 offset:16
	v_and_b32_e32 v67, v67, v68
	v_and_b32_e32 v26, v66, v26
	;; [unrolled: 1-line block ×3, first 2 shown]
	v_mbcnt_lo_u32_b32 v66, v26, 0
	v_mbcnt_hi_u32_b32 v66, v27, v66
	v_cmp_ne_u64_e32 vcc, 0, v[26:27]
	v_cmp_eq_u32_e64 s[0:1], 0, v66
	s_and_b64 s[4:5], vcc, s[0:1]
	; wave barrier
	s_and_saveexec_b64 s[0:1], s[4:5]
	s_cbranch_execz .LBB149_175
; %bb.174:
	v_bcnt_u32_b32 v26, v26, 0
	v_bcnt_u32_b32 v26, v27, v26
	s_waitcnt lgkmcnt(0)
	v_add_u32_e32 v26, v64, v26
	ds_write_b32 v65, v26 offset:16
.LBB149_175:
	s_or_b64 exec, exec, s[0:1]
	v_cmp_gt_i64_e32 vcc, 0, v[7:8]
	v_ashrrev_i32_e32 v27, 31, v8
	v_cndmask_b32_e64 v26, v28, 0, vcc
	v_not_b32_e32 v27, v27
	v_xor_b32_e32 v8, v26, v8
	v_xor_b32_e32 v7, v27, v7
	v_cmp_ne_u64_e32 vcc, s[2:3], v[7:8]
	v_cndmask_b32_e32 v27, v28, v8, vcc
	v_cndmask_b32_e32 v26, -1, v7, vcc
	v_lshrrev_b64 v[26:27], s68, v[26:27]
	; wave barrier
	v_and_b32_e32 v27, s15, v26
	v_mul_lo_u32 v26, v27, 20
	v_lshl_add_u32 v67, v39, 2, v26
	v_and_b32_e32 v26, 1, v27
	v_add_co_u32_e32 v28, vcc, -1, v26
	v_addc_co_u32_e64 v68, s[0:1], 0, -1, vcc
	v_cmp_ne_u32_e32 vcc, 0, v26
	v_xor_b32_e32 v26, vcc_hi, v68
	v_and_b32_e32 v68, exec_hi, v26
	v_lshlrev_b32_e32 v26, 30, v27
	v_xor_b32_e32 v28, vcc_lo, v28
	v_cmp_gt_i64_e32 vcc, 0, v[25:26]
	v_not_b32_e32 v26, v26
	v_ashrrev_i32_e32 v26, 31, v26
	v_and_b32_e32 v28, exec_lo, v28
	v_xor_b32_e32 v69, vcc_hi, v26
	v_xor_b32_e32 v26, vcc_lo, v26
	v_and_b32_e32 v28, v28, v26
	v_lshlrev_b32_e32 v26, 29, v27
	v_cmp_gt_i64_e32 vcc, 0, v[25:26]
	v_not_b32_e32 v26, v26
	v_ashrrev_i32_e32 v26, 31, v26
	v_and_b32_e32 v68, v68, v69
	v_xor_b32_e32 v69, vcc_hi, v26
	v_xor_b32_e32 v26, vcc_lo, v26
	v_and_b32_e32 v28, v28, v26
	v_lshlrev_b32_e32 v26, 28, v27
	v_cmp_gt_i64_e32 vcc, 0, v[25:26]
	v_not_b32_e32 v26, v26
	v_ashrrev_i32_e32 v26, 31, v26
	v_and_b32_e32 v68, v68, v69
	;; [unrolled: 8-line block ×5, first 2 shown]
	v_xor_b32_e32 v69, vcc_hi, v26
	v_xor_b32_e32 v26, vcc_lo, v26
	v_and_b32_e32 v28, v28, v26
	v_lshlrev_b32_e32 v26, 24, v27
	v_cmp_gt_i64_e32 vcc, 0, v[25:26]
	v_not_b32_e32 v25, v26
	v_ashrrev_i32_e32 v25, 31, v25
	v_xor_b32_e32 v26, vcc_hi, v25
	v_xor_b32_e32 v25, vcc_lo, v25
	ds_read_b32 v39, v67 offset:16
	v_and_b32_e32 v68, v68, v69
	v_and_b32_e32 v25, v28, v25
	;; [unrolled: 1-line block ×3, first 2 shown]
	v_mbcnt_lo_u32_b32 v27, v25, 0
	v_mbcnt_hi_u32_b32 v68, v26, v27
	v_cmp_ne_u64_e32 vcc, 0, v[25:26]
	v_cmp_eq_u32_e64 s[0:1], 0, v68
	s_and_b64 s[2:3], vcc, s[0:1]
	; wave barrier
	s_and_saveexec_b64 s[0:1], s[2:3]
	s_cbranch_execz .LBB149_177
; %bb.176:
	v_bcnt_u32_b32 v25, v25, 0
	v_bcnt_u32_b32 v25, v26, v25
	s_waitcnt lgkmcnt(0)
	v_add_u32_e32 v25, v39, v25
	ds_write_b32 v67, v25 offset:16
.LBB149_177:
	s_or_b64 exec, exec, s[0:1]
	; wave barrier
	s_waitcnt lgkmcnt(0)
	s_barrier
	ds_read2_b32 v[27:28], v32 offset0:4 offset1:5
	ds_read2_b32 v[25:26], v32 offset0:6 offset1:7
	ds_read_b32 v69, v32 offset:32
	v_min_u32_e32 v33, 0xc0, v33
	v_or_b32_e32 v33, 63, v33
	s_waitcnt lgkmcnt(1)
	v_add3_u32 v70, v28, v27, v25
	s_waitcnt lgkmcnt(0)
	v_add3_u32 v69, v70, v26, v69
	v_and_b32_e32 v70, 15, v31
	v_cmp_ne_u32_e32 vcc, 0, v70
	v_mov_b32_dpp v71, v69 row_shr:1 row_mask:0xf bank_mask:0xf
	v_cndmask_b32_e32 v71, 0, v71, vcc
	v_add_u32_e32 v69, v71, v69
	v_cmp_lt_u32_e32 vcc, 1, v70
	s_nop 0
	v_mov_b32_dpp v71, v69 row_shr:2 row_mask:0xf bank_mask:0xf
	v_cndmask_b32_e32 v71, 0, v71, vcc
	v_add_u32_e32 v69, v69, v71
	v_cmp_lt_u32_e32 vcc, 3, v70
	s_nop 0
	;; [unrolled: 5-line block ×3, first 2 shown]
	v_mov_b32_dpp v71, v69 row_shr:8 row_mask:0xf bank_mask:0xf
	v_cndmask_b32_e32 v70, 0, v71, vcc
	v_add_u32_e32 v69, v69, v70
	v_bfe_i32 v71, v31, 4, 1
	v_cmp_lt_u32_e32 vcc, 31, v31
	v_mov_b32_dpp v70, v69 row_bcast:15 row_mask:0xf bank_mask:0xf
	v_and_b32_e32 v70, v71, v70
	v_add_u32_e32 v69, v69, v70
	s_nop 1
	v_mov_b32_dpp v70, v69 row_bcast:31 row_mask:0xf bank_mask:0xf
	v_cndmask_b32_e32 v70, 0, v70, vcc
	v_add_u32_e32 v69, v69, v70
	v_lshrrev_b32_e32 v70, 6, v0
	v_cmp_eq_u32_e32 vcc, v0, v33
	s_and_saveexec_b64 s[0:1], vcc
; %bb.178:
	v_lshlrev_b32_e32 v33, 2, v70
	ds_write_b32 v33, v69
; %bb.179:
	s_or_b64 exec, exec, s[0:1]
	v_cmp_gt_u32_e32 vcc, 4, v0
	s_waitcnt lgkmcnt(0)
	s_barrier
	s_and_saveexec_b64 s[0:1], vcc
	s_cbranch_execz .LBB149_181
; %bb.180:
	v_lshlrev_b32_e32 v33, 2, v0
	ds_read_b32 v71, v33
	v_and_b32_e32 v72, 3, v31
	v_cmp_ne_u32_e32 vcc, 0, v72
	s_waitcnt lgkmcnt(0)
	v_mov_b32_dpp v73, v71 row_shr:1 row_mask:0xf bank_mask:0xf
	v_cndmask_b32_e32 v73, 0, v73, vcc
	v_add_u32_e32 v71, v73, v71
	v_cmp_lt_u32_e32 vcc, 1, v72
	s_nop 0
	v_mov_b32_dpp v73, v71 row_shr:2 row_mask:0xf bank_mask:0xf
	v_cndmask_b32_e32 v72, 0, v73, vcc
	v_add_u32_e32 v71, v71, v72
	ds_write_b32 v33, v71
.LBB149_181:
	s_or_b64 exec, exec, s[0:1]
	v_cmp_lt_u32_e32 vcc, 63, v0
	v_mov_b32_e32 v33, 0
	s_waitcnt lgkmcnt(0)
	s_barrier
	s_and_saveexec_b64 s[0:1], vcc
; %bb.182:
	v_lshl_add_u32 v33, v70, 2, -4
	ds_read_b32 v33, v33
; %bb.183:
	s_or_b64 exec, exec, s[0:1]
	v_add_u32_e32 v70, -1, v31
	v_and_b32_e32 v71, 64, v31
	v_cmp_lt_i32_e32 vcc, v70, v71
	v_cndmask_b32_e32 v70, v70, v31, vcc
	s_waitcnt lgkmcnt(0)
	v_add_u32_e32 v69, v33, v69
	v_lshlrev_b32_e32 v70, 2, v70
	ds_bpermute_b32 v69, v70, v69
	v_cmp_eq_u32_e32 vcc, 0, v31
	s_movk_i32 s0, 0x100
	s_waitcnt lgkmcnt(0)
	v_cndmask_b32_e32 v31, v69, v33, vcc
	v_cmp_ne_u32_e32 vcc, 0, v0
	v_cndmask_b32_e32 v31, 0, v31, vcc
	v_add_u32_e32 v27, v31, v27
	v_add_u32_e32 v28, v27, v28
	;; [unrolled: 1-line block ×4, first 2 shown]
	ds_write2_b32 v32, v31, v27 offset0:4 offset1:5
	ds_write2_b32 v32, v28, v25 offset0:6 offset1:7
	ds_write_b32 v32, v26 offset:32
	s_waitcnt lgkmcnt(0)
	s_barrier
	ds_read_b32 v70, v56 offset:16
	ds_read_b32 v69, v59 offset:16
	;; [unrolled: 1-line block ×13, first 2 shown]
	v_add_u32_e32 v44, 1, v0
	v_cmp_ne_u32_e32 vcc, s0, v44
	v_mov_b32_e32 v32, 0xc00
	s_and_saveexec_b64 s[0:1], vcc
; %bb.184:
	v_mul_u32_u24_e32 v32, 20, v44
	ds_read_b32 v32, v32 offset:16
; %bb.185:
	s_or_b64 exec, exec, s[0:1]
	v_lshlrev_b32_e32 v35, 3, v35
	s_waitcnt lgkmcnt(7)
	v_lshl_add_u32 v26, v26, 3, v35
	s_waitcnt lgkmcnt(0)
	s_barrier
	ds_write_b64 v26, v[1:2] offset:2048
	v_lshlrev_b32_e32 v1, 3, v27
	v_lshlrev_b32_e32 v2, 3, v38
	;; [unrolled: 1-line block ×3, first 2 shown]
	v_add3_u32 v27, v1, v2, v27
	ds_write_b64 v27, v[3:4] offset:2048
	v_lshlrev_b32_e32 v1, 3, v28
	v_lshlrev_b32_e32 v2, 3, v42
	;; [unrolled: 1-line block ×3, first 2 shown]
	v_add3_u32 v28, v1, v2, v3
	v_lshlrev_b32_e32 v1, 3, v31
	v_lshlrev_b32_e32 v2, 3, v45
	;; [unrolled: 1-line block ×3, first 2 shown]
	v_add3_u32 v31, v1, v2, v3
	v_lshlrev_b32_e32 v1, 3, v41
	v_lshlrev_b32_e32 v2, 3, v48
	;; [unrolled: 1-line block ×3, first 2 shown]
	ds_write_b64 v28, v[5:6] offset:2048
	ds_write_b64 v31, v[9:10] offset:2048
	v_add3_u32 v9, v1, v2, v3
	v_lshlrev_b32_e32 v1, 3, v37
	v_lshlrev_b32_e32 v2, 3, v51
	v_lshlrev_b32_e32 v3, 3, v49
	v_add3_u32 v10, v1, v2, v3
	v_lshlrev_b32_e32 v1, 3, v34
	v_lshlrev_b32_e32 v2, 3, v54
	v_lshlrev_b32_e32 v3, 3, v52
	ds_write_b64 v9, v[13:14] offset:2048
	v_add3_u32 v13, v1, v2, v3
	v_lshlrev_b32_e32 v1, 3, v70
	v_lshlrev_b32_e32 v2, 3, v57
	v_lshlrev_b32_e32 v3, 3, v55
	v_add3_u32 v14, v1, v2, v3
	v_lshlrev_b32_e32 v1, 3, v69
	v_lshlrev_b32_e32 v2, 3, v60
	v_lshlrev_b32_e32 v3, 3, v58
	;; [unrolled: 9-line block ×3, first 2 shown]
	ds_write_b64 v13, v[21:22] offset:2048
	ds_write_b64 v14, v[23:24] offset:2048
	;; [unrolled: 1-line block ×4, first 2 shown]
	v_add3_u32 v15, v1, v2, v3
	v_lshlrev_b32_e32 v1, 3, v33
	v_lshlrev_b32_e32 v2, 3, v68
	;; [unrolled: 1-line block ×3, first 2 shown]
	ds_write_b64 v15, v[11:12] offset:2048
	v_add3_u32 v11, v1, v2, v3
	v_lshl_or_b32 v3, s6, 8, v0
	v_mov_b32_e32 v4, 0
	v_lshlrev_b64 v[1:2], 2, v[3:4]
	ds_write_b64 v11, v[7:8] offset:2048
	v_sub_u32_e32 v7, v32, v25
	v_mov_b32_e32 v8, s55
	v_add_co_u32_e32 v1, vcc, s54, v1
	v_addc_co_u32_e32 v2, vcc, v8, v2, vcc
	v_or_b32_e32 v3, 2.0, v7
	s_mov_b64 s[0:1], 0
	s_brev_b32 s8, -4
	v_mov_b32_e32 v12, 0
	s_waitcnt lgkmcnt(0)
	s_barrier
	global_store_dword v[1:2], v3, off
                                        ; implicit-def: $sgpr2_sgpr3
	s_branch .LBB149_188
.LBB149_186:                            ;   in Loop: Header=BB149_188 Depth=1
	s_or_b64 exec, exec, s[4:5]
.LBB149_187:                            ;   in Loop: Header=BB149_188 Depth=1
	s_or_b64 exec, exec, s[2:3]
	v_and_b32_e32 v5, 0x3fffffff, v3
	v_add_u32_e32 v12, v5, v12
	v_cmp_gt_i32_e64 s[2:3], -2.0, v3
	s_and_b64 s[4:5], exec, s[2:3]
	s_or_b64 s[0:1], s[4:5], s[0:1]
	s_andn2_b64 exec, exec, s[0:1]
	s_cbranch_execz .LBB149_193
.LBB149_188:                            ; =>This Loop Header: Depth=1
                                        ;     Child Loop BB149_191 Depth 2
	s_or_b64 s[2:3], s[2:3], exec
	s_cmp_eq_u32 s7, 0
	s_cbranch_scc1 .LBB149_192
; %bb.189:                              ;   in Loop: Header=BB149_188 Depth=1
	s_add_i32 s7, s7, -1
	v_lshl_or_b32 v3, s7, 8, v0
	v_lshlrev_b64 v[5:6], 2, v[3:4]
	v_add_co_u32_e32 v5, vcc, s54, v5
	v_addc_co_u32_e32 v6, vcc, v8, v6, vcc
	global_load_dword v3, v[5:6], off glc
	s_waitcnt vmcnt(0)
	v_cmp_gt_u32_e32 vcc, 2.0, v3
	s_and_saveexec_b64 s[2:3], vcc
	s_cbranch_execz .LBB149_187
; %bb.190:                              ;   in Loop: Header=BB149_188 Depth=1
	s_mov_b64 s[4:5], 0
.LBB149_191:                            ;   Parent Loop BB149_188 Depth=1
                                        ; =>  This Inner Loop Header: Depth=2
	global_load_dword v3, v[5:6], off glc
	s_waitcnt vmcnt(0)
	v_cmp_lt_u32_e32 vcc, s8, v3
	s_or_b64 s[4:5], vcc, s[4:5]
	s_andn2_b64 exec, exec, s[4:5]
	s_cbranch_execnz .LBB149_191
	s_branch .LBB149_186
.LBB149_192:                            ;   in Loop: Header=BB149_188 Depth=1
                                        ; implicit-def: $sgpr7
	s_and_b64 s[4:5], exec, s[2:3]
	s_or_b64 s[0:1], s[4:5], s[0:1]
	s_andn2_b64 exec, exec, s[0:1]
	s_cbranch_execnz .LBB149_188
.LBB149_193:
	s_or_b64 exec, exec, s[0:1]
	v_add_u32_e32 v3, v12, v7
	v_or_b32_e32 v3, 0x80000000, v3
	v_lshlrev_b32_e32 v0, 3, v0
	global_store_dword v[1:2], v3, off
	global_load_dwordx2 v[2:3], v0, s[64:65]
	v_sub_co_u32_e32 v4, vcc, v12, v25
	v_subb_co_u32_e64 v5, s[0:1], 0, 0, vcc
	s_mov_b32 s12, 0
	s_brev_b32 s13, 1
	v_bfrev_b32_e32 v1, -2
	v_mov_b32_e32 v8, s59
	v_mov_b32_e32 v12, s59
	;; [unrolled: 1-line block ×3, first 2 shown]
	v_or_b32_e32 v70, 0x2000, v0
	v_or_b32_e32 v71, 0x2800, v0
	;; [unrolled: 1-line block ×4, first 2 shown]
	s_movk_i32 s7, 0x1000
	s_waitcnt vmcnt(0)
	v_add_co_u32_e32 v2, vcc, v4, v2
	v_addc_co_u32_e32 v3, vcc, v5, v3, vcc
	ds_write_b64 v0, v[2:3]
	s_waitcnt lgkmcnt(0)
	s_barrier
	ds_read2st64_b64 v[3:6], v0 offset0:4 offset1:8
	ds_read2st64_b64 v[19:22], v0 offset0:12 offset1:16
	v_or_b32_e32 v2, 0x1000, v0
	s_waitcnt lgkmcnt(1)
	v_cmp_gt_i64_e64 s[0:1], 0, v[3:4]
	v_cmp_gt_i64_e64 s[2:3], 0, v[5:6]
	v_cmp_ne_u64_e32 vcc, s[12:13], v[3:4]
	v_cndmask_b32_e64 v23, v1, 0, s[0:1]
	v_ashrrev_i32_e32 v32, 31, v4
	v_cmp_ne_u64_e64 s[0:1], s[12:13], v[5:6]
	s_waitcnt lgkmcnt(0)
	v_cmp_gt_i64_e64 s[4:5], 0, v[19:20]
	v_cndmask_b32_e64 v34, v1, 0, s[2:3]
	v_cmp_ne_u64_e64 s[2:3], s[12:13], v[19:20]
	v_not_b32_e32 v32, v32
	v_cndmask_b32_e32 v24, v1, v4, vcc
	v_cndmask_b32_e64 v33, v1, v6, s[0:1]
	v_ashrrev_i32_e32 v36, 31, v6
	v_cndmask_b32_e64 v38, v1, 0, s[4:5]
	v_cmp_ne_u64_e64 s[4:5], s[12:13], v[21:22]
	v_xor_b32_e32 v4, v23, v4
	v_cndmask_b32_e32 v23, -1, v3, vcc
	v_xor_b32_e32 v3, v32, v3
	v_cndmask_b32_e64 v32, -1, v5, s[0:1]
	v_cndmask_b32_e64 v35, v1, v20, s[2:3]
	v_not_b32_e32 v36, v36
	v_xor_b32_e32 v6, v34, v6
	v_cndmask_b32_e64 v34, -1, v19, s[2:3]
	v_lshrrev_b64 v[23:24], s68, v[23:24]
	v_lshrrev_b64 v[32:33], s68, v[32:33]
	v_cndmask_b32_e64 v37, v1, v22, s[4:5]
	v_xor_b32_e32 v5, v36, v5
	v_cndmask_b32_e64 v36, -1, v21, s[4:5]
	v_lshrrev_b64 v[33:34], s68, v[34:35]
	v_lshrrev_b64 v[34:35], s68, v[36:37]
	v_and_b32_e32 v23, s15, v23
	v_and_b32_e32 v24, s15, v32
	;; [unrolled: 1-line block ×3, first 2 shown]
	v_lshlrev_b32_e32 v62, 3, v23
	v_and_b32_e32 v36, s15, v34
	v_lshlrev_b32_e32 v63, 3, v24
	v_lshlrev_b32_e32 v64, 3, v32
	ds_read_b64 v[23:24], v62
	ds_read_b64 v[32:33], v63
	ds_read_b64 v[34:35], v64
	v_lshlrev_b32_e32 v65, 3, v36
	ds_read_b64 v[36:37], v65
	s_waitcnt lgkmcnt(3)
	v_lshlrev_b64 v[23:24], 3, v[23:24]
	s_waitcnt lgkmcnt(2)
	v_lshlrev_b64 v[32:33], 3, v[32:33]
	v_add_co_u32_e32 v23, vcc, s58, v23
	v_addc_co_u32_e32 v8, vcc, v8, v24, vcc
	s_waitcnt lgkmcnt(1)
	v_lshlrev_b64 v[34:35], 3, v[34:35]
	v_add_co_u32_e32 v32, vcc, s58, v32
	v_addc_co_u32_e32 v12, vcc, v12, v33, vcc
	v_add_co_u32_e32 v34, vcc, s58, v34
	v_addc_co_u32_e32 v16, vcc, v16, v35, vcc
	;; [unrolled: 2-line block ×3, first 2 shown]
	v_add_co_u32_e32 v32, vcc, v32, v0
	v_ashrrev_i32_e32 v39, 31, v20
	v_addc_co_u32_e32 v33, vcc, 0, v12, vcc
	v_ashrrev_i32_e32 v41, 31, v22
	v_not_b32_e32 v39, v39
	v_add_co_u32_e32 v34, vcc, v34, v2
	v_xor_b32_e32 v20, v38, v20
	v_xor_b32_e32 v19, v39, v19
	v_addc_co_u32_e32 v35, vcc, 0, v16, vcc
	global_store_dwordx2 v[23:24], v[3:4], off
	global_store_dwordx2 v[32:33], v[5:6], off offset:2048
	global_store_dwordx2 v[34:35], v[19:20], off
	v_not_b32_e32 v3, v41
	v_xor_b32_e32 v19, v3, v21
	s_waitcnt lgkmcnt(0)
	v_lshlrev_b64 v[3:4], 3, v[36:37]
	v_mov_b32_e32 v5, s59
	v_add_co_u32_e32 v8, vcc, s58, v3
	v_addc_co_u32_e32 v12, vcc, v5, v4, vcc
	ds_read2st64_b64 v[3:6], v0 offset0:20 offset1:24
	v_cmp_gt_i64_e64 s[8:9], 0, v[21:22]
	v_or_b32_e32 v16, 0x1800, v0
	v_cndmask_b32_e64 v40, v1, 0, s[8:9]
	v_add_co_u32_e32 v21, vcc, v8, v16
	v_xor_b32_e32 v20, v40, v22
	v_addc_co_u32_e32 v22, vcc, 0, v12, vcc
	s_waitcnt lgkmcnt(0)
	v_cmp_ne_u64_e32 vcc, s[12:13], v[3:4]
	global_store_dwordx2 v[21:22], v[19:20], off
	v_ashrrev_i32_e32 v19, 31, v4
	v_not_b32_e32 v19, v19
	v_cndmask_b32_e32 v24, v1, v4, vcc
	v_cndmask_b32_e32 v23, -1, v3, vcc
	v_cmp_gt_i64_e32 vcc, 0, v[3:4]
	v_xor_b32_e32 v3, v19, v3
	ds_read2st64_b64 v[19:22], v0 offset0:28 offset1:32
	v_lshrrev_b64 v[23:24], s68, v[23:24]
	v_cndmask_b32_e64 v12, v1, 0, vcc
	v_cmp_ne_u64_e32 vcc, s[12:13], v[5:6]
	v_and_b32_e32 v8, s15, v23
	v_cndmask_b32_e32 v24, v1, v6, vcc
	v_cndmask_b32_e32 v23, -1, v5, vcc
	v_lshrrev_b64 v[23:24], s68, v[23:24]
	s_waitcnt lgkmcnt(0)
	v_cmp_ne_u64_e32 vcc, s[12:13], v[19:20]
	v_lshlrev_b32_e32 v66, 3, v8
	ds_read_b64 v[32:33], v66
	v_and_b32_e32 v8, s15, v23
	v_cndmask_b32_e32 v24, v1, v20, vcc
	v_cndmask_b32_e32 v23, -1, v19, vcc
	v_lshrrev_b64 v[23:24], s68, v[23:24]
	v_cmp_ne_u64_e32 vcc, s[12:13], v[21:22]
	v_lshlrev_b32_e32 v67, 3, v8
	v_and_b32_e32 v8, s15, v23
	v_cndmask_b32_e32 v24, v1, v22, vcc
	v_cndmask_b32_e32 v23, -1, v21, vcc
	v_lshrrev_b64 v[23:24], s68, v[23:24]
	s_waitcnt lgkmcnt(0)
	v_lshlrev_b64 v[32:33], 3, v[32:33]
	v_lshlrev_b32_e32 v68, 3, v8
	v_and_b32_e32 v8, s15, v23
	v_xor_b32_e32 v4, v12, v4
	v_lshlrev_b32_e32 v69, 3, v8
	v_mov_b32_e32 v8, s59
	v_add_co_u32_e32 v12, vcc, s58, v32
	v_addc_co_u32_e32 v8, vcc, v8, v33, vcc
	v_add_co_u32_e32 v32, vcc, v12, v70
	v_addc_co_u32_e32 v33, vcc, 0, v8, vcc
	ds_read_b64 v[23:24], v67
	ds_read_b64 v[34:35], v68
	;; [unrolled: 1-line block ×3, first 2 shown]
	v_cmp_gt_i64_e32 vcc, 0, v[5:6]
	global_store_dwordx2 v[32:33], v[3:4], off
	v_ashrrev_i32_e32 v4, 31, v6
	v_cndmask_b32_e64 v3, v1, 0, vcc
	v_not_b32_e32 v8, v4
	v_xor_b32_e32 v4, v3, v6
	v_xor_b32_e32 v3, v8, v5
	s_waitcnt lgkmcnt(2)
	v_lshlrev_b64 v[5:6], 3, v[23:24]
	v_mov_b32_e32 v8, s59
	v_add_co_u32_e32 v5, vcc, s58, v5
	v_addc_co_u32_e32 v6, vcc, v8, v6, vcc
	v_add_co_u32_e32 v5, vcc, v5, v71
	v_addc_co_u32_e32 v6, vcc, 0, v6, vcc
	v_cmp_gt_i64_e32 vcc, 0, v[19:20]
	global_store_dwordx2 v[5:6], v[3:4], off
	v_ashrrev_i32_e32 v4, 31, v20
	v_cndmask_b32_e64 v3, v1, 0, vcc
	v_not_b32_e32 v5, v4
	v_xor_b32_e32 v4, v3, v20
	v_xor_b32_e32 v3, v5, v19
	s_waitcnt lgkmcnt(1)
	v_lshlrev_b64 v[5:6], 3, v[34:35]
	s_add_u32 s0, s60, s10
	v_add_co_u32_e32 v5, vcc, s58, v5
	v_addc_co_u32_e32 v6, vcc, v8, v6, vcc
	v_add_co_u32_e32 v5, vcc, v5, v72
	v_addc_co_u32_e32 v6, vcc, 0, v6, vcc
	v_cmp_gt_i64_e32 vcc, 0, v[21:22]
	global_store_dwordx2 v[5:6], v[3:4], off
	v_ashrrev_i32_e32 v4, 31, v22
	v_cndmask_b32_e64 v3, v1, 0, vcc
	v_not_b32_e32 v4, v4
	v_xor_b32_e32 v20, v3, v22
	v_xor_b32_e32 v19, v4, v21
	s_waitcnt lgkmcnt(0)
	v_lshlrev_b64 v[3:4], 3, v[36:37]
	v_mov_b32_e32 v5, s59
	v_add_co_u32_e32 v8, vcc, s58, v3
	v_addc_co_u32_e32 v12, vcc, v5, v4, vcc
	ds_read2st64_b64 v[3:6], v0 offset0:36 offset1:40
	v_add_co_u32_e32 v21, vcc, v8, v73
	v_addc_co_u32_e32 v22, vcc, 0, v12, vcc
	s_waitcnt lgkmcnt(0)
	v_cmp_ne_u64_e32 vcc, s[12:13], v[3:4]
	global_store_dwordx2 v[21:22], v[19:20], off
	v_ashrrev_i32_e32 v19, 31, v4
	v_not_b32_e32 v19, v19
	v_cndmask_b32_e32 v24, v1, v4, vcc
	v_cndmask_b32_e32 v23, -1, v3, vcc
	v_cmp_gt_i64_e32 vcc, 0, v[3:4]
	v_xor_b32_e32 v3, v19, v3
	ds_read2st64_b64 v[19:22], v0 offset0:44 offset1:48
	v_lshrrev_b64 v[23:24], s68, v[23:24]
	v_cndmask_b32_e64 v12, v1, 0, vcc
	v_cmp_ne_u64_e32 vcc, s[12:13], v[5:6]
	v_and_b32_e32 v8, s15, v23
	v_cndmask_b32_e32 v24, v1, v6, vcc
	v_cndmask_b32_e32 v23, -1, v5, vcc
	v_lshrrev_b64 v[23:24], s68, v[23:24]
	s_waitcnt lgkmcnt(0)
	v_cmp_ne_u64_e32 vcc, s[12:13], v[19:20]
	v_lshlrev_b32_e32 v74, 3, v8
	v_and_b32_e32 v8, s15, v23
	v_cndmask_b32_e32 v24, v1, v20, vcc
	v_cndmask_b32_e32 v23, -1, v19, vcc
	v_lshrrev_b64 v[23:24], s68, v[23:24]
	v_cmp_ne_u64_e32 vcc, s[12:13], v[21:22]
	v_lshlrev_b32_e32 v75, 3, v8
	v_and_b32_e32 v8, s15, v23
	v_cndmask_b32_e32 v24, v1, v22, vcc
	v_cndmask_b32_e32 v23, -1, v21, vcc
	v_lshrrev_b64 v[23:24], s68, v[23:24]
	v_lshlrev_b32_e32 v76, 3, v8
	v_and_b32_e32 v8, s15, v23
	s_addc_u32 s1, s61, s11
	v_xor_b32_e32 v4, v12, v4
	v_lshlrev_b32_e32 v77, 3, v8
	v_mov_b32_e32 v8, s1
	v_add_co_u32_e32 v12, vcc, s0, v29
	v_addc_co_u32_e32 v8, vcc, 0, v8, vcc
	v_add_co_u32_e32 v29, vcc, v12, v30
	v_addc_co_u32_e32 v30, vcc, 0, v8, vcc
	ds_read_b64 v[32:33], v74
	ds_read_b64 v[23:24], v75
	;; [unrolled: 1-line block ×4, first 2 shown]
	global_load_dwordx2 v[38:39], v[29:30], off
	global_load_dwordx2 v[40:41], v[29:30], off offset:512
	global_load_dwordx2 v[42:43], v[29:30], off offset:1024
	;; [unrolled: 1-line block ×7, first 2 shown]
	v_add_co_u32_e32 v29, vcc, s7, v29
	v_addc_co_u32_e32 v30, vcc, 0, v30, vcc
	global_load_dwordx2 v[54:55], v[29:30], off
	global_load_dwordx2 v[56:57], v[29:30], off offset:512
	global_load_dwordx2 v[58:59], v[29:30], off offset:1024
	;; [unrolled: 1-line block ×3, first 2 shown]
	s_waitcnt lgkmcnt(3)
	v_lshlrev_b64 v[32:33], 3, v[32:33]
	v_mov_b32_e32 v8, s59
	v_add_co_u32_e32 v12, vcc, s58, v32
	v_addc_co_u32_e32 v8, vcc, v8, v33, vcc
	v_or_b32_e32 v32, 0x4000, v0
	v_add_co_u32_e32 v29, vcc, v12, v32
	v_addc_co_u32_e32 v30, vcc, 0, v8, vcc
	v_cmp_gt_i64_e32 vcc, 0, v[5:6]
	global_store_dwordx2 v[29:30], v[3:4], off
	v_ashrrev_i32_e32 v4, 31, v6
	v_cndmask_b32_e64 v3, v1, 0, vcc
	v_not_b32_e32 v8, v4
	v_xor_b32_e32 v4, v3, v6
	v_xor_b32_e32 v3, v8, v5
	s_waitcnt lgkmcnt(2)
	v_lshlrev_b64 v[5:6], 3, v[23:24]
	v_mov_b32_e32 v8, s59
	v_add_co_u32_e32 v5, vcc, s58, v5
	v_addc_co_u32_e32 v6, vcc, v8, v6, vcc
	v_or_b32_e32 v23, 0x4800, v0
	v_add_co_u32_e32 v5, vcc, v5, v23
	v_addc_co_u32_e32 v6, vcc, 0, v6, vcc
	v_cmp_gt_i64_e32 vcc, 0, v[19:20]
	global_store_dwordx2 v[5:6], v[3:4], off
	v_ashrrev_i32_e32 v4, 31, v20
	v_cndmask_b32_e64 v3, v1, 0, vcc
	v_not_b32_e32 v5, v4
	v_xor_b32_e32 v4, v3, v20
	v_xor_b32_e32 v3, v5, v19
	s_waitcnt lgkmcnt(1)
	v_lshlrev_b64 v[5:6], 3, v[34:35]
	v_or_b32_e32 v19, 0x5000, v0
	v_add_co_u32_e32 v5, vcc, s58, v5
	v_addc_co_u32_e32 v6, vcc, v8, v6, vcc
	v_add_co_u32_e32 v5, vcc, v5, v19
	v_addc_co_u32_e32 v6, vcc, 0, v6, vcc
	v_cmp_gt_i64_e32 vcc, 0, v[21:22]
	global_store_dwordx2 v[5:6], v[3:4], off
	s_waitcnt lgkmcnt(0)
	v_lshlrev_b64 v[5:6], 3, v[36:37]
	v_cndmask_b32_e64 v1, v1, 0, vcc
	v_xor_b32_e32 v4, v1, v22
	v_mov_b32_e32 v1, s59
	v_add_co_u32_e32 v5, vcc, s58, v5
	v_ashrrev_i32_e32 v3, 31, v22
	v_addc_co_u32_e32 v1, vcc, v1, v6, vcc
	v_or_b32_e32 v20, 0x5800, v0
	v_not_b32_e32 v3, v3
	v_add_co_u32_e32 v5, vcc, v5, v20
	v_xor_b32_e32 v3, v3, v21
	v_addc_co_u32_e32 v6, vcc, 0, v1, vcc
	global_store_dwordx2 v[5:6], v[3:4], off
	s_waitcnt vmcnt(0)
	s_barrier
	ds_write_b64 v26, v[38:39] offset:2048
	ds_write_b64 v27, v[40:41] offset:2048
	;; [unrolled: 1-line block ×12, first 2 shown]
	s_waitcnt lgkmcnt(0)
	s_barrier
	ds_read_b64 v[8:9], v62
	ds_read2st64_b64 v[3:6], v0 offset0:4 offset1:8
	ds_read_b64 v[10:11], v63
	ds_read_b64 v[12:13], v64
	;; [unrolled: 1-line block ×3, first 2 shown]
	s_waitcnt lgkmcnt(4)
	v_lshlrev_b64 v[8:9], 3, v[8:9]
	v_mov_b32_e32 v1, s63
	v_add_co_u32_e32 v8, vcc, s62, v8
	v_addc_co_u32_e32 v1, vcc, v1, v9, vcc
	v_add_co_u32_e32 v8, vcc, v8, v0
	v_addc_co_u32_e32 v9, vcc, 0, v1, vcc
	s_waitcnt lgkmcnt(3)
	global_store_dwordx2 v[8:9], v[3:4], off
	s_waitcnt lgkmcnt(2)
	v_lshlrev_b64 v[3:4], 3, v[10:11]
	v_mov_b32_e32 v1, s63
	v_add_co_u32_e32 v3, vcc, s62, v3
	v_addc_co_u32_e32 v1, vcc, v1, v4, vcc
	v_add_co_u32_e32 v3, vcc, v3, v0
	v_addc_co_u32_e32 v4, vcc, 0, v1, vcc
	s_waitcnt lgkmcnt(1)
	v_lshlrev_b64 v[8:9], 3, v[12:13]
	global_store_dwordx2 v[3:4], v[5:6], off offset:2048
	ds_read2st64_b64 v[3:6], v0 offset0:12 offset1:16
	v_mov_b32_e32 v1, s63
	v_add_co_u32_e32 v8, vcc, s62, v8
	v_addc_co_u32_e32 v9, vcc, v1, v9, vcc
	v_add_co_u32_e32 v1, vcc, v8, v2
	v_addc_co_u32_e32 v2, vcc, 0, v9, vcc
	s_waitcnt lgkmcnt(0)
	global_store_dwordx2 v[1:2], v[3:4], off
	v_lshlrev_b64 v[1:2], 3, v[14:15]
	v_mov_b32_e32 v3, s63
	v_add_co_u32_e32 v1, vcc, s62, v1
	v_addc_co_u32_e32 v2, vcc, v3, v2, vcc
	v_add_co_u32_e32 v1, vcc, v1, v16
	v_addc_co_u32_e32 v2, vcc, 0, v2, vcc
	global_store_dwordx2 v[1:2], v[5:6], off
	ds_read_b64 v[5:6], v66
	ds_read2st64_b64 v[1:4], v0 offset0:20 offset1:24
	ds_read_b64 v[8:9], v67
	ds_read_b64 v[10:11], v68
	;; [unrolled: 1-line block ×3, first 2 shown]
	s_waitcnt lgkmcnt(4)
	v_lshlrev_b64 v[5:6], 3, v[5:6]
	v_mov_b32_e32 v14, s63
	v_add_co_u32_e32 v5, vcc, s62, v5
	v_addc_co_u32_e32 v6, vcc, v14, v6, vcc
	v_add_co_u32_e32 v5, vcc, v5, v70
	v_addc_co_u32_e32 v6, vcc, 0, v6, vcc
	s_waitcnt lgkmcnt(3)
	global_store_dwordx2 v[5:6], v[1:2], off
	s_waitcnt lgkmcnt(2)
	v_lshlrev_b64 v[1:2], 3, v[8:9]
	v_mov_b32_e32 v5, s63
	v_add_co_u32_e32 v1, vcc, s62, v1
	v_addc_co_u32_e32 v2, vcc, v5, v2, vcc
	v_add_co_u32_e32 v1, vcc, v1, v71
	v_addc_co_u32_e32 v2, vcc, 0, v2, vcc
	s_waitcnt lgkmcnt(1)
	v_lshlrev_b64 v[5:6], 3, v[10:11]
	global_store_dwordx2 v[1:2], v[3:4], off
	ds_read2st64_b64 v[1:4], v0 offset0:28 offset1:32
	v_mov_b32_e32 v8, s63
	v_add_co_u32_e32 v5, vcc, s62, v5
	v_addc_co_u32_e32 v6, vcc, v8, v6, vcc
	v_add_co_u32_e32 v5, vcc, v5, v72
	v_addc_co_u32_e32 v6, vcc, 0, v6, vcc
	s_waitcnt lgkmcnt(0)
	global_store_dwordx2 v[5:6], v[1:2], off
	v_lshlrev_b64 v[1:2], 3, v[12:13]
	v_mov_b32_e32 v5, s63
	v_add_co_u32_e32 v1, vcc, s62, v1
	v_addc_co_u32_e32 v2, vcc, v5, v2, vcc
	v_add_co_u32_e32 v1, vcc, v1, v73
	v_addc_co_u32_e32 v2, vcc, 0, v2, vcc
	global_store_dwordx2 v[1:2], v[3:4], off
	ds_read_b64 v[5:6], v74
	ds_read2st64_b64 v[1:4], v0 offset0:36 offset1:40
	ds_read_b64 v[8:9], v75
	ds_read_b64 v[10:11], v76
	;; [unrolled: 1-line block ×3, first 2 shown]
	s_waitcnt lgkmcnt(4)
	v_lshlrev_b64 v[5:6], 3, v[5:6]
	s_add_i32 s14, s14, -1
	v_add_co_u32_e32 v5, vcc, s62, v5
	v_addc_co_u32_e32 v6, vcc, v14, v6, vcc
	v_add_co_u32_e32 v5, vcc, v5, v32
	v_addc_co_u32_e32 v6, vcc, 0, v6, vcc
	s_waitcnt lgkmcnt(3)
	global_store_dwordx2 v[5:6], v[1:2], off
	s_waitcnt lgkmcnt(2)
	v_lshlrev_b64 v[1:2], 3, v[8:9]
	v_mov_b32_e32 v5, s63
	v_add_co_u32_e32 v1, vcc, s62, v1
	v_addc_co_u32_e32 v2, vcc, v5, v2, vcc
	v_add_co_u32_e32 v1, vcc, v1, v23
	v_addc_co_u32_e32 v2, vcc, 0, v2, vcc
	s_waitcnt lgkmcnt(1)
	v_lshlrev_b64 v[5:6], 3, v[10:11]
	global_store_dwordx2 v[1:2], v[3:4], off
	ds_read2st64_b64 v[1:4], v0 offset0:44 offset1:48
	v_mov_b32_e32 v8, s63
	v_add_co_u32_e32 v5, vcc, s62, v5
	v_addc_co_u32_e32 v6, vcc, v8, v6, vcc
	v_add_co_u32_e32 v5, vcc, v5, v19
	v_addc_co_u32_e32 v6, vcc, 0, v6, vcc
	s_waitcnt lgkmcnt(0)
	global_store_dwordx2 v[5:6], v[1:2], off
	v_lshlrev_b64 v[1:2], 3, v[12:13]
	v_mov_b32_e32 v5, s63
	v_add_co_u32_e32 v1, vcc, s62, v1
	v_addc_co_u32_e32 v2, vcc, v5, v2, vcc
	v_add_co_u32_e32 v1, vcc, v1, v20
	v_addc_co_u32_e32 v2, vcc, 0, v2, vcc
	s_cmp_lg_u32 s6, s14
	global_store_dwordx2 v[1:2], v[3:4], off
	s_cbranch_scc1 .LBB149_195
; %bb.194:
	ds_read_b64 v[1:2], v0
	v_add_co_u32_e32 v3, vcc, v7, v25
	v_addc_co_u32_e64 v4, s[0:1], 0, 0, vcc
	s_waitcnt lgkmcnt(0)
	v_add_co_u32_e32 v1, vcc, v3, v1
	v_addc_co_u32_e32 v2, vcc, v4, v2, vcc
	global_store_dwordx2 v0, v[1:2], s[66:67]
.LBB149_195:
	s_endpgm
.LBB149_196:
	s_or_b64 exec, exec, s[0:1]
	s_and_saveexec_b64 s[0:1], s[28:29]
	s_cbranch_execz .LBB149_139
.LBB149_197:
	v_lshlrev_b32_e32 v3, 3, v27
	ds_read_b64 v[3:4], v3
	ds_read_b64 v[5:6], v34 offset:4096
	v_mov_b32_e32 v7, s63
	s_waitcnt lgkmcnt(1)
	v_lshlrev_b64 v[3:4], 3, v[3:4]
	v_add_co_u32_e32 v3, vcc, s62, v3
	v_addc_co_u32_e32 v4, vcc, v7, v4, vcc
	v_add_co_u32_e32 v3, vcc, v3, v34
	v_addc_co_u32_e32 v4, vcc, 0, v4, vcc
	s_waitcnt lgkmcnt(0)
	global_store_dwordx2 v[3:4], v[5:6], off offset:2048
	s_or_b64 exec, exec, s[0:1]
	s_and_saveexec_b64 s[0:1], s[30:31]
	s_cbranch_execnz .LBB149_140
.LBB149_198:
	s_or_b64 exec, exec, s[0:1]
	s_and_saveexec_b64 s[0:1], s[34:35]
	s_cbranch_execz .LBB149_141
.LBB149_199:
	v_lshlrev_b32_e32 v3, 3, v28
	ds_read_b64 v[3:4], v3
	ds_read_b64 v[5:6], v34 offset:8192
	v_mov_b32_e32 v7, s63
	s_waitcnt lgkmcnt(1)
	v_lshlrev_b64 v[3:4], 3, v[3:4]
	v_add_co_u32_e32 v3, vcc, s62, v3
	v_addc_co_u32_e32 v4, vcc, v7, v4, vcc
	v_lshlrev_b32_e32 v7, 3, v48
	v_add_co_u32_e32 v3, vcc, v3, v7
	v_addc_co_u32_e32 v4, vcc, 0, v4, vcc
	s_waitcnt lgkmcnt(0)
	global_store_dwordx2 v[3:4], v[5:6], off
	s_or_b64 exec, exec, s[0:1]
	s_and_saveexec_b64 s[0:1], s[36:37]
	s_cbranch_execnz .LBB149_142
.LBB149_200:
	s_or_b64 exec, exec, s[0:1]
	s_and_saveexec_b64 s[0:1], s[38:39]
	s_cbranch_execz .LBB149_143
.LBB149_201:
	v_lshlrev_b32_e32 v3, 3, v32
	ds_read_b64 v[3:4], v3
	ds_read_b64 v[5:6], v34 offset:12288
	v_mov_b32_e32 v7, s63
	s_waitcnt lgkmcnt(1)
	v_lshlrev_b64 v[3:4], 3, v[3:4]
	v_add_co_u32_e32 v3, vcc, s62, v3
	v_addc_co_u32_e32 v4, vcc, v7, v4, vcc
	v_lshlrev_b32_e32 v7, 3, v50
	v_add_co_u32_e32 v3, vcc, v3, v7
	v_addc_co_u32_e32 v4, vcc, 0, v4, vcc
	s_waitcnt lgkmcnt(0)
	global_store_dwordx2 v[3:4], v[5:6], off
	s_or_b64 exec, exec, s[0:1]
	s_and_saveexec_b64 s[0:1], s[40:41]
	s_cbranch_execnz .LBB149_144
.LBB149_202:
	s_or_b64 exec, exec, s[0:1]
	s_and_saveexec_b64 s[0:1], s[42:43]
	s_cbranch_execz .LBB149_145
.LBB149_203:
	v_lshlrev_b32_e32 v3, 3, v33
	ds_read_b64 v[3:4], v3
	ds_read_b64 v[5:6], v34 offset:16384
	v_mov_b32_e32 v7, s63
	s_waitcnt lgkmcnt(1)
	v_lshlrev_b64 v[3:4], 3, v[3:4]
	v_add_co_u32_e32 v3, vcc, s62, v3
	v_addc_co_u32_e32 v4, vcc, v7, v4, vcc
	v_lshlrev_b32_e32 v7, 3, v52
	v_add_co_u32_e32 v3, vcc, v3, v7
	v_addc_co_u32_e32 v4, vcc, 0, v4, vcc
	s_waitcnt lgkmcnt(0)
	global_store_dwordx2 v[3:4], v[5:6], off
	s_or_b64 exec, exec, s[0:1]
	s_and_saveexec_b64 s[0:1], s[44:45]
	s_cbranch_execnz .LBB149_146
.LBB149_204:
	s_or_b64 exec, exec, s[0:1]
	s_and_saveexec_b64 s[0:1], s[46:47]
	s_cbranch_execz .LBB149_147
.LBB149_205:
	v_lshlrev_b32_e32 v3, 3, v57
	ds_read_b64 v[3:4], v3
	ds_read_b64 v[5:6], v34 offset:20480
	v_mov_b32_e32 v7, s63
	s_waitcnt lgkmcnt(1)
	v_lshlrev_b64 v[3:4], 3, v[3:4]
	v_add_co_u32_e32 v3, vcc, s62, v3
	v_addc_co_u32_e32 v4, vcc, v7, v4, vcc
	v_lshlrev_b32_e32 v7, 3, v54
	v_add_co_u32_e32 v3, vcc, v3, v7
	v_addc_co_u32_e32 v4, vcc, 0, v4, vcc
	s_waitcnt lgkmcnt(0)
	global_store_dwordx2 v[3:4], v[5:6], off
	s_or_b64 exec, exec, s[0:1]
	s_and_saveexec_b64 s[0:1], s[48:49]
	s_cbranch_execnz .LBB149_148
.LBB149_206:
	s_or_b64 exec, exec, s[0:1]
	s_and_saveexec_b64 s[0:1], s[50:51]
	s_cbranch_execz .LBB149_149
.LBB149_207:
	v_lshlrev_b32_e32 v3, 3, v59
	ds_read_b64 v[3:4], v3
	ds_read_b64 v[5:6], v34 offset:24576
	v_mov_b32_e32 v7, s63
	s_waitcnt lgkmcnt(1)
	v_lshlrev_b64 v[3:4], 3, v[3:4]
	v_add_co_u32_e32 v3, vcc, s62, v3
	v_addc_co_u32_e32 v4, vcc, v7, v4, vcc
	v_lshlrev_b32_e32 v7, 3, v56
	v_add_co_u32_e32 v3, vcc, v3, v7
	v_addc_co_u32_e32 v4, vcc, 0, v4, vcc
	s_waitcnt lgkmcnt(0)
	global_store_dwordx2 v[3:4], v[5:6], off
	s_or_b64 exec, exec, s[0:1]
	s_add_i32 s33, s33, -1
	s_cmp_eq_u32 s6, s33
	s_cbranch_scc1 .LBB149_150
	s_branch .LBB149_151
	.section	.rodata,"a",@progbits
	.p2align	6, 0x0
	.amdhsa_kernel _ZN7rocprim17ROCPRIM_304000_NS6detail25onesweep_iteration_kernelINS1_34wrapped_radix_sort_onesweep_configINS0_14default_configEdN2at4cuda3cub6detail10OpaqueTypeILi8EEEEELb1EPKdPdPKSA_PSA_mNS0_19identity_decomposerEEEvT1_T2_T3_T4_jPT5_SO_PNS1_23onesweep_lookback_stateET6_jjj
		.amdhsa_group_segment_fixed_size 26624
		.amdhsa_private_segment_fixed_size 0
		.amdhsa_kernarg_size 336
		.amdhsa_user_sgpr_count 6
		.amdhsa_user_sgpr_private_segment_buffer 1
		.amdhsa_user_sgpr_dispatch_ptr 0
		.amdhsa_user_sgpr_queue_ptr 0
		.amdhsa_user_sgpr_kernarg_segment_ptr 1
		.amdhsa_user_sgpr_dispatch_id 0
		.amdhsa_user_sgpr_flat_scratch_init 0
		.amdhsa_user_sgpr_private_segment_size 0
		.amdhsa_uses_dynamic_stack 0
		.amdhsa_system_sgpr_private_segment_wavefront_offset 0
		.amdhsa_system_sgpr_workgroup_id_x 1
		.amdhsa_system_sgpr_workgroup_id_y 0
		.amdhsa_system_sgpr_workgroup_id_z 0
		.amdhsa_system_sgpr_workgroup_info 0
		.amdhsa_system_vgpr_workitem_id 2
		.amdhsa_next_free_vgpr 85
		.amdhsa_next_free_sgpr 98
		.amdhsa_reserve_vcc 1
		.amdhsa_reserve_flat_scratch 0
		.amdhsa_float_round_mode_32 0
		.amdhsa_float_round_mode_16_64 0
		.amdhsa_float_denorm_mode_32 3
		.amdhsa_float_denorm_mode_16_64 3
		.amdhsa_dx10_clamp 1
		.amdhsa_ieee_mode 1
		.amdhsa_fp16_overflow 0
		.amdhsa_exception_fp_ieee_invalid_op 0
		.amdhsa_exception_fp_denorm_src 0
		.amdhsa_exception_fp_ieee_div_zero 0
		.amdhsa_exception_fp_ieee_overflow 0
		.amdhsa_exception_fp_ieee_underflow 0
		.amdhsa_exception_fp_ieee_inexact 0
		.amdhsa_exception_int_div_zero 0
	.end_amdhsa_kernel
	.section	.text._ZN7rocprim17ROCPRIM_304000_NS6detail25onesweep_iteration_kernelINS1_34wrapped_radix_sort_onesweep_configINS0_14default_configEdN2at4cuda3cub6detail10OpaqueTypeILi8EEEEELb1EPKdPdPKSA_PSA_mNS0_19identity_decomposerEEEvT1_T2_T3_T4_jPT5_SO_PNS1_23onesweep_lookback_stateET6_jjj,"axG",@progbits,_ZN7rocprim17ROCPRIM_304000_NS6detail25onesweep_iteration_kernelINS1_34wrapped_radix_sort_onesweep_configINS0_14default_configEdN2at4cuda3cub6detail10OpaqueTypeILi8EEEEELb1EPKdPdPKSA_PSA_mNS0_19identity_decomposerEEEvT1_T2_T3_T4_jPT5_SO_PNS1_23onesweep_lookback_stateET6_jjj,comdat
.Lfunc_end149:
	.size	_ZN7rocprim17ROCPRIM_304000_NS6detail25onesweep_iteration_kernelINS1_34wrapped_radix_sort_onesweep_configINS0_14default_configEdN2at4cuda3cub6detail10OpaqueTypeILi8EEEEELb1EPKdPdPKSA_PSA_mNS0_19identity_decomposerEEEvT1_T2_T3_T4_jPT5_SO_PNS1_23onesweep_lookback_stateET6_jjj, .Lfunc_end149-_ZN7rocprim17ROCPRIM_304000_NS6detail25onesweep_iteration_kernelINS1_34wrapped_radix_sort_onesweep_configINS0_14default_configEdN2at4cuda3cub6detail10OpaqueTypeILi8EEEEELb1EPKdPdPKSA_PSA_mNS0_19identity_decomposerEEEvT1_T2_T3_T4_jPT5_SO_PNS1_23onesweep_lookback_stateET6_jjj
                                        ; -- End function
	.set _ZN7rocprim17ROCPRIM_304000_NS6detail25onesweep_iteration_kernelINS1_34wrapped_radix_sort_onesweep_configINS0_14default_configEdN2at4cuda3cub6detail10OpaqueTypeILi8EEEEELb1EPKdPdPKSA_PSA_mNS0_19identity_decomposerEEEvT1_T2_T3_T4_jPT5_SO_PNS1_23onesweep_lookback_stateET6_jjj.num_vgpr, 78
	.set _ZN7rocprim17ROCPRIM_304000_NS6detail25onesweep_iteration_kernelINS1_34wrapped_radix_sort_onesweep_configINS0_14default_configEdN2at4cuda3cub6detail10OpaqueTypeILi8EEEEELb1EPKdPdPKSA_PSA_mNS0_19identity_decomposerEEEvT1_T2_T3_T4_jPT5_SO_PNS1_23onesweep_lookback_stateET6_jjj.num_agpr, 0
	.set _ZN7rocprim17ROCPRIM_304000_NS6detail25onesweep_iteration_kernelINS1_34wrapped_radix_sort_onesweep_configINS0_14default_configEdN2at4cuda3cub6detail10OpaqueTypeILi8EEEEELb1EPKdPdPKSA_PSA_mNS0_19identity_decomposerEEEvT1_T2_T3_T4_jPT5_SO_PNS1_23onesweep_lookback_stateET6_jjj.numbered_sgpr, 78
	.set _ZN7rocprim17ROCPRIM_304000_NS6detail25onesweep_iteration_kernelINS1_34wrapped_radix_sort_onesweep_configINS0_14default_configEdN2at4cuda3cub6detail10OpaqueTypeILi8EEEEELb1EPKdPdPKSA_PSA_mNS0_19identity_decomposerEEEvT1_T2_T3_T4_jPT5_SO_PNS1_23onesweep_lookback_stateET6_jjj.num_named_barrier, 0
	.set _ZN7rocprim17ROCPRIM_304000_NS6detail25onesweep_iteration_kernelINS1_34wrapped_radix_sort_onesweep_configINS0_14default_configEdN2at4cuda3cub6detail10OpaqueTypeILi8EEEEELb1EPKdPdPKSA_PSA_mNS0_19identity_decomposerEEEvT1_T2_T3_T4_jPT5_SO_PNS1_23onesweep_lookback_stateET6_jjj.private_seg_size, 0
	.set _ZN7rocprim17ROCPRIM_304000_NS6detail25onesweep_iteration_kernelINS1_34wrapped_radix_sort_onesweep_configINS0_14default_configEdN2at4cuda3cub6detail10OpaqueTypeILi8EEEEELb1EPKdPdPKSA_PSA_mNS0_19identity_decomposerEEEvT1_T2_T3_T4_jPT5_SO_PNS1_23onesweep_lookback_stateET6_jjj.uses_vcc, 1
	.set _ZN7rocprim17ROCPRIM_304000_NS6detail25onesweep_iteration_kernelINS1_34wrapped_radix_sort_onesweep_configINS0_14default_configEdN2at4cuda3cub6detail10OpaqueTypeILi8EEEEELb1EPKdPdPKSA_PSA_mNS0_19identity_decomposerEEEvT1_T2_T3_T4_jPT5_SO_PNS1_23onesweep_lookback_stateET6_jjj.uses_flat_scratch, 0
	.set _ZN7rocprim17ROCPRIM_304000_NS6detail25onesweep_iteration_kernelINS1_34wrapped_radix_sort_onesweep_configINS0_14default_configEdN2at4cuda3cub6detail10OpaqueTypeILi8EEEEELb1EPKdPdPKSA_PSA_mNS0_19identity_decomposerEEEvT1_T2_T3_T4_jPT5_SO_PNS1_23onesweep_lookback_stateET6_jjj.has_dyn_sized_stack, 0
	.set _ZN7rocprim17ROCPRIM_304000_NS6detail25onesweep_iteration_kernelINS1_34wrapped_radix_sort_onesweep_configINS0_14default_configEdN2at4cuda3cub6detail10OpaqueTypeILi8EEEEELb1EPKdPdPKSA_PSA_mNS0_19identity_decomposerEEEvT1_T2_T3_T4_jPT5_SO_PNS1_23onesweep_lookback_stateET6_jjj.has_recursion, 0
	.set _ZN7rocprim17ROCPRIM_304000_NS6detail25onesweep_iteration_kernelINS1_34wrapped_radix_sort_onesweep_configINS0_14default_configEdN2at4cuda3cub6detail10OpaqueTypeILi8EEEEELb1EPKdPdPKSA_PSA_mNS0_19identity_decomposerEEEvT1_T2_T3_T4_jPT5_SO_PNS1_23onesweep_lookback_stateET6_jjj.has_indirect_call, 0
	.section	.AMDGPU.csdata,"",@progbits
; Kernel info:
; codeLenInByte = 20552
; TotalNumSgprs: 82
; NumVgprs: 78
; ScratchSize: 0
; MemoryBound: 0
; FloatMode: 240
; IeeeMode: 1
; LDSByteSize: 26624 bytes/workgroup (compile time only)
; SGPRBlocks: 12
; VGPRBlocks: 21
; NumSGPRsForWavesPerEU: 102
; NumVGPRsForWavesPerEU: 85
; Occupancy: 2
; WaveLimiterHint : 1
; COMPUTE_PGM_RSRC2:SCRATCH_EN: 0
; COMPUTE_PGM_RSRC2:USER_SGPR: 6
; COMPUTE_PGM_RSRC2:TRAP_HANDLER: 0
; COMPUTE_PGM_RSRC2:TGID_X_EN: 1
; COMPUTE_PGM_RSRC2:TGID_Y_EN: 0
; COMPUTE_PGM_RSRC2:TGID_Z_EN: 0
; COMPUTE_PGM_RSRC2:TIDIG_COMP_CNT: 2
	.section	.text._ZN7rocprim17ROCPRIM_304000_NS6detail25onesweep_iteration_kernelINS1_34wrapped_radix_sort_onesweep_configINS0_14default_configEdN2at4cuda3cub6detail10OpaqueTypeILi8EEEEELb1EPdSC_PSA_SD_mNS0_19identity_decomposerEEEvT1_T2_T3_T4_jPT5_SK_PNS1_23onesweep_lookback_stateET6_jjj,"axG",@progbits,_ZN7rocprim17ROCPRIM_304000_NS6detail25onesweep_iteration_kernelINS1_34wrapped_radix_sort_onesweep_configINS0_14default_configEdN2at4cuda3cub6detail10OpaqueTypeILi8EEEEELb1EPdSC_PSA_SD_mNS0_19identity_decomposerEEEvT1_T2_T3_T4_jPT5_SK_PNS1_23onesweep_lookback_stateET6_jjj,comdat
	.protected	_ZN7rocprim17ROCPRIM_304000_NS6detail25onesweep_iteration_kernelINS1_34wrapped_radix_sort_onesweep_configINS0_14default_configEdN2at4cuda3cub6detail10OpaqueTypeILi8EEEEELb1EPdSC_PSA_SD_mNS0_19identity_decomposerEEEvT1_T2_T3_T4_jPT5_SK_PNS1_23onesweep_lookback_stateET6_jjj ; -- Begin function _ZN7rocprim17ROCPRIM_304000_NS6detail25onesweep_iteration_kernelINS1_34wrapped_radix_sort_onesweep_configINS0_14default_configEdN2at4cuda3cub6detail10OpaqueTypeILi8EEEEELb1EPdSC_PSA_SD_mNS0_19identity_decomposerEEEvT1_T2_T3_T4_jPT5_SK_PNS1_23onesweep_lookback_stateET6_jjj
	.globl	_ZN7rocprim17ROCPRIM_304000_NS6detail25onesweep_iteration_kernelINS1_34wrapped_radix_sort_onesweep_configINS0_14default_configEdN2at4cuda3cub6detail10OpaqueTypeILi8EEEEELb1EPdSC_PSA_SD_mNS0_19identity_decomposerEEEvT1_T2_T3_T4_jPT5_SK_PNS1_23onesweep_lookback_stateET6_jjj
	.p2align	8
	.type	_ZN7rocprim17ROCPRIM_304000_NS6detail25onesweep_iteration_kernelINS1_34wrapped_radix_sort_onesweep_configINS0_14default_configEdN2at4cuda3cub6detail10OpaqueTypeILi8EEEEELb1EPdSC_PSA_SD_mNS0_19identity_decomposerEEEvT1_T2_T3_T4_jPT5_SK_PNS1_23onesweep_lookback_stateET6_jjj,@function
_ZN7rocprim17ROCPRIM_304000_NS6detail25onesweep_iteration_kernelINS1_34wrapped_radix_sort_onesweep_configINS0_14default_configEdN2at4cuda3cub6detail10OpaqueTypeILi8EEEEELb1EPdSC_PSA_SD_mNS0_19identity_decomposerEEEvT1_T2_T3_T4_jPT5_SK_PNS1_23onesweep_lookback_stateET6_jjj: ; @_ZN7rocprim17ROCPRIM_304000_NS6detail25onesweep_iteration_kernelINS1_34wrapped_radix_sort_onesweep_configINS0_14default_configEdN2at4cuda3cub6detail10OpaqueTypeILi8EEEEELb1EPdSC_PSA_SD_mNS0_19identity_decomposerEEEvT1_T2_T3_T4_jPT5_SK_PNS1_23onesweep_lookback_stateET6_jjj
; %bb.0:
	s_load_dwordx8 s[56:63], s[4:5], 0x0
	s_load_dwordx4 s[68:71], s[4:5], 0x44
	s_load_dwordx4 s[64:67], s[4:5], 0x28
	s_load_dwordx2 s[54:55], s[4:5], 0x38
	s_mov_b32 s7, s6
	s_mov_b64 s[0:1], -1
	s_waitcnt lgkmcnt(0)
	s_cmp_ge_u32 s6, s70
	s_mul_i32 s72, s6, 0xc00
	v_mbcnt_lo_u32_b32 v31, -1, 0
	s_cbranch_scc0 .LBB150_152
; %bb.1:
	s_load_dword s0, s[4:5], 0x20
	s_mul_i32 s74, s70, 0xfffff400
	s_mov_b32 s73, 0
	s_lshl_b64 s[70:71], s[72:73], 3
	v_mbcnt_hi_u32_b32 v34, -1, v31
	s_waitcnt lgkmcnt(0)
	s_add_i32 s74, s74, s0
	s_add_u32 s0, s56, s70
	s_addc_u32 s1, s57, s71
	v_and_b32_e32 v35, 0xc0, v0
	v_lshlrev_b32_e32 v32, 3, v34
	v_mul_u32_u24_e32 v3, 12, v35
	v_mov_b32_e32 v4, s1
	v_add_co_u32_e32 v5, vcc, s0, v32
	v_addc_co_u32_e32 v4, vcc, 0, v4, vcc
	v_lshlrev_b32_e32 v33, 3, v3
	v_add_co_u32_e32 v27, vcc, v5, v33
	v_addc_co_u32_e32 v28, vcc, 0, v4, vcc
	v_or_b32_e32 v29, v34, v3
	v_mov_b32_e32 v5, -1
	v_mov_b32_e32 v3, -1
	;; [unrolled: 1-line block ×4, first 2 shown]
	v_cmp_gt_u32_e64 s[0:1], s74, v29
	s_and_saveexec_b64 s[2:3], s[0:1]
	s_cbranch_execz .LBB150_3
; %bb.2:
	global_load_dwordx2 v[3:4], v[27:28], off
.LBB150_3:
	s_or_b64 exec, exec, s[2:3]
	v_add_u32_e32 v7, 64, v29
	v_cmp_gt_u32_e64 s[2:3], s74, v7
	s_and_saveexec_b64 s[8:9], s[2:3]
	s_cbranch_execz .LBB150_5
; %bb.4:
	global_load_dwordx2 v[5:6], v[27:28], off offset:512
.LBB150_5:
	s_or_b64 exec, exec, s[8:9]
	v_add_u32_e32 v7, 0x80, v29
	v_mov_b32_e32 v13, -1
	v_mov_b32_e32 v9, -1
	v_mov_b32_e32 v14, -1
	v_mov_b32_e32 v10, -1
	v_cmp_gt_u32_e64 s[52:53], s74, v7
	s_and_saveexec_b64 s[8:9], s[52:53]
	s_cbranch_execz .LBB150_7
; %bb.6:
	global_load_dwordx2 v[9:10], v[27:28], off offset:1024
.LBB150_7:
	s_or_b64 exec, exec, s[8:9]
	v_add_u32_e32 v7, 0xc0, v29
	v_cmp_gt_u32_e64 s[8:9], s74, v7
	s_and_saveexec_b64 s[10:11], s[8:9]
	s_cbranch_execz .LBB150_9
; %bb.8:
	global_load_dwordx2 v[13:14], v[27:28], off offset:1536
.LBB150_9:
	s_or_b64 exec, exec, s[10:11]
	v_add_u32_e32 v7, 0x100, v29
	v_mov_b32_e32 v23, -1
	v_mov_b32_e32 v17, -1
	v_mov_b32_e32 v24, -1
	v_mov_b32_e32 v18, -1
	v_cmp_gt_u32_e64 s[10:11], s74, v7
	s_and_saveexec_b64 s[12:13], s[10:11]
	s_cbranch_execz .LBB150_11
; %bb.10:
	global_load_dwordx2 v[17:18], v[27:28], off offset:2048
.LBB150_11:
	;; [unrolled: 20-line block ×3, first 2 shown]
	s_or_b64 exec, exec, s[16:17]
	v_add_u32_e32 v7, 0x1c0, v29
	v_cmp_gt_u32_e64 s[16:17], s74, v7
	s_and_saveexec_b64 s[18:19], s[16:17]
	s_cbranch_execz .LBB150_17
; %bb.16:
	global_load_dwordx2 v[21:22], v[27:28], off offset:3584
.LBB150_17:
	s_or_b64 exec, exec, s[18:19]
	v_add_u32_e32 v7, 0x200, v29
	v_mov_b32_e32 v15, -1
	v_mov_b32_e32 v19, -1
	;; [unrolled: 1-line block ×4, first 2 shown]
	v_cmp_gt_u32_e64 s[18:19], s74, v7
	s_and_saveexec_b64 s[20:21], s[18:19]
	s_cbranch_execz .LBB150_19
; %bb.18:
	v_add_co_u32_e32 v7, vcc, 0x1000, v27
	v_addc_co_u32_e32 v8, vcc, 0, v28, vcc
	global_load_dwordx2 v[19:20], v[7:8], off
.LBB150_19:
	s_or_b64 exec, exec, s[20:21]
	v_add_u32_e32 v7, 0x240, v29
	v_cmp_gt_u32_e64 s[20:21], s74, v7
	s_and_saveexec_b64 s[22:23], s[20:21]
	s_cbranch_execz .LBB150_21
; %bb.20:
	v_add_co_u32_e32 v7, vcc, 0x1000, v27
	v_addc_co_u32_e32 v8, vcc, 0, v28, vcc
	global_load_dwordx2 v[15:16], v[7:8], off offset:512
.LBB150_21:
	s_or_b64 exec, exec, s[22:23]
	v_add_u32_e32 v30, 0x280, v29
	v_mov_b32_e32 v7, -1
	v_mov_b32_e32 v11, -1
	;; [unrolled: 1-line block ×4, first 2 shown]
	v_cmp_gt_u32_e64 s[22:23], s74, v30
	s_and_saveexec_b64 s[24:25], s[22:23]
	s_cbranch_execz .LBB150_23
; %bb.22:
	v_add_co_u32_e32 v11, vcc, 0x1000, v27
	v_addc_co_u32_e32 v12, vcc, 0, v28, vcc
	global_load_dwordx2 v[11:12], v[11:12], off offset:1024
.LBB150_23:
	s_or_b64 exec, exec, s[24:25]
	v_add_u32_e32 v29, 0x2c0, v29
	v_cmp_gt_u32_e64 s[24:25], s74, v29
	s_and_saveexec_b64 s[26:27], s[24:25]
	s_cbranch_execz .LBB150_25
; %bb.24:
	v_add_co_u32_e32 v7, vcc, 0x1000, v27
	v_addc_co_u32_e32 v8, vcc, 0, v28, vcc
	global_load_dwordx2 v[7:8], v[7:8], off offset:1536
.LBB150_25:
	s_or_b64 exec, exec, s[26:27]
	s_load_dword s26, s[4:5], 0x5c
	s_load_dword s33, s[4:5], 0x50
	s_add_u32 s27, s4, 0x50
	s_addc_u32 s28, s5, 0
	v_mov_b32_e32 v27, 0
	s_waitcnt lgkmcnt(0)
	s_lshr_b32 s30, s26, 16
	s_cmp_lt_u32 s6, s33
	s_cselect_b32 s26, 12, 18
	s_add_u32 s26, s27, s26
	s_addc_u32 s27, s28, 0
	global_load_ushort v30, v27, s[26:27]
	s_waitcnt vmcnt(1)
	v_cmp_gt_i64_e32 vcc, 0, v[3:4]
	v_bfrev_b32_e32 v39, -2
	v_ashrrev_i32_e32 v28, 31, v4
	s_mov_b32 s28, 0
	v_cndmask_b32_e64 v29, v39, 0, vcc
	v_not_b32_e32 v28, v28
	s_brev_b32 s29, 1
	v_xor_b32_e32 v4, v29, v4
	v_xor_b32_e32 v3, v28, v3
	v_cmp_ne_u64_e32 vcc, s[28:29], v[3:4]
	s_lshl_b32 s26, -1, s69
	v_cndmask_b32_e32 v29, v39, v4, vcc
	v_cndmask_b32_e32 v28, -1, v3, vcc
	v_lshrrev_b64 v[28:29], s68, v[28:29]
	s_not_b32 s73, s26
	v_and_b32_e32 v40, s73, v28
	v_and_b32_e32 v29, 1, v40
	v_add_co_u32_e32 v41, vcc, -1, v29
	v_lshlrev_b32_e32 v28, 30, v40
	v_addc_co_u32_e64 v42, s[26:27], 0, -1, vcc
	v_cmp_ne_u32_e32 vcc, 0, v29
	v_cmp_gt_i64_e64 s[26:27], 0, v[27:28]
	v_not_b32_e32 v29, v28
	v_lshlrev_b32_e32 v28, 29, v40
	v_xor_b32_e32 v42, vcc_hi, v42
	v_xor_b32_e32 v41, vcc_lo, v41
	v_ashrrev_i32_e32 v29, 31, v29
	v_cmp_gt_i64_e32 vcc, 0, v[27:28]
	v_not_b32_e32 v43, v28
	v_lshlrev_b32_e32 v28, 28, v40
	v_and_b32_e32 v42, exec_hi, v42
	v_and_b32_e32 v41, exec_lo, v41
	v_xor_b32_e32 v44, s27, v29
	v_xor_b32_e32 v29, s26, v29
	v_ashrrev_i32_e32 v43, 31, v43
	v_cmp_gt_i64_e64 s[26:27], 0, v[27:28]
	v_not_b32_e32 v45, v28
	v_lshlrev_b32_e32 v28, 27, v40
	v_and_b32_e32 v42, v42, v44
	v_and_b32_e32 v29, v41, v29
	v_xor_b32_e32 v41, vcc_hi, v43
	v_xor_b32_e32 v43, vcc_lo, v43
	v_ashrrev_i32_e32 v44, 31, v45
	v_cmp_gt_i64_e32 vcc, 0, v[27:28]
	v_not_b32_e32 v45, v28
	v_lshlrev_b32_e32 v28, 26, v40
	v_and_b32_e32 v41, v42, v41
	v_and_b32_e32 v29, v29, v43
	v_xor_b32_e32 v42, s27, v44
	v_xor_b32_e32 v43, s26, v44
	v_ashrrev_i32_e32 v44, 31, v45
	v_cmp_gt_i64_e64 s[26:27], 0, v[27:28]
	v_not_b32_e32 v45, v28
	v_lshlrev_b32_e32 v28, 25, v40
	v_and_b32_e32 v41, v41, v42
	v_and_b32_e32 v29, v29, v43
	v_xor_b32_e32 v42, vcc_hi, v44
	v_xor_b32_e32 v43, vcc_lo, v44
	v_ashrrev_i32_e32 v44, 31, v45
	v_mad_u32_u24 v37, v2, s30, v1
	v_cmp_gt_i64_e32 vcc, 0, v[27:28]
	v_not_b32_e32 v28, v28
	v_and_b32_e32 v41, v41, v42
	v_and_b32_e32 v42, v29, v43
	v_xor_b32_e32 v29, s27, v44
	v_xor_b32_e32 v43, s26, v44
	v_ashrrev_i32_e32 v44, 31, v28
	v_and_b32_e32 v41, v41, v29
	v_mul_lo_u32 v38, v40, 20
	v_mul_u32_u24_e32 v36, 20, v0
	ds_write2_b32 v36, v27, v27 offset0:4 offset1:5
	ds_write2_b32 v36, v27, v27 offset0:6 offset1:7
	ds_write_b32 v36, v27 offset:32
	s_waitcnt vmcnt(0) lgkmcnt(0)
	s_barrier
	; wave barrier
	v_mad_u64_u32 v[28:29], s[26:27], v37, v30, v[0:1]
	v_and_b32_e32 v29, v42, v43
	v_xor_b32_e32 v37, vcc_hi, v44
	v_lshrrev_b32_e32 v30, 6, v28
	v_lshlrev_b32_e32 v28, 24, v40
	v_xor_b32_e32 v42, vcc_lo, v44
	v_cmp_gt_i64_e32 vcc, 0, v[27:28]
	v_not_b32_e32 v28, v28
	v_ashrrev_i32_e32 v28, 31, v28
	v_and_b32_e32 v37, v41, v37
	v_and_b32_e32 v41, v29, v42
	v_xor_b32_e32 v29, vcc_hi, v28
	v_xor_b32_e32 v28, vcc_lo, v28
	v_and_b32_e32 v28, v41, v28
	v_and_b32_e32 v29, v37, v29
	v_mbcnt_lo_u32_b32 v37, v28, 0
	v_mbcnt_hi_u32_b32 v37, v29, v37
	v_cmp_ne_u64_e32 vcc, 0, v[28:29]
	v_cmp_eq_u32_e64 s[26:27], 0, v37
	v_lshl_add_u32 v38, v30, 2, v38
	s_and_b64 s[30:31], vcc, s[26:27]
	s_and_saveexec_b64 s[26:27], s[30:31]
; %bb.26:
	v_bcnt_u32_b32 v28, v28, 0
	v_bcnt_u32_b32 v28, v29, v28
	ds_write_b32 v38, v28 offset:16
; %bb.27:
	s_or_b64 exec, exec, s[26:27]
	v_cmp_gt_i64_e32 vcc, 0, v[5:6]
	v_ashrrev_i32_e32 v29, 31, v6
	v_cndmask_b32_e64 v28, v39, 0, vcc
	v_not_b32_e32 v29, v29
	v_xor_b32_e32 v6, v28, v6
	v_xor_b32_e32 v5, v29, v5
	v_cmp_ne_u64_e32 vcc, s[28:29], v[5:6]
	v_cndmask_b32_e32 v29, v39, v6, vcc
	v_cndmask_b32_e32 v28, -1, v5, vcc
	v_lshrrev_b64 v[28:29], s68, v[28:29]
	; wave barrier
	v_and_b32_e32 v29, s73, v28
	v_mul_lo_u32 v28, v29, 20
	v_lshl_add_u32 v40, v30, 2, v28
	v_and_b32_e32 v28, 1, v29
	v_add_co_u32_e32 v41, vcc, -1, v28
	v_addc_co_u32_e64 v42, s[26:27], 0, -1, vcc
	v_cmp_ne_u32_e32 vcc, 0, v28
	v_xor_b32_e32 v28, vcc_hi, v42
	v_and_b32_e32 v42, exec_hi, v28
	v_lshlrev_b32_e32 v28, 30, v29
	v_xor_b32_e32 v41, vcc_lo, v41
	v_cmp_gt_i64_e32 vcc, 0, v[27:28]
	v_not_b32_e32 v28, v28
	v_ashrrev_i32_e32 v28, 31, v28
	v_and_b32_e32 v41, exec_lo, v41
	v_xor_b32_e32 v43, vcc_hi, v28
	v_xor_b32_e32 v28, vcc_lo, v28
	v_and_b32_e32 v41, v41, v28
	v_lshlrev_b32_e32 v28, 29, v29
	v_cmp_gt_i64_e32 vcc, 0, v[27:28]
	v_not_b32_e32 v28, v28
	v_ashrrev_i32_e32 v28, 31, v28
	v_and_b32_e32 v42, v42, v43
	v_xor_b32_e32 v43, vcc_hi, v28
	v_xor_b32_e32 v28, vcc_lo, v28
	v_and_b32_e32 v41, v41, v28
	v_lshlrev_b32_e32 v28, 28, v29
	v_cmp_gt_i64_e32 vcc, 0, v[27:28]
	v_not_b32_e32 v28, v28
	v_ashrrev_i32_e32 v28, 31, v28
	v_and_b32_e32 v42, v42, v43
	;; [unrolled: 8-line block ×5, first 2 shown]
	v_xor_b32_e32 v43, vcc_hi, v28
	v_xor_b32_e32 v28, vcc_lo, v28
	v_and_b32_e32 v41, v41, v28
	v_lshlrev_b32_e32 v28, 24, v29
	v_cmp_gt_i64_e32 vcc, 0, v[27:28]
	v_not_b32_e32 v27, v28
	v_ashrrev_i32_e32 v27, 31, v27
	v_xor_b32_e32 v28, vcc_hi, v27
	v_xor_b32_e32 v27, vcc_lo, v27
	ds_read_b32 v39, v40 offset:16
	v_and_b32_e32 v42, v42, v43
	v_and_b32_e32 v27, v41, v27
	;; [unrolled: 1-line block ×3, first 2 shown]
	v_mbcnt_lo_u32_b32 v29, v27, 0
	v_mbcnt_hi_u32_b32 v41, v28, v29
	v_cmp_ne_u64_e32 vcc, 0, v[27:28]
	v_cmp_eq_u32_e64 s[26:27], 0, v41
	s_and_b64 s[28:29], vcc, s[26:27]
	; wave barrier
	s_and_saveexec_b64 s[26:27], s[28:29]
	s_cbranch_execz .LBB150_29
; %bb.28:
	v_bcnt_u32_b32 v27, v27, 0
	v_bcnt_u32_b32 v27, v28, v27
	s_waitcnt lgkmcnt(0)
	v_add_u32_e32 v27, v39, v27
	ds_write_b32 v40, v27 offset:16
.LBB150_29:
	s_or_b64 exec, exec, s[26:27]
	v_cmp_gt_i64_e32 vcc, 0, v[9:10]
	v_bfrev_b32_e32 v45, -2
	v_ashrrev_i32_e32 v28, 31, v10
	s_mov_b32 s28, 0
	v_cndmask_b32_e64 v27, v45, 0, vcc
	v_not_b32_e32 v28, v28
	s_brev_b32 s29, 1
	v_xor_b32_e32 v10, v27, v10
	v_xor_b32_e32 v9, v28, v9
	v_cmp_ne_u64_e32 vcc, s[28:29], v[9:10]
	v_cndmask_b32_e32 v28, v45, v10, vcc
	v_cndmask_b32_e32 v27, -1, v9, vcc
	v_lshrrev_b64 v[27:28], s68, v[27:28]
	; wave barrier
	v_and_b32_e32 v29, s73, v27
	v_mul_lo_u32 v27, v29, 20
	v_and_b32_e32 v28, 1, v29
	v_add_co_u32_e32 v44, vcc, -1, v28
	v_addc_co_u32_e64 v46, s[26:27], 0, -1, vcc
	v_cmp_ne_u32_e32 vcc, 0, v28
	v_xor_b32_e32 v28, vcc_hi, v46
	v_lshl_add_u32 v43, v30, 2, v27
	v_mov_b32_e32 v27, 0
	v_and_b32_e32 v46, exec_hi, v28
	v_lshlrev_b32_e32 v28, 30, v29
	v_xor_b32_e32 v44, vcc_lo, v44
	v_cmp_gt_i64_e32 vcc, 0, v[27:28]
	v_not_b32_e32 v28, v28
	v_ashrrev_i32_e32 v28, 31, v28
	v_and_b32_e32 v44, exec_lo, v44
	v_xor_b32_e32 v47, vcc_hi, v28
	v_xor_b32_e32 v28, vcc_lo, v28
	v_and_b32_e32 v44, v44, v28
	v_lshlrev_b32_e32 v28, 29, v29
	v_cmp_gt_i64_e32 vcc, 0, v[27:28]
	v_not_b32_e32 v28, v28
	v_ashrrev_i32_e32 v28, 31, v28
	v_and_b32_e32 v46, v46, v47
	v_xor_b32_e32 v47, vcc_hi, v28
	v_xor_b32_e32 v28, vcc_lo, v28
	v_and_b32_e32 v44, v44, v28
	v_lshlrev_b32_e32 v28, 28, v29
	v_cmp_gt_i64_e32 vcc, 0, v[27:28]
	v_not_b32_e32 v28, v28
	v_ashrrev_i32_e32 v28, 31, v28
	v_and_b32_e32 v46, v46, v47
	;; [unrolled: 8-line block ×5, first 2 shown]
	v_xor_b32_e32 v47, vcc_hi, v28
	v_xor_b32_e32 v28, vcc_lo, v28
	v_and_b32_e32 v44, v44, v28
	v_lshlrev_b32_e32 v28, 24, v29
	v_cmp_gt_i64_e32 vcc, 0, v[27:28]
	v_not_b32_e32 v28, v28
	v_ashrrev_i32_e32 v28, 31, v28
	v_xor_b32_e32 v29, vcc_hi, v28
	v_xor_b32_e32 v28, vcc_lo, v28
	ds_read_b32 v42, v43 offset:16
	v_and_b32_e32 v46, v46, v47
	v_and_b32_e32 v28, v44, v28
	;; [unrolled: 1-line block ×3, first 2 shown]
	v_mbcnt_lo_u32_b32 v44, v28, 0
	v_mbcnt_hi_u32_b32 v44, v29, v44
	v_cmp_ne_u64_e32 vcc, 0, v[28:29]
	v_cmp_eq_u32_e64 s[26:27], 0, v44
	s_and_b64 s[30:31], vcc, s[26:27]
	; wave barrier
	s_and_saveexec_b64 s[26:27], s[30:31]
	s_cbranch_execz .LBB150_31
; %bb.30:
	v_bcnt_u32_b32 v28, v28, 0
	v_bcnt_u32_b32 v28, v29, v28
	s_waitcnt lgkmcnt(0)
	v_add_u32_e32 v28, v42, v28
	ds_write_b32 v43, v28 offset:16
.LBB150_31:
	s_or_b64 exec, exec, s[26:27]
	v_cmp_gt_i64_e32 vcc, 0, v[13:14]
	v_ashrrev_i32_e32 v29, 31, v14
	v_cndmask_b32_e64 v28, v45, 0, vcc
	v_not_b32_e32 v29, v29
	v_xor_b32_e32 v14, v28, v14
	v_xor_b32_e32 v13, v29, v13
	v_cmp_ne_u64_e32 vcc, s[28:29], v[13:14]
	v_cndmask_b32_e32 v29, v45, v14, vcc
	v_cndmask_b32_e32 v28, -1, v13, vcc
	v_lshrrev_b64 v[28:29], s68, v[28:29]
	; wave barrier
	v_and_b32_e32 v29, s73, v28
	v_mul_lo_u32 v28, v29, 20
	v_lshl_add_u32 v46, v30, 2, v28
	v_and_b32_e32 v28, 1, v29
	v_add_co_u32_e32 v47, vcc, -1, v28
	v_addc_co_u32_e64 v48, s[26:27], 0, -1, vcc
	v_cmp_ne_u32_e32 vcc, 0, v28
	v_xor_b32_e32 v28, vcc_hi, v48
	v_and_b32_e32 v48, exec_hi, v28
	v_lshlrev_b32_e32 v28, 30, v29
	v_xor_b32_e32 v47, vcc_lo, v47
	v_cmp_gt_i64_e32 vcc, 0, v[27:28]
	v_not_b32_e32 v28, v28
	v_ashrrev_i32_e32 v28, 31, v28
	v_and_b32_e32 v47, exec_lo, v47
	v_xor_b32_e32 v49, vcc_hi, v28
	v_xor_b32_e32 v28, vcc_lo, v28
	v_and_b32_e32 v47, v47, v28
	v_lshlrev_b32_e32 v28, 29, v29
	v_cmp_gt_i64_e32 vcc, 0, v[27:28]
	v_not_b32_e32 v28, v28
	v_ashrrev_i32_e32 v28, 31, v28
	v_and_b32_e32 v48, v48, v49
	v_xor_b32_e32 v49, vcc_hi, v28
	v_xor_b32_e32 v28, vcc_lo, v28
	v_and_b32_e32 v47, v47, v28
	v_lshlrev_b32_e32 v28, 28, v29
	v_cmp_gt_i64_e32 vcc, 0, v[27:28]
	v_not_b32_e32 v28, v28
	v_ashrrev_i32_e32 v28, 31, v28
	v_and_b32_e32 v48, v48, v49
	;; [unrolled: 8-line block ×5, first 2 shown]
	v_xor_b32_e32 v49, vcc_hi, v28
	v_xor_b32_e32 v28, vcc_lo, v28
	v_and_b32_e32 v47, v47, v28
	v_lshlrev_b32_e32 v28, 24, v29
	v_cmp_gt_i64_e32 vcc, 0, v[27:28]
	v_not_b32_e32 v27, v28
	v_ashrrev_i32_e32 v27, 31, v27
	v_xor_b32_e32 v28, vcc_hi, v27
	v_xor_b32_e32 v27, vcc_lo, v27
	ds_read_b32 v45, v46 offset:16
	v_and_b32_e32 v48, v48, v49
	v_and_b32_e32 v27, v47, v27
	;; [unrolled: 1-line block ×3, first 2 shown]
	v_mbcnt_lo_u32_b32 v29, v27, 0
	v_mbcnt_hi_u32_b32 v47, v28, v29
	v_cmp_ne_u64_e32 vcc, 0, v[27:28]
	v_cmp_eq_u32_e64 s[26:27], 0, v47
	s_and_b64 s[28:29], vcc, s[26:27]
	; wave barrier
	s_and_saveexec_b64 s[26:27], s[28:29]
	s_cbranch_execz .LBB150_33
; %bb.32:
	v_bcnt_u32_b32 v27, v27, 0
	v_bcnt_u32_b32 v27, v28, v27
	s_waitcnt lgkmcnt(0)
	v_add_u32_e32 v27, v45, v27
	ds_write_b32 v46, v27 offset:16
.LBB150_33:
	s_or_b64 exec, exec, s[26:27]
	v_cmp_gt_i64_e32 vcc, 0, v[17:18]
	v_bfrev_b32_e32 v51, -2
	v_ashrrev_i32_e32 v28, 31, v18
	s_mov_b32 s28, 0
	v_cndmask_b32_e64 v27, v51, 0, vcc
	v_not_b32_e32 v28, v28
	s_brev_b32 s29, 1
	v_xor_b32_e32 v18, v27, v18
	v_xor_b32_e32 v17, v28, v17
	v_cmp_ne_u64_e32 vcc, s[28:29], v[17:18]
	v_cndmask_b32_e32 v28, v51, v18, vcc
	v_cndmask_b32_e32 v27, -1, v17, vcc
	v_lshrrev_b64 v[27:28], s68, v[27:28]
	; wave barrier
	v_and_b32_e32 v29, s73, v27
	v_mul_lo_u32 v27, v29, 20
	v_and_b32_e32 v28, 1, v29
	v_add_co_u32_e32 v50, vcc, -1, v28
	v_addc_co_u32_e64 v52, s[26:27], 0, -1, vcc
	v_cmp_ne_u32_e32 vcc, 0, v28
	v_xor_b32_e32 v28, vcc_hi, v52
	v_lshl_add_u32 v49, v30, 2, v27
	v_mov_b32_e32 v27, 0
	v_and_b32_e32 v52, exec_hi, v28
	v_lshlrev_b32_e32 v28, 30, v29
	v_xor_b32_e32 v50, vcc_lo, v50
	v_cmp_gt_i64_e32 vcc, 0, v[27:28]
	v_not_b32_e32 v28, v28
	v_ashrrev_i32_e32 v28, 31, v28
	v_and_b32_e32 v50, exec_lo, v50
	v_xor_b32_e32 v53, vcc_hi, v28
	v_xor_b32_e32 v28, vcc_lo, v28
	v_and_b32_e32 v50, v50, v28
	v_lshlrev_b32_e32 v28, 29, v29
	v_cmp_gt_i64_e32 vcc, 0, v[27:28]
	v_not_b32_e32 v28, v28
	v_ashrrev_i32_e32 v28, 31, v28
	v_and_b32_e32 v52, v52, v53
	v_xor_b32_e32 v53, vcc_hi, v28
	v_xor_b32_e32 v28, vcc_lo, v28
	v_and_b32_e32 v50, v50, v28
	v_lshlrev_b32_e32 v28, 28, v29
	v_cmp_gt_i64_e32 vcc, 0, v[27:28]
	v_not_b32_e32 v28, v28
	v_ashrrev_i32_e32 v28, 31, v28
	v_and_b32_e32 v52, v52, v53
	;; [unrolled: 8-line block ×5, first 2 shown]
	v_xor_b32_e32 v53, vcc_hi, v28
	v_xor_b32_e32 v28, vcc_lo, v28
	v_and_b32_e32 v50, v50, v28
	v_lshlrev_b32_e32 v28, 24, v29
	v_cmp_gt_i64_e32 vcc, 0, v[27:28]
	v_not_b32_e32 v28, v28
	v_ashrrev_i32_e32 v28, 31, v28
	v_xor_b32_e32 v29, vcc_hi, v28
	v_xor_b32_e32 v28, vcc_lo, v28
	ds_read_b32 v48, v49 offset:16
	v_and_b32_e32 v52, v52, v53
	v_and_b32_e32 v28, v50, v28
	;; [unrolled: 1-line block ×3, first 2 shown]
	v_mbcnt_lo_u32_b32 v50, v28, 0
	v_mbcnt_hi_u32_b32 v50, v29, v50
	v_cmp_ne_u64_e32 vcc, 0, v[28:29]
	v_cmp_eq_u32_e64 s[26:27], 0, v50
	s_and_b64 s[30:31], vcc, s[26:27]
	; wave barrier
	s_and_saveexec_b64 s[26:27], s[30:31]
	s_cbranch_execz .LBB150_35
; %bb.34:
	v_bcnt_u32_b32 v28, v28, 0
	v_bcnt_u32_b32 v28, v29, v28
	s_waitcnt lgkmcnt(0)
	v_add_u32_e32 v28, v48, v28
	ds_write_b32 v49, v28 offset:16
.LBB150_35:
	s_or_b64 exec, exec, s[26:27]
	v_cmp_gt_i64_e32 vcc, 0, v[23:24]
	v_ashrrev_i32_e32 v29, 31, v24
	v_cndmask_b32_e64 v28, v51, 0, vcc
	v_not_b32_e32 v29, v29
	v_xor_b32_e32 v24, v28, v24
	v_xor_b32_e32 v23, v29, v23
	v_cmp_ne_u64_e32 vcc, s[28:29], v[23:24]
	v_cndmask_b32_e32 v29, v51, v24, vcc
	v_cndmask_b32_e32 v28, -1, v23, vcc
	v_lshrrev_b64 v[28:29], s68, v[28:29]
	; wave barrier
	v_and_b32_e32 v29, s73, v28
	v_mul_lo_u32 v28, v29, 20
	v_lshl_add_u32 v52, v30, 2, v28
	v_and_b32_e32 v28, 1, v29
	v_add_co_u32_e32 v53, vcc, -1, v28
	v_addc_co_u32_e64 v54, s[26:27], 0, -1, vcc
	v_cmp_ne_u32_e32 vcc, 0, v28
	v_xor_b32_e32 v28, vcc_hi, v54
	v_and_b32_e32 v54, exec_hi, v28
	v_lshlrev_b32_e32 v28, 30, v29
	v_xor_b32_e32 v53, vcc_lo, v53
	v_cmp_gt_i64_e32 vcc, 0, v[27:28]
	v_not_b32_e32 v28, v28
	v_ashrrev_i32_e32 v28, 31, v28
	v_and_b32_e32 v53, exec_lo, v53
	v_xor_b32_e32 v55, vcc_hi, v28
	v_xor_b32_e32 v28, vcc_lo, v28
	v_and_b32_e32 v53, v53, v28
	v_lshlrev_b32_e32 v28, 29, v29
	v_cmp_gt_i64_e32 vcc, 0, v[27:28]
	v_not_b32_e32 v28, v28
	v_ashrrev_i32_e32 v28, 31, v28
	v_and_b32_e32 v54, v54, v55
	v_xor_b32_e32 v55, vcc_hi, v28
	v_xor_b32_e32 v28, vcc_lo, v28
	v_and_b32_e32 v53, v53, v28
	v_lshlrev_b32_e32 v28, 28, v29
	v_cmp_gt_i64_e32 vcc, 0, v[27:28]
	v_not_b32_e32 v28, v28
	v_ashrrev_i32_e32 v28, 31, v28
	v_and_b32_e32 v54, v54, v55
	;; [unrolled: 8-line block ×5, first 2 shown]
	v_xor_b32_e32 v55, vcc_hi, v28
	v_xor_b32_e32 v28, vcc_lo, v28
	v_and_b32_e32 v53, v53, v28
	v_lshlrev_b32_e32 v28, 24, v29
	v_cmp_gt_i64_e32 vcc, 0, v[27:28]
	v_not_b32_e32 v27, v28
	v_ashrrev_i32_e32 v27, 31, v27
	v_xor_b32_e32 v28, vcc_hi, v27
	v_xor_b32_e32 v27, vcc_lo, v27
	ds_read_b32 v51, v52 offset:16
	v_and_b32_e32 v54, v54, v55
	v_and_b32_e32 v27, v53, v27
	;; [unrolled: 1-line block ×3, first 2 shown]
	v_mbcnt_lo_u32_b32 v29, v27, 0
	v_mbcnt_hi_u32_b32 v53, v28, v29
	v_cmp_ne_u64_e32 vcc, 0, v[27:28]
	v_cmp_eq_u32_e64 s[26:27], 0, v53
	s_and_b64 s[28:29], vcc, s[26:27]
	; wave barrier
	s_and_saveexec_b64 s[26:27], s[28:29]
	s_cbranch_execz .LBB150_37
; %bb.36:
	v_bcnt_u32_b32 v27, v27, 0
	v_bcnt_u32_b32 v27, v28, v27
	s_waitcnt lgkmcnt(0)
	v_add_u32_e32 v27, v51, v27
	ds_write_b32 v52, v27 offset:16
.LBB150_37:
	s_or_b64 exec, exec, s[26:27]
	v_cmp_gt_i64_e32 vcc, 0, v[25:26]
	v_bfrev_b32_e32 v57, -2
	v_ashrrev_i32_e32 v28, 31, v26
	s_mov_b32 s28, 0
	v_cndmask_b32_e64 v27, v57, 0, vcc
	v_not_b32_e32 v28, v28
	s_brev_b32 s29, 1
	v_xor_b32_e32 v26, v27, v26
	v_xor_b32_e32 v25, v28, v25
	v_cmp_ne_u64_e32 vcc, s[28:29], v[25:26]
	v_cndmask_b32_e32 v28, v57, v26, vcc
	v_cndmask_b32_e32 v27, -1, v25, vcc
	v_lshrrev_b64 v[27:28], s68, v[27:28]
	; wave barrier
	v_and_b32_e32 v29, s73, v27
	v_mul_lo_u32 v27, v29, 20
	v_and_b32_e32 v28, 1, v29
	v_add_co_u32_e32 v56, vcc, -1, v28
	v_addc_co_u32_e64 v58, s[26:27], 0, -1, vcc
	v_cmp_ne_u32_e32 vcc, 0, v28
	v_xor_b32_e32 v28, vcc_hi, v58
	v_lshl_add_u32 v55, v30, 2, v27
	v_mov_b32_e32 v27, 0
	v_and_b32_e32 v58, exec_hi, v28
	v_lshlrev_b32_e32 v28, 30, v29
	v_xor_b32_e32 v56, vcc_lo, v56
	v_cmp_gt_i64_e32 vcc, 0, v[27:28]
	v_not_b32_e32 v28, v28
	v_ashrrev_i32_e32 v28, 31, v28
	v_and_b32_e32 v56, exec_lo, v56
	v_xor_b32_e32 v59, vcc_hi, v28
	v_xor_b32_e32 v28, vcc_lo, v28
	v_and_b32_e32 v56, v56, v28
	v_lshlrev_b32_e32 v28, 29, v29
	v_cmp_gt_i64_e32 vcc, 0, v[27:28]
	v_not_b32_e32 v28, v28
	v_ashrrev_i32_e32 v28, 31, v28
	v_and_b32_e32 v58, v58, v59
	v_xor_b32_e32 v59, vcc_hi, v28
	v_xor_b32_e32 v28, vcc_lo, v28
	v_and_b32_e32 v56, v56, v28
	v_lshlrev_b32_e32 v28, 28, v29
	v_cmp_gt_i64_e32 vcc, 0, v[27:28]
	v_not_b32_e32 v28, v28
	v_ashrrev_i32_e32 v28, 31, v28
	v_and_b32_e32 v58, v58, v59
	;; [unrolled: 8-line block ×5, first 2 shown]
	v_xor_b32_e32 v59, vcc_hi, v28
	v_xor_b32_e32 v28, vcc_lo, v28
	v_and_b32_e32 v56, v56, v28
	v_lshlrev_b32_e32 v28, 24, v29
	v_cmp_gt_i64_e32 vcc, 0, v[27:28]
	v_not_b32_e32 v28, v28
	v_ashrrev_i32_e32 v28, 31, v28
	v_xor_b32_e32 v29, vcc_hi, v28
	v_xor_b32_e32 v28, vcc_lo, v28
	ds_read_b32 v54, v55 offset:16
	v_and_b32_e32 v58, v58, v59
	v_and_b32_e32 v28, v56, v28
	;; [unrolled: 1-line block ×3, first 2 shown]
	v_mbcnt_lo_u32_b32 v56, v28, 0
	v_mbcnt_hi_u32_b32 v56, v29, v56
	v_cmp_ne_u64_e32 vcc, 0, v[28:29]
	v_cmp_eq_u32_e64 s[26:27], 0, v56
	s_and_b64 s[30:31], vcc, s[26:27]
	; wave barrier
	s_and_saveexec_b64 s[26:27], s[30:31]
	s_cbranch_execz .LBB150_39
; %bb.38:
	v_bcnt_u32_b32 v28, v28, 0
	v_bcnt_u32_b32 v28, v29, v28
	s_waitcnt lgkmcnt(0)
	v_add_u32_e32 v28, v54, v28
	ds_write_b32 v55, v28 offset:16
.LBB150_39:
	s_or_b64 exec, exec, s[26:27]
	v_cmp_gt_i64_e32 vcc, 0, v[21:22]
	v_ashrrev_i32_e32 v29, 31, v22
	v_cndmask_b32_e64 v28, v57, 0, vcc
	v_not_b32_e32 v29, v29
	v_xor_b32_e32 v22, v28, v22
	v_xor_b32_e32 v21, v29, v21
	v_cmp_ne_u64_e32 vcc, s[28:29], v[21:22]
	v_cndmask_b32_e32 v29, v57, v22, vcc
	v_cndmask_b32_e32 v28, -1, v21, vcc
	v_lshrrev_b64 v[28:29], s68, v[28:29]
	; wave barrier
	v_and_b32_e32 v29, s73, v28
	v_mul_lo_u32 v28, v29, 20
	v_lshl_add_u32 v58, v30, 2, v28
	v_and_b32_e32 v28, 1, v29
	v_add_co_u32_e32 v59, vcc, -1, v28
	v_addc_co_u32_e64 v60, s[26:27], 0, -1, vcc
	v_cmp_ne_u32_e32 vcc, 0, v28
	v_xor_b32_e32 v28, vcc_hi, v60
	v_and_b32_e32 v60, exec_hi, v28
	v_lshlrev_b32_e32 v28, 30, v29
	v_xor_b32_e32 v59, vcc_lo, v59
	v_cmp_gt_i64_e32 vcc, 0, v[27:28]
	v_not_b32_e32 v28, v28
	v_ashrrev_i32_e32 v28, 31, v28
	v_and_b32_e32 v59, exec_lo, v59
	v_xor_b32_e32 v61, vcc_hi, v28
	v_xor_b32_e32 v28, vcc_lo, v28
	v_and_b32_e32 v59, v59, v28
	v_lshlrev_b32_e32 v28, 29, v29
	v_cmp_gt_i64_e32 vcc, 0, v[27:28]
	v_not_b32_e32 v28, v28
	v_ashrrev_i32_e32 v28, 31, v28
	v_and_b32_e32 v60, v60, v61
	v_xor_b32_e32 v61, vcc_hi, v28
	v_xor_b32_e32 v28, vcc_lo, v28
	v_and_b32_e32 v59, v59, v28
	v_lshlrev_b32_e32 v28, 28, v29
	v_cmp_gt_i64_e32 vcc, 0, v[27:28]
	v_not_b32_e32 v28, v28
	v_ashrrev_i32_e32 v28, 31, v28
	v_and_b32_e32 v60, v60, v61
	;; [unrolled: 8-line block ×5, first 2 shown]
	v_xor_b32_e32 v61, vcc_hi, v28
	v_xor_b32_e32 v28, vcc_lo, v28
	v_and_b32_e32 v59, v59, v28
	v_lshlrev_b32_e32 v28, 24, v29
	v_cmp_gt_i64_e32 vcc, 0, v[27:28]
	v_not_b32_e32 v27, v28
	v_ashrrev_i32_e32 v27, 31, v27
	v_xor_b32_e32 v28, vcc_hi, v27
	v_xor_b32_e32 v27, vcc_lo, v27
	ds_read_b32 v57, v58 offset:16
	v_and_b32_e32 v60, v60, v61
	v_and_b32_e32 v27, v59, v27
	;; [unrolled: 1-line block ×3, first 2 shown]
	v_mbcnt_lo_u32_b32 v29, v27, 0
	v_mbcnt_hi_u32_b32 v59, v28, v29
	v_cmp_ne_u64_e32 vcc, 0, v[27:28]
	v_cmp_eq_u32_e64 s[26:27], 0, v59
	s_and_b64 s[28:29], vcc, s[26:27]
	; wave barrier
	s_and_saveexec_b64 s[26:27], s[28:29]
	s_cbranch_execz .LBB150_41
; %bb.40:
	v_bcnt_u32_b32 v27, v27, 0
	v_bcnt_u32_b32 v27, v28, v27
	s_waitcnt lgkmcnt(0)
	v_add_u32_e32 v27, v57, v27
	ds_write_b32 v58, v27 offset:16
.LBB150_41:
	s_or_b64 exec, exec, s[26:27]
	v_cmp_gt_i64_e32 vcc, 0, v[19:20]
	v_bfrev_b32_e32 v63, -2
	v_ashrrev_i32_e32 v28, 31, v20
	s_mov_b32 s28, 0
	v_cndmask_b32_e64 v27, v63, 0, vcc
	v_not_b32_e32 v28, v28
	s_brev_b32 s29, 1
	v_xor_b32_e32 v20, v27, v20
	v_xor_b32_e32 v19, v28, v19
	v_cmp_ne_u64_e32 vcc, s[28:29], v[19:20]
	v_cndmask_b32_e32 v28, v63, v20, vcc
	v_cndmask_b32_e32 v27, -1, v19, vcc
	v_lshrrev_b64 v[27:28], s68, v[27:28]
	; wave barrier
	v_and_b32_e32 v29, s73, v27
	v_mul_lo_u32 v27, v29, 20
	v_and_b32_e32 v28, 1, v29
	v_add_co_u32_e32 v62, vcc, -1, v28
	v_addc_co_u32_e64 v64, s[26:27], 0, -1, vcc
	v_cmp_ne_u32_e32 vcc, 0, v28
	v_xor_b32_e32 v28, vcc_hi, v64
	v_lshl_add_u32 v61, v30, 2, v27
	v_mov_b32_e32 v27, 0
	v_and_b32_e32 v64, exec_hi, v28
	v_lshlrev_b32_e32 v28, 30, v29
	v_xor_b32_e32 v62, vcc_lo, v62
	v_cmp_gt_i64_e32 vcc, 0, v[27:28]
	v_not_b32_e32 v28, v28
	v_ashrrev_i32_e32 v28, 31, v28
	v_and_b32_e32 v62, exec_lo, v62
	v_xor_b32_e32 v65, vcc_hi, v28
	v_xor_b32_e32 v28, vcc_lo, v28
	v_and_b32_e32 v62, v62, v28
	v_lshlrev_b32_e32 v28, 29, v29
	v_cmp_gt_i64_e32 vcc, 0, v[27:28]
	v_not_b32_e32 v28, v28
	v_ashrrev_i32_e32 v28, 31, v28
	v_and_b32_e32 v64, v64, v65
	v_xor_b32_e32 v65, vcc_hi, v28
	v_xor_b32_e32 v28, vcc_lo, v28
	v_and_b32_e32 v62, v62, v28
	v_lshlrev_b32_e32 v28, 28, v29
	v_cmp_gt_i64_e32 vcc, 0, v[27:28]
	v_not_b32_e32 v28, v28
	v_ashrrev_i32_e32 v28, 31, v28
	v_and_b32_e32 v64, v64, v65
	;; [unrolled: 8-line block ×5, first 2 shown]
	v_xor_b32_e32 v65, vcc_hi, v28
	v_xor_b32_e32 v28, vcc_lo, v28
	v_and_b32_e32 v62, v62, v28
	v_lshlrev_b32_e32 v28, 24, v29
	v_cmp_gt_i64_e32 vcc, 0, v[27:28]
	v_not_b32_e32 v28, v28
	v_ashrrev_i32_e32 v28, 31, v28
	v_xor_b32_e32 v29, vcc_hi, v28
	v_xor_b32_e32 v28, vcc_lo, v28
	ds_read_b32 v60, v61 offset:16
	v_and_b32_e32 v64, v64, v65
	v_and_b32_e32 v28, v62, v28
	;; [unrolled: 1-line block ×3, first 2 shown]
	v_mbcnt_lo_u32_b32 v62, v28, 0
	v_mbcnt_hi_u32_b32 v62, v29, v62
	v_cmp_ne_u64_e32 vcc, 0, v[28:29]
	v_cmp_eq_u32_e64 s[26:27], 0, v62
	s_and_b64 s[30:31], vcc, s[26:27]
	; wave barrier
	s_and_saveexec_b64 s[26:27], s[30:31]
	s_cbranch_execz .LBB150_43
; %bb.42:
	v_bcnt_u32_b32 v28, v28, 0
	v_bcnt_u32_b32 v28, v29, v28
	s_waitcnt lgkmcnt(0)
	v_add_u32_e32 v28, v60, v28
	ds_write_b32 v61, v28 offset:16
.LBB150_43:
	s_or_b64 exec, exec, s[26:27]
	v_cmp_gt_i64_e32 vcc, 0, v[15:16]
	v_ashrrev_i32_e32 v29, 31, v16
	v_cndmask_b32_e64 v28, v63, 0, vcc
	v_not_b32_e32 v29, v29
	v_xor_b32_e32 v16, v28, v16
	v_xor_b32_e32 v15, v29, v15
	v_cmp_ne_u64_e32 vcc, s[28:29], v[15:16]
	v_cndmask_b32_e32 v29, v63, v16, vcc
	v_cndmask_b32_e32 v28, -1, v15, vcc
	v_lshrrev_b64 v[28:29], s68, v[28:29]
	; wave barrier
	v_and_b32_e32 v29, s73, v28
	v_mul_lo_u32 v28, v29, 20
	v_lshl_add_u32 v64, v30, 2, v28
	v_and_b32_e32 v28, 1, v29
	v_add_co_u32_e32 v65, vcc, -1, v28
	v_addc_co_u32_e64 v66, s[26:27], 0, -1, vcc
	v_cmp_ne_u32_e32 vcc, 0, v28
	v_xor_b32_e32 v28, vcc_hi, v66
	v_and_b32_e32 v66, exec_hi, v28
	v_lshlrev_b32_e32 v28, 30, v29
	v_xor_b32_e32 v65, vcc_lo, v65
	v_cmp_gt_i64_e32 vcc, 0, v[27:28]
	v_not_b32_e32 v28, v28
	v_ashrrev_i32_e32 v28, 31, v28
	v_and_b32_e32 v65, exec_lo, v65
	v_xor_b32_e32 v67, vcc_hi, v28
	v_xor_b32_e32 v28, vcc_lo, v28
	v_and_b32_e32 v65, v65, v28
	v_lshlrev_b32_e32 v28, 29, v29
	v_cmp_gt_i64_e32 vcc, 0, v[27:28]
	v_not_b32_e32 v28, v28
	v_ashrrev_i32_e32 v28, 31, v28
	v_and_b32_e32 v66, v66, v67
	v_xor_b32_e32 v67, vcc_hi, v28
	v_xor_b32_e32 v28, vcc_lo, v28
	v_and_b32_e32 v65, v65, v28
	v_lshlrev_b32_e32 v28, 28, v29
	v_cmp_gt_i64_e32 vcc, 0, v[27:28]
	v_not_b32_e32 v28, v28
	v_ashrrev_i32_e32 v28, 31, v28
	v_and_b32_e32 v66, v66, v67
	;; [unrolled: 8-line block ×5, first 2 shown]
	v_xor_b32_e32 v67, vcc_hi, v28
	v_xor_b32_e32 v28, vcc_lo, v28
	v_and_b32_e32 v65, v65, v28
	v_lshlrev_b32_e32 v28, 24, v29
	v_cmp_gt_i64_e32 vcc, 0, v[27:28]
	v_not_b32_e32 v27, v28
	v_ashrrev_i32_e32 v27, 31, v27
	v_xor_b32_e32 v28, vcc_hi, v27
	v_xor_b32_e32 v27, vcc_lo, v27
	ds_read_b32 v63, v64 offset:16
	v_and_b32_e32 v66, v66, v67
	v_and_b32_e32 v27, v65, v27
	;; [unrolled: 1-line block ×3, first 2 shown]
	v_mbcnt_lo_u32_b32 v29, v27, 0
	v_mbcnt_hi_u32_b32 v65, v28, v29
	v_cmp_ne_u64_e32 vcc, 0, v[27:28]
	v_cmp_eq_u32_e64 s[26:27], 0, v65
	s_and_b64 s[28:29], vcc, s[26:27]
	; wave barrier
	s_and_saveexec_b64 s[26:27], s[28:29]
	s_cbranch_execz .LBB150_45
; %bb.44:
	v_bcnt_u32_b32 v27, v27, 0
	v_bcnt_u32_b32 v27, v28, v27
	s_waitcnt lgkmcnt(0)
	v_add_u32_e32 v27, v63, v27
	ds_write_b32 v64, v27 offset:16
.LBB150_45:
	s_or_b64 exec, exec, s[26:27]
	v_cmp_gt_i64_e32 vcc, 0, v[11:12]
	v_bfrev_b32_e32 v69, -2
	v_ashrrev_i32_e32 v28, 31, v12
	s_mov_b32 s28, 0
	v_cndmask_b32_e64 v27, v69, 0, vcc
	v_not_b32_e32 v28, v28
	s_brev_b32 s29, 1
	v_xor_b32_e32 v12, v27, v12
	v_xor_b32_e32 v11, v28, v11
	v_cmp_ne_u64_e32 vcc, s[28:29], v[11:12]
	v_cndmask_b32_e32 v28, v69, v12, vcc
	v_cndmask_b32_e32 v27, -1, v11, vcc
	v_lshrrev_b64 v[27:28], s68, v[27:28]
	; wave barrier
	v_and_b32_e32 v29, s73, v27
	v_mul_lo_u32 v27, v29, 20
	v_and_b32_e32 v28, 1, v29
	v_add_co_u32_e32 v68, vcc, -1, v28
	v_addc_co_u32_e64 v70, s[26:27], 0, -1, vcc
	v_cmp_ne_u32_e32 vcc, 0, v28
	v_xor_b32_e32 v28, vcc_hi, v70
	v_lshl_add_u32 v67, v30, 2, v27
	v_mov_b32_e32 v27, 0
	v_and_b32_e32 v70, exec_hi, v28
	v_lshlrev_b32_e32 v28, 30, v29
	v_xor_b32_e32 v68, vcc_lo, v68
	v_cmp_gt_i64_e32 vcc, 0, v[27:28]
	v_not_b32_e32 v28, v28
	v_ashrrev_i32_e32 v28, 31, v28
	v_and_b32_e32 v68, exec_lo, v68
	v_xor_b32_e32 v71, vcc_hi, v28
	v_xor_b32_e32 v28, vcc_lo, v28
	v_and_b32_e32 v68, v68, v28
	v_lshlrev_b32_e32 v28, 29, v29
	v_cmp_gt_i64_e32 vcc, 0, v[27:28]
	v_not_b32_e32 v28, v28
	v_ashrrev_i32_e32 v28, 31, v28
	v_and_b32_e32 v70, v70, v71
	v_xor_b32_e32 v71, vcc_hi, v28
	v_xor_b32_e32 v28, vcc_lo, v28
	v_and_b32_e32 v68, v68, v28
	v_lshlrev_b32_e32 v28, 28, v29
	v_cmp_gt_i64_e32 vcc, 0, v[27:28]
	v_not_b32_e32 v28, v28
	v_ashrrev_i32_e32 v28, 31, v28
	v_and_b32_e32 v70, v70, v71
	;; [unrolled: 8-line block ×5, first 2 shown]
	v_xor_b32_e32 v71, vcc_hi, v28
	v_xor_b32_e32 v28, vcc_lo, v28
	v_and_b32_e32 v68, v68, v28
	v_lshlrev_b32_e32 v28, 24, v29
	v_cmp_gt_i64_e32 vcc, 0, v[27:28]
	v_not_b32_e32 v28, v28
	v_ashrrev_i32_e32 v28, 31, v28
	v_xor_b32_e32 v29, vcc_hi, v28
	v_xor_b32_e32 v28, vcc_lo, v28
	ds_read_b32 v66, v67 offset:16
	v_and_b32_e32 v70, v70, v71
	v_and_b32_e32 v28, v68, v28
	;; [unrolled: 1-line block ×3, first 2 shown]
	v_mbcnt_lo_u32_b32 v68, v28, 0
	v_mbcnt_hi_u32_b32 v68, v29, v68
	v_cmp_ne_u64_e32 vcc, 0, v[28:29]
	v_cmp_eq_u32_e64 s[26:27], 0, v68
	s_and_b64 s[30:31], vcc, s[26:27]
	; wave barrier
	s_and_saveexec_b64 s[26:27], s[30:31]
	s_cbranch_execz .LBB150_47
; %bb.46:
	v_bcnt_u32_b32 v28, v28, 0
	v_bcnt_u32_b32 v28, v29, v28
	s_waitcnt lgkmcnt(0)
	v_add_u32_e32 v28, v66, v28
	ds_write_b32 v67, v28 offset:16
.LBB150_47:
	s_or_b64 exec, exec, s[26:27]
	v_cmp_gt_i64_e32 vcc, 0, v[7:8]
	v_ashrrev_i32_e32 v29, 31, v8
	v_cndmask_b32_e64 v28, v69, 0, vcc
	v_not_b32_e32 v29, v29
	v_xor_b32_e32 v8, v28, v8
	v_xor_b32_e32 v7, v29, v7
	v_cmp_ne_u64_e32 vcc, s[28:29], v[7:8]
	v_cndmask_b32_e32 v29, v69, v8, vcc
	v_cndmask_b32_e32 v28, -1, v7, vcc
	v_lshrrev_b64 v[28:29], s68, v[28:29]
	; wave barrier
	v_and_b32_e32 v29, s73, v28
	v_mul_lo_u32 v28, v29, 20
	v_lshl_add_u32 v70, v30, 2, v28
	v_and_b32_e32 v28, 1, v29
	v_add_co_u32_e32 v30, vcc, -1, v28
	v_addc_co_u32_e64 v71, s[26:27], 0, -1, vcc
	v_cmp_ne_u32_e32 vcc, 0, v28
	v_xor_b32_e32 v28, vcc_hi, v71
	v_and_b32_e32 v71, exec_hi, v28
	v_lshlrev_b32_e32 v28, 30, v29
	v_xor_b32_e32 v30, vcc_lo, v30
	v_cmp_gt_i64_e32 vcc, 0, v[27:28]
	v_not_b32_e32 v28, v28
	v_ashrrev_i32_e32 v28, 31, v28
	v_and_b32_e32 v30, exec_lo, v30
	v_xor_b32_e32 v72, vcc_hi, v28
	v_xor_b32_e32 v28, vcc_lo, v28
	v_and_b32_e32 v30, v30, v28
	v_lshlrev_b32_e32 v28, 29, v29
	v_cmp_gt_i64_e32 vcc, 0, v[27:28]
	v_not_b32_e32 v28, v28
	v_ashrrev_i32_e32 v28, 31, v28
	v_and_b32_e32 v71, v71, v72
	v_xor_b32_e32 v72, vcc_hi, v28
	v_xor_b32_e32 v28, vcc_lo, v28
	v_and_b32_e32 v30, v30, v28
	v_lshlrev_b32_e32 v28, 28, v29
	v_cmp_gt_i64_e32 vcc, 0, v[27:28]
	v_not_b32_e32 v28, v28
	v_ashrrev_i32_e32 v28, 31, v28
	v_and_b32_e32 v71, v71, v72
	v_xor_b32_e32 v72, vcc_hi, v28
	v_xor_b32_e32 v28, vcc_lo, v28
	v_and_b32_e32 v30, v30, v28
	v_lshlrev_b32_e32 v28, 27, v29
	v_cmp_gt_i64_e32 vcc, 0, v[27:28]
	v_not_b32_e32 v28, v28
	v_ashrrev_i32_e32 v28, 31, v28
	v_and_b32_e32 v71, v71, v72
	v_xor_b32_e32 v72, vcc_hi, v28
	v_xor_b32_e32 v28, vcc_lo, v28
	v_and_b32_e32 v30, v30, v28
	v_lshlrev_b32_e32 v28, 26, v29
	v_cmp_gt_i64_e32 vcc, 0, v[27:28]
	v_not_b32_e32 v28, v28
	v_ashrrev_i32_e32 v28, 31, v28
	v_and_b32_e32 v71, v71, v72
	v_xor_b32_e32 v72, vcc_hi, v28
	v_xor_b32_e32 v28, vcc_lo, v28
	v_and_b32_e32 v30, v30, v28
	v_lshlrev_b32_e32 v28, 25, v29
	v_cmp_gt_i64_e32 vcc, 0, v[27:28]
	v_not_b32_e32 v28, v28
	v_ashrrev_i32_e32 v28, 31, v28
	v_and_b32_e32 v71, v71, v72
	v_xor_b32_e32 v72, vcc_hi, v28
	v_xor_b32_e32 v28, vcc_lo, v28
	v_and_b32_e32 v30, v30, v28
	v_lshlrev_b32_e32 v28, 24, v29
	v_cmp_gt_i64_e32 vcc, 0, v[27:28]
	v_not_b32_e32 v27, v28
	v_ashrrev_i32_e32 v27, 31, v27
	v_xor_b32_e32 v28, vcc_hi, v27
	v_xor_b32_e32 v27, vcc_lo, v27
	ds_read_b32 v69, v70 offset:16
	v_and_b32_e32 v71, v71, v72
	v_and_b32_e32 v27, v30, v27
	;; [unrolled: 1-line block ×3, first 2 shown]
	v_mbcnt_lo_u32_b32 v29, v27, 0
	v_mbcnt_hi_u32_b32 v71, v28, v29
	v_cmp_ne_u64_e32 vcc, 0, v[27:28]
	v_cmp_eq_u32_e64 s[26:27], 0, v71
	s_and_b64 s[28:29], vcc, s[26:27]
	; wave barrier
	s_and_saveexec_b64 s[26:27], s[28:29]
	s_cbranch_execz .LBB150_49
; %bb.48:
	v_bcnt_u32_b32 v27, v27, 0
	v_bcnt_u32_b32 v27, v28, v27
	s_waitcnt lgkmcnt(0)
	v_add_u32_e32 v27, v69, v27
	ds_write_b32 v70, v27 offset:16
.LBB150_49:
	s_or_b64 exec, exec, s[26:27]
	; wave barrier
	s_waitcnt lgkmcnt(0)
	s_barrier
	ds_read2_b32 v[29:30], v36 offset0:4 offset1:5
	ds_read2_b32 v[27:28], v36 offset0:6 offset1:7
	ds_read_b32 v72, v36 offset:32
	v_min_u32_e32 v35, 0xc0, v35
	v_or_b32_e32 v35, 63, v35
	s_waitcnt lgkmcnt(1)
	v_add3_u32 v73, v30, v29, v27
	s_waitcnt lgkmcnt(0)
	v_add3_u32 v72, v73, v28, v72
	v_and_b32_e32 v73, 15, v34
	v_cmp_ne_u32_e32 vcc, 0, v73
	v_mov_b32_dpp v74, v72 row_shr:1 row_mask:0xf bank_mask:0xf
	v_cndmask_b32_e32 v74, 0, v74, vcc
	v_add_u32_e32 v72, v74, v72
	v_cmp_lt_u32_e32 vcc, 1, v73
	s_nop 0
	v_mov_b32_dpp v74, v72 row_shr:2 row_mask:0xf bank_mask:0xf
	v_cndmask_b32_e32 v74, 0, v74, vcc
	v_add_u32_e32 v72, v72, v74
	v_cmp_lt_u32_e32 vcc, 3, v73
	s_nop 0
	;; [unrolled: 5-line block ×3, first 2 shown]
	v_mov_b32_dpp v74, v72 row_shr:8 row_mask:0xf bank_mask:0xf
	v_cndmask_b32_e32 v73, 0, v74, vcc
	v_add_u32_e32 v72, v72, v73
	v_bfe_i32 v74, v34, 4, 1
	v_cmp_lt_u32_e32 vcc, 31, v34
	v_mov_b32_dpp v73, v72 row_bcast:15 row_mask:0xf bank_mask:0xf
	v_and_b32_e32 v73, v74, v73
	v_add_u32_e32 v72, v72, v73
	s_nop 1
	v_mov_b32_dpp v73, v72 row_bcast:31 row_mask:0xf bank_mask:0xf
	v_cndmask_b32_e32 v73, 0, v73, vcc
	v_add_u32_e32 v72, v72, v73
	v_lshrrev_b32_e32 v73, 6, v0
	v_cmp_eq_u32_e32 vcc, v0, v35
	s_and_saveexec_b64 s[26:27], vcc
; %bb.50:
	v_lshlrev_b32_e32 v35, 2, v73
	ds_write_b32 v35, v72
; %bb.51:
	s_or_b64 exec, exec, s[26:27]
	v_cmp_gt_u32_e32 vcc, 4, v0
	s_waitcnt lgkmcnt(0)
	s_barrier
	s_and_saveexec_b64 s[26:27], vcc
	s_cbranch_execz .LBB150_53
; %bb.52:
	v_lshlrev_b32_e32 v35, 2, v0
	ds_read_b32 v74, v35
	v_and_b32_e32 v75, 3, v34
	v_cmp_ne_u32_e32 vcc, 0, v75
	s_waitcnt lgkmcnt(0)
	v_mov_b32_dpp v76, v74 row_shr:1 row_mask:0xf bank_mask:0xf
	v_cndmask_b32_e32 v76, 0, v76, vcc
	v_add_u32_e32 v74, v76, v74
	v_cmp_lt_u32_e32 vcc, 1, v75
	s_nop 0
	v_mov_b32_dpp v76, v74 row_shr:2 row_mask:0xf bank_mask:0xf
	v_cndmask_b32_e32 v75, 0, v76, vcc
	v_add_u32_e32 v74, v74, v75
	ds_write_b32 v35, v74
.LBB150_53:
	s_or_b64 exec, exec, s[26:27]
	v_cmp_lt_u32_e32 vcc, 63, v0
	v_mov_b32_e32 v35, 0
	s_waitcnt lgkmcnt(0)
	s_barrier
	s_and_saveexec_b64 s[26:27], vcc
; %bb.54:
	v_lshl_add_u32 v35, v73, 2, -4
	ds_read_b32 v35, v35
; %bb.55:
	s_or_b64 exec, exec, s[26:27]
	v_add_u32_e32 v73, -1, v34
	v_and_b32_e32 v74, 64, v34
	v_cmp_lt_i32_e32 vcc, v73, v74
	v_cndmask_b32_e32 v73, v73, v34, vcc
	s_waitcnt lgkmcnt(0)
	v_add_u32_e32 v72, v35, v72
	v_lshlrev_b32_e32 v73, 2, v73
	ds_bpermute_b32 v72, v73, v72
	v_cmp_eq_u32_e32 vcc, 0, v34
	s_movk_i32 s26, 0x100
	s_waitcnt lgkmcnt(0)
	v_cndmask_b32_e32 v34, v72, v35, vcc
	v_cmp_ne_u32_e32 vcc, 0, v0
	v_cndmask_b32_e32 v34, 0, v34, vcc
	v_add_u32_e32 v29, v34, v29
	v_add_u32_e32 v30, v29, v30
	;; [unrolled: 1-line block ×4, first 2 shown]
	ds_write2_b32 v36, v34, v29 offset0:4 offset1:5
	ds_write2_b32 v36, v30, v27 offset0:6 offset1:7
	ds_write_b32 v36, v28 offset:32
	s_waitcnt lgkmcnt(0)
	s_barrier
	ds_read_b32 v58, v58 offset:16
	ds_read_b32 v34, v61 offset:16
	;; [unrolled: 1-line block ×13, first 2 shown]
	v_add_u32_e32 v36, 1, v0
	v_cmp_ne_u32_e32 vcc, s26, v36
	v_mov_b32_e32 v49, 0xc00
	s_and_saveexec_b64 s[26:27], vcc
; %bb.56:
	v_mul_u32_u24_e32 v36, 20, v36
	ds_read_b32 v49, v36 offset:16
; %bb.57:
	s_or_b64 exec, exec, s[26:27]
	v_lshlrev_b32_e32 v36, 3, v37
	s_waitcnt lgkmcnt(7)
	v_lshl_add_u32 v35, v35, 3, v36
	s_waitcnt lgkmcnt(0)
	s_barrier
	ds_write_b64 v35, v[3:4] offset:2048
	v_lshlrev_b32_e32 v3, 3, v64
	v_lshlrev_b32_e32 v4, 3, v41
	;; [unrolled: 1-line block ×3, first 2 shown]
	v_add3_u32 v36, v3, v4, v36
	ds_write_b64 v36, v[5:6] offset:2048
	v_lshlrev_b32_e32 v3, 3, v61
	v_lshlrev_b32_e32 v4, 3, v44
	v_lshlrev_b32_e32 v5, 3, v42
	v_add3_u32 v37, v3, v4, v5
	v_lshlrev_b32_e32 v3, 3, v38
	v_lshlrev_b32_e32 v4, 3, v47
	v_lshlrev_b32_e32 v5, 3, v45
	v_add3_u32 v38, v3, v4, v5
	;; [unrolled: 4-line block ×10, first 2 shown]
	v_lshl_or_b32 v5, s6, 8, v0
	v_mov_b32_e32 v6, 0
	v_lshlrev_b64 v[3:4], 2, v[5:6]
	ds_write_b64 v37, v[9:10] offset:2048
	v_sub_u32_e32 v30, v49, v29
	v_mov_b32_e32 v9, s55
	v_add_co_u32_e32 v3, vcc, s54, v3
	v_addc_co_u32_e32 v4, vcc, v9, v4, vcc
	v_or_b32_e32 v5, 2.0, v30
	s_mov_b64 s[26:27], 0
	s_brev_b32 s34, -4
	s_mov_b32 s35, s7
	v_mov_b32_e32 v10, 0
	ds_write_b64 v38, v[13:14] offset:2048
	ds_write_b64 v39, v[17:18] offset:2048
	;; [unrolled: 1-line block ×9, first 2 shown]
	s_waitcnt lgkmcnt(0)
	s_barrier
	global_store_dword v[3:4], v5, off
                                        ; implicit-def: $sgpr28_sgpr29
	s_branch .LBB150_60
.LBB150_58:                             ;   in Loop: Header=BB150_60 Depth=1
	s_or_b64 exec, exec, s[30:31]
.LBB150_59:                             ;   in Loop: Header=BB150_60 Depth=1
	s_or_b64 exec, exec, s[28:29]
	v_and_b32_e32 v7, 0x3fffffff, v5
	v_add_u32_e32 v10, v7, v10
	v_cmp_gt_i32_e64 s[28:29], -2.0, v5
	s_and_b64 s[30:31], exec, s[28:29]
	s_or_b64 s[26:27], s[30:31], s[26:27]
	s_andn2_b64 exec, exec, s[26:27]
	s_cbranch_execz .LBB150_65
.LBB150_60:                             ; =>This Loop Header: Depth=1
                                        ;     Child Loop BB150_63 Depth 2
	s_or_b64 s[28:29], s[28:29], exec
	s_cmp_eq_u32 s35, 0
	s_cbranch_scc1 .LBB150_64
; %bb.61:                               ;   in Loop: Header=BB150_60 Depth=1
	s_add_i32 s35, s35, -1
	v_lshl_or_b32 v5, s35, 8, v0
	v_lshlrev_b64 v[7:8], 2, v[5:6]
	v_add_co_u32_e32 v7, vcc, s54, v7
	v_addc_co_u32_e32 v8, vcc, v9, v8, vcc
	global_load_dword v5, v[7:8], off glc
	s_waitcnt vmcnt(0)
	v_cmp_gt_u32_e32 vcc, 2.0, v5
	s_and_saveexec_b64 s[28:29], vcc
	s_cbranch_execz .LBB150_59
; %bb.62:                               ;   in Loop: Header=BB150_60 Depth=1
	s_mov_b64 s[30:31], 0
.LBB150_63:                             ;   Parent Loop BB150_60 Depth=1
                                        ; =>  This Inner Loop Header: Depth=2
	global_load_dword v5, v[7:8], off glc
	s_waitcnt vmcnt(0)
	v_cmp_lt_u32_e32 vcc, s34, v5
	s_or_b64 s[30:31], vcc, s[30:31]
	s_andn2_b64 exec, exec, s[30:31]
	s_cbranch_execnz .LBB150_63
	s_branch .LBB150_58
.LBB150_64:                             ;   in Loop: Header=BB150_60 Depth=1
                                        ; implicit-def: $sgpr35
	s_and_b64 s[30:31], exec, s[28:29]
	s_or_b64 s[26:27], s[30:31], s[26:27]
	s_andn2_b64 exec, exec, s[26:27]
	s_cbranch_execnz .LBB150_60
.LBB150_65:
	s_or_b64 exec, exec, s[26:27]
	v_add_u32_e32 v5, v10, v30
	v_or_b32_e32 v5, 0x80000000, v5
	v_lshlrev_b32_e32 v34, 3, v0
	global_store_dword v[3:4], v5, off
	global_load_dwordx2 v[3:4], v34, s[64:65]
	v_sub_co_u32_e32 v5, vcc, v10, v29
	v_subb_co_u32_e64 v6, s[26:27], 0, 0, vcc
	s_brev_b32 s31, 1
	v_cmp_gt_u32_e64 s[26:27], s74, v0
	s_waitcnt vmcnt(0)
	v_add_co_u32_e32 v3, vcc, v5, v3
	v_addc_co_u32_e32 v4, vcc, v6, v4, vcc
	ds_write_b64 v34, v[3:4]
	s_waitcnt lgkmcnt(0)
	s_barrier
	s_and_saveexec_b64 s[28:29], s[26:27]
	s_cbranch_execz .LBB150_67
; %bb.66:
	ds_read_b64 v[3:4], v34 offset:2048
	s_mov_b32 s30, 0
	v_bfrev_b32_e32 v7, -2
	v_mov_b32_e32 v8, s59
	s_waitcnt lgkmcnt(0)
	v_cmp_ne_u64_e32 vcc, s[30:31], v[3:4]
	v_ashrrev_i32_e32 v9, 31, v4
	v_cndmask_b32_e32 v6, v7, v4, vcc
	v_cndmask_b32_e32 v5, -1, v3, vcc
	v_lshrrev_b64 v[5:6], s68, v[5:6]
	v_cmp_gt_i64_e32 vcc, 0, v[3:4]
	v_and_b32_e32 v5, s73, v5
	v_lshlrev_b32_e32 v5, 3, v5
	ds_read_b64 v[5:6], v5
	v_cndmask_b32_e64 v7, v7, 0, vcc
	v_not_b32_e32 v9, v9
	v_xor_b32_e32 v4, v7, v4
	v_xor_b32_e32 v3, v9, v3
	s_waitcnt lgkmcnt(0)
	v_lshlrev_b64 v[5:6], 3, v[5:6]
	v_add_co_u32_e32 v5, vcc, s58, v5
	v_addc_co_u32_e32 v6, vcc, v8, v6, vcc
	v_add_co_u32_e32 v5, vcc, v5, v34
	v_addc_co_u32_e32 v6, vcc, 0, v6, vcc
	global_store_dwordx2 v[5:6], v[3:4], off
.LBB150_67:
	s_or_b64 exec, exec, s[28:29]
	v_or_b32_e32 v3, 0x100, v0
	v_cmp_gt_u32_e64 s[28:29], s74, v3
	s_and_saveexec_b64 s[30:31], s[28:29]
	s_cbranch_execz .LBB150_69
; %bb.68:
	ds_read_b64 v[3:4], v34 offset:4096
	s_mov_b32 s34, 0
	s_brev_b32 s35, 1
	v_bfrev_b32_e32 v7, -2
	s_waitcnt lgkmcnt(0)
	v_cmp_ne_u64_e32 vcc, s[34:35], v[3:4]
	v_ashrrev_i32_e32 v8, 31, v4
	v_cndmask_b32_e32 v6, v7, v4, vcc
	v_cndmask_b32_e32 v5, -1, v3, vcc
	v_lshrrev_b64 v[5:6], s68, v[5:6]
	v_cmp_gt_i64_e32 vcc, 0, v[3:4]
	v_and_b32_e32 v5, s73, v5
	v_lshlrev_b32_e32 v5, 3, v5
	ds_read_b64 v[5:6], v5
	v_cndmask_b32_e64 v7, v7, 0, vcc
	v_xor_b32_e32 v4, v7, v4
	v_mov_b32_e32 v7, s59
	v_not_b32_e32 v8, v8
	s_waitcnt lgkmcnt(0)
	v_lshlrev_b64 v[5:6], 3, v[5:6]
	v_xor_b32_e32 v3, v8, v3
	v_add_co_u32_e32 v5, vcc, s58, v5
	v_addc_co_u32_e32 v6, vcc, v7, v6, vcc
	v_add_co_u32_e32 v5, vcc, v5, v34
	v_addc_co_u32_e32 v6, vcc, 0, v6, vcc
	global_store_dwordx2 v[5:6], v[3:4], off offset:2048
.LBB150_69:
	s_or_b64 exec, exec, s[30:31]
	v_or_b32_e32 v47, 0x200, v0
	v_cmp_gt_u32_e64 s[30:31], s74, v47
	s_and_saveexec_b64 s[34:35], s[30:31]
	s_cbranch_execz .LBB150_71
; %bb.70:
	ds_read_b64 v[3:4], v34 offset:6144
	s_mov_b32 s36, 0
	s_brev_b32 s37, 1
	v_bfrev_b32_e32 v7, -2
	s_waitcnt lgkmcnt(0)
	v_cmp_ne_u64_e32 vcc, s[36:37], v[3:4]
	v_ashrrev_i32_e32 v8, 31, v4
	v_cndmask_b32_e32 v6, v7, v4, vcc
	v_cndmask_b32_e32 v5, -1, v3, vcc
	v_lshrrev_b64 v[5:6], s68, v[5:6]
	v_cmp_gt_i64_e32 vcc, 0, v[3:4]
	v_and_b32_e32 v5, s73, v5
	v_lshlrev_b32_e32 v5, 3, v5
	ds_read_b64 v[5:6], v5
	v_cndmask_b32_e64 v7, v7, 0, vcc
	v_xor_b32_e32 v4, v7, v4
	v_mov_b32_e32 v7, s59
	v_not_b32_e32 v8, v8
	s_waitcnt lgkmcnt(0)
	v_lshlrev_b64 v[5:6], 3, v[5:6]
	v_xor_b32_e32 v3, v8, v3
	v_add_co_u32_e32 v5, vcc, s58, v5
	v_addc_co_u32_e32 v6, vcc, v7, v6, vcc
	v_lshlrev_b32_e32 v7, 3, v47
	v_add_co_u32_e32 v5, vcc, v5, v7
	v_addc_co_u32_e32 v6, vcc, 0, v6, vcc
	global_store_dwordx2 v[5:6], v[3:4], off
.LBB150_71:
	s_or_b64 exec, exec, s[34:35]
	v_or_b32_e32 v48, 0x300, v0
	v_cmp_gt_u32_e64 s[34:35], s74, v48
	s_and_saveexec_b64 s[36:37], s[34:35]
	s_cbranch_execz .LBB150_73
; %bb.72:
	ds_read_b64 v[3:4], v34 offset:8192
	s_mov_b32 s38, 0
	s_brev_b32 s39, 1
	v_bfrev_b32_e32 v7, -2
	s_waitcnt lgkmcnt(0)
	v_cmp_ne_u64_e32 vcc, s[38:39], v[3:4]
	v_ashrrev_i32_e32 v8, 31, v4
	v_cndmask_b32_e32 v6, v7, v4, vcc
	v_cndmask_b32_e32 v5, -1, v3, vcc
	v_lshrrev_b64 v[5:6], s68, v[5:6]
	v_cmp_gt_i64_e32 vcc, 0, v[3:4]
	v_and_b32_e32 v5, s73, v5
	v_lshlrev_b32_e32 v5, 3, v5
	ds_read_b64 v[5:6], v5
	v_cndmask_b32_e64 v7, v7, 0, vcc
	v_xor_b32_e32 v4, v7, v4
	v_mov_b32_e32 v7, s59
	v_not_b32_e32 v8, v8
	s_waitcnt lgkmcnt(0)
	v_lshlrev_b64 v[5:6], 3, v[5:6]
	v_xor_b32_e32 v3, v8, v3
	v_add_co_u32_e32 v5, vcc, s58, v5
	v_addc_co_u32_e32 v6, vcc, v7, v6, vcc
	v_lshlrev_b32_e32 v7, 3, v48
	v_add_co_u32_e32 v5, vcc, v5, v7
	v_addc_co_u32_e32 v6, vcc, 0, v6, vcc
	global_store_dwordx2 v[5:6], v[3:4], off
.LBB150_73:
	;; [unrolled: 34-line block ×10, first 2 shown]
	s_or_b64 exec, exec, s[74:75]
	s_add_u32 s70, s60, s70
	s_addc_u32 s71, s61, s71
	v_mov_b32_e32 v3, s71
	v_add_co_u32_e32 v4, vcc, s70, v32
	v_addc_co_u32_e32 v3, vcc, 0, v3, vcc
	v_add_co_u32_e32 v27, vcc, v4, v33
	v_addc_co_u32_e32 v28, vcc, 0, v3, vcc
                                        ; implicit-def: $vgpr3_vgpr4
	s_and_saveexec_b64 s[70:71], s[0:1]
	s_xor_b64 s[0:1], exec, s[70:71]
	s_cbranch_execz .LBB150_101
; %bb.90:
	global_load_dwordx2 v[3:4], v[27:28], off
	s_or_b64 exec, exec, s[0:1]
                                        ; implicit-def: $vgpr5_vgpr6
	s_and_saveexec_b64 s[0:1], s[2:3]
	s_cbranch_execnz .LBB150_102
.LBB150_91:
	s_or_b64 exec, exec, s[0:1]
                                        ; implicit-def: $vgpr7_vgpr8
	s_and_saveexec_b64 s[0:1], s[52:53]
	s_cbranch_execz .LBB150_103
.LBB150_92:
	global_load_dwordx2 v[7:8], v[27:28], off offset:1024
	s_or_b64 exec, exec, s[0:1]
                                        ; implicit-def: $vgpr9_vgpr10
	s_and_saveexec_b64 s[0:1], s[8:9]
	s_cbranch_execnz .LBB150_104
.LBB150_93:
	s_or_b64 exec, exec, s[0:1]
                                        ; implicit-def: $vgpr11_vgpr12
	s_and_saveexec_b64 s[0:1], s[10:11]
	s_cbranch_execz .LBB150_105
.LBB150_94:
	global_load_dwordx2 v[11:12], v[27:28], off offset:2048
	s_or_b64 exec, exec, s[0:1]
                                        ; implicit-def: $vgpr13_vgpr14
	s_and_saveexec_b64 s[0:1], s[12:13]
	s_cbranch_execnz .LBB150_106
.LBB150_95:
	s_or_b64 exec, exec, s[0:1]
                                        ; implicit-def: $vgpr15_vgpr16
	s_and_saveexec_b64 s[0:1], s[14:15]
	s_cbranch_execz .LBB150_107
.LBB150_96:
	global_load_dwordx2 v[15:16], v[27:28], off offset:3072
	s_or_b64 exec, exec, s[0:1]
                                        ; implicit-def: $vgpr17_vgpr18
	s_and_saveexec_b64 s[0:1], s[16:17]
	s_cbranch_execnz .LBB150_108
.LBB150_97:
	s_or_b64 exec, exec, s[0:1]
                                        ; implicit-def: $vgpr19_vgpr20
	s_and_saveexec_b64 s[0:1], s[18:19]
	s_cbranch_execz .LBB150_109
.LBB150_98:
	v_add_co_u32_e32 v19, vcc, 0x1000, v27
	v_addc_co_u32_e32 v20, vcc, 0, v28, vcc
	global_load_dwordx2 v[19:20], v[19:20], off
	s_or_b64 exec, exec, s[0:1]
                                        ; implicit-def: $vgpr21_vgpr22
	s_and_saveexec_b64 s[0:1], s[20:21]
	s_cbranch_execnz .LBB150_110
.LBB150_99:
	s_or_b64 exec, exec, s[0:1]
                                        ; implicit-def: $vgpr23_vgpr24
	s_and_saveexec_b64 s[0:1], s[22:23]
	s_cbranch_execz .LBB150_111
.LBB150_100:
	v_add_co_u32_e32 v23, vcc, 0x1000, v27
	v_addc_co_u32_e32 v24, vcc, 0, v28, vcc
	global_load_dwordx2 v[23:24], v[23:24], off offset:1024
	s_or_b64 exec, exec, s[0:1]
                                        ; implicit-def: $vgpr25_vgpr26
	s_and_saveexec_b64 s[0:1], s[24:25]
	s_cbranch_execnz .LBB150_112
	s_branch .LBB150_113
.LBB150_101:
	s_or_b64 exec, exec, s[0:1]
                                        ; implicit-def: $vgpr5_vgpr6
	s_and_saveexec_b64 s[0:1], s[2:3]
	s_cbranch_execz .LBB150_91
.LBB150_102:
	global_load_dwordx2 v[5:6], v[27:28], off offset:512
	s_or_b64 exec, exec, s[0:1]
                                        ; implicit-def: $vgpr7_vgpr8
	s_and_saveexec_b64 s[0:1], s[52:53]
	s_cbranch_execnz .LBB150_92
.LBB150_103:
	s_or_b64 exec, exec, s[0:1]
                                        ; implicit-def: $vgpr9_vgpr10
	s_and_saveexec_b64 s[0:1], s[8:9]
	s_cbranch_execz .LBB150_93
.LBB150_104:
	global_load_dwordx2 v[9:10], v[27:28], off offset:1536
	s_or_b64 exec, exec, s[0:1]
                                        ; implicit-def: $vgpr11_vgpr12
	s_and_saveexec_b64 s[0:1], s[10:11]
	s_cbranch_execnz .LBB150_94
.LBB150_105:
	s_or_b64 exec, exec, s[0:1]
                                        ; implicit-def: $vgpr13_vgpr14
	s_and_saveexec_b64 s[0:1], s[12:13]
	s_cbranch_execz .LBB150_95
.LBB150_106:
	global_load_dwordx2 v[13:14], v[27:28], off offset:2560
	s_or_b64 exec, exec, s[0:1]
                                        ; implicit-def: $vgpr15_vgpr16
	s_and_saveexec_b64 s[0:1], s[14:15]
	s_cbranch_execnz .LBB150_96
.LBB150_107:
	s_or_b64 exec, exec, s[0:1]
                                        ; implicit-def: $vgpr17_vgpr18
	s_and_saveexec_b64 s[0:1], s[16:17]
	s_cbranch_execz .LBB150_97
.LBB150_108:
	global_load_dwordx2 v[17:18], v[27:28], off offset:3584
	s_or_b64 exec, exec, s[0:1]
                                        ; implicit-def: $vgpr19_vgpr20
	s_and_saveexec_b64 s[0:1], s[18:19]
	s_cbranch_execnz .LBB150_98
.LBB150_109:
	s_or_b64 exec, exec, s[0:1]
                                        ; implicit-def: $vgpr21_vgpr22
	s_and_saveexec_b64 s[0:1], s[20:21]
	s_cbranch_execz .LBB150_99
.LBB150_110:
	v_add_co_u32_e32 v21, vcc, 0x1000, v27
	v_addc_co_u32_e32 v22, vcc, 0, v28, vcc
	global_load_dwordx2 v[21:22], v[21:22], off offset:512
	s_or_b64 exec, exec, s[0:1]
                                        ; implicit-def: $vgpr23_vgpr24
	s_and_saveexec_b64 s[0:1], s[22:23]
	s_cbranch_execnz .LBB150_100
.LBB150_111:
	s_or_b64 exec, exec, s[0:1]
                                        ; implicit-def: $vgpr25_vgpr26
	s_and_saveexec_b64 s[0:1], s[24:25]
	s_cbranch_execz .LBB150_113
.LBB150_112:
	v_add_co_u32_e32 v25, vcc, 0x1000, v27
	v_addc_co_u32_e32 v26, vcc, 0, v28, vcc
	global_load_dwordx2 v[25:26], v[25:26], off offset:1536
.LBB150_113:
	s_or_b64 exec, exec, s[0:1]
	v_mov_b32_e32 v27, 0
	v_mov_b32_e32 v58, 0
	s_and_saveexec_b64 s[0:1], s[26:27]
	s_cbranch_execz .LBB150_115
; %bb.114:
	ds_read_b64 v[32:33], v34 offset:2048
	s_mov_b32 s2, 0
	s_brev_b32 s3, 1
	v_bfrev_b32_e32 v28, -2
	s_waitcnt lgkmcnt(0)
	v_cmp_ne_u64_e32 vcc, s[2:3], v[32:33]
	v_cndmask_b32_e32 v33, v28, v33, vcc
	v_cndmask_b32_e32 v32, -1, v32, vcc
	v_lshrrev_b64 v[32:33], s68, v[32:33]
	v_and_b32_e32 v58, s73, v32
.LBB150_115:
	s_or_b64 exec, exec, s[0:1]
	s_and_saveexec_b64 s[0:1], s[28:29]
	s_cbranch_execz .LBB150_117
; %bb.116:
	ds_read_b64 v[27:28], v34 offset:4096
	s_mov_b32 s2, 0
	s_brev_b32 s3, 1
	v_bfrev_b32_e32 v32, -2
	s_waitcnt lgkmcnt(0)
	v_cmp_ne_u64_e32 vcc, s[2:3], v[27:28]
	v_cndmask_b32_e32 v28, v32, v28, vcc
	v_cndmask_b32_e32 v27, -1, v27, vcc
	v_lshrrev_b64 v[27:28], s68, v[27:28]
	v_and_b32_e32 v27, s73, v27
.LBB150_117:
	s_or_b64 exec, exec, s[0:1]
	v_mov_b32_e32 v28, 0
	v_mov_b32_e32 v60, 0
	s_and_saveexec_b64 s[0:1], s[30:31]
	s_cbranch_execz .LBB150_119
; %bb.118:
	ds_read_b64 v[32:33], v34 offset:6144
	s_mov_b32 s2, 0
	s_brev_b32 s3, 1
	v_bfrev_b32_e32 v57, -2
	s_waitcnt lgkmcnt(0)
	v_cmp_ne_u64_e32 vcc, s[2:3], v[32:33]
	v_cndmask_b32_e32 v33, v57, v33, vcc
	v_cndmask_b32_e32 v32, -1, v32, vcc
	v_lshrrev_b64 v[32:33], s68, v[32:33]
	v_and_b32_e32 v60, s73, v32
.LBB150_119:
	s_or_b64 exec, exec, s[0:1]
	s_and_saveexec_b64 s[0:1], s[34:35]
	s_cbranch_execz .LBB150_121
; %bb.120:
	ds_read_b64 v[32:33], v34 offset:8192
	s_mov_b32 s2, 0
	s_brev_b32 s3, 1
	v_bfrev_b32_e32 v28, -2
	s_waitcnt lgkmcnt(0)
	v_cmp_ne_u64_e32 vcc, s[2:3], v[32:33]
	v_cndmask_b32_e32 v33, v28, v33, vcc
	v_cndmask_b32_e32 v32, -1, v32, vcc
	v_lshrrev_b64 v[32:33], s68, v[32:33]
	v_and_b32_e32 v28, s73, v32
.LBB150_121:
	;; [unrolled: 32-line block ×6, first 2 shown]
	s_or_b64 exec, exec, s[0:1]
	s_waitcnt vmcnt(0)
	s_barrier
	ds_write_b64 v35, v[3:4] offset:2048
	ds_write_b64 v36, v[5:6] offset:2048
	;; [unrolled: 1-line block ×12, first 2 shown]
	s_waitcnt lgkmcnt(0)
	s_barrier
	s_and_saveexec_b64 s[0:1], s[26:27]
	s_cbranch_execz .LBB150_196
; %bb.138:
	v_lshlrev_b32_e32 v3, 3, v58
	ds_read_b64 v[3:4], v3
	ds_read_b64 v[5:6], v34 offset:2048
	v_mov_b32_e32 v7, s63
	s_waitcnt lgkmcnt(1)
	v_lshlrev_b64 v[3:4], 3, v[3:4]
	v_add_co_u32_e32 v3, vcc, s62, v3
	v_addc_co_u32_e32 v4, vcc, v7, v4, vcc
	v_add_co_u32_e32 v3, vcc, v3, v34
	v_addc_co_u32_e32 v4, vcc, 0, v4, vcc
	s_waitcnt lgkmcnt(0)
	global_store_dwordx2 v[3:4], v[5:6], off
	s_or_b64 exec, exec, s[0:1]
	s_and_saveexec_b64 s[0:1], s[28:29]
	s_cbranch_execnz .LBB150_197
.LBB150_139:
	s_or_b64 exec, exec, s[0:1]
	s_and_saveexec_b64 s[0:1], s[30:31]
	s_cbranch_execz .LBB150_198
.LBB150_140:
	v_lshlrev_b32_e32 v3, 3, v60
	ds_read_b64 v[3:4], v3
	ds_read_b64 v[5:6], v34 offset:6144
	v_mov_b32_e32 v7, s63
	s_waitcnt lgkmcnt(1)
	v_lshlrev_b64 v[3:4], 3, v[3:4]
	v_add_co_u32_e32 v3, vcc, s62, v3
	v_addc_co_u32_e32 v4, vcc, v7, v4, vcc
	v_lshlrev_b32_e32 v7, 3, v47
	v_add_co_u32_e32 v3, vcc, v3, v7
	v_addc_co_u32_e32 v4, vcc, 0, v4, vcc
	s_waitcnt lgkmcnt(0)
	global_store_dwordx2 v[3:4], v[5:6], off
	s_or_b64 exec, exec, s[0:1]
	s_and_saveexec_b64 s[0:1], s[34:35]
	s_cbranch_execnz .LBB150_199
.LBB150_141:
	s_or_b64 exec, exec, s[0:1]
	s_and_saveexec_b64 s[0:1], s[36:37]
	s_cbranch_execz .LBB150_200
.LBB150_142:
	v_lshlrev_b32_e32 v3, 3, v61
	ds_read_b64 v[3:4], v3
	ds_read_b64 v[5:6], v34 offset:10240
	v_mov_b32_e32 v7, s63
	s_waitcnt lgkmcnt(1)
	v_lshlrev_b64 v[3:4], 3, v[3:4]
	v_add_co_u32_e32 v3, vcc, s62, v3
	v_addc_co_u32_e32 v4, vcc, v7, v4, vcc
	v_lshlrev_b32_e32 v7, 3, v49
	v_add_co_u32_e32 v3, vcc, v3, v7
	v_addc_co_u32_e32 v4, vcc, 0, v4, vcc
	s_waitcnt lgkmcnt(0)
	global_store_dwordx2 v[3:4], v[5:6], off
	s_or_b64 exec, exec, s[0:1]
	s_and_saveexec_b64 s[0:1], s[38:39]
	s_cbranch_execnz .LBB150_201
.LBB150_143:
	s_or_b64 exec, exec, s[0:1]
	s_and_saveexec_b64 s[0:1], s[40:41]
	s_cbranch_execz .LBB150_202
.LBB150_144:
	v_lshlrev_b32_e32 v3, 3, v62
	ds_read_b64 v[3:4], v3
	ds_read_b64 v[5:6], v34 offset:14336
	v_mov_b32_e32 v7, s63
	s_waitcnt lgkmcnt(1)
	v_lshlrev_b64 v[3:4], 3, v[3:4]
	v_add_co_u32_e32 v3, vcc, s62, v3
	v_addc_co_u32_e32 v4, vcc, v7, v4, vcc
	v_lshlrev_b32_e32 v7, 3, v51
	v_add_co_u32_e32 v3, vcc, v3, v7
	v_addc_co_u32_e32 v4, vcc, 0, v4, vcc
	s_waitcnt lgkmcnt(0)
	global_store_dwordx2 v[3:4], v[5:6], off
	s_or_b64 exec, exec, s[0:1]
	s_and_saveexec_b64 s[0:1], s[42:43]
	s_cbranch_execnz .LBB150_203
.LBB150_145:
	s_or_b64 exec, exec, s[0:1]
	s_and_saveexec_b64 s[0:1], s[44:45]
	s_cbranch_execz .LBB150_204
.LBB150_146:
	v_lshlrev_b32_e32 v3, 3, v63
	ds_read_b64 v[3:4], v3
	ds_read_b64 v[5:6], v34 offset:18432
	v_mov_b32_e32 v7, s63
	s_waitcnt lgkmcnt(1)
	v_lshlrev_b64 v[3:4], 3, v[3:4]
	v_add_co_u32_e32 v3, vcc, s62, v3
	v_addc_co_u32_e32 v4, vcc, v7, v4, vcc
	v_lshlrev_b32_e32 v7, 3, v53
	v_add_co_u32_e32 v3, vcc, v3, v7
	v_addc_co_u32_e32 v4, vcc, 0, v4, vcc
	s_waitcnt lgkmcnt(0)
	global_store_dwordx2 v[3:4], v[5:6], off
	s_or_b64 exec, exec, s[0:1]
	s_and_saveexec_b64 s[0:1], s[46:47]
	s_cbranch_execnz .LBB150_205
.LBB150_147:
	s_or_b64 exec, exec, s[0:1]
	s_and_saveexec_b64 s[0:1], s[48:49]
	s_cbranch_execz .LBB150_206
.LBB150_148:
	v_lshlrev_b32_e32 v3, 3, v64
	ds_read_b64 v[3:4], v3
	ds_read_b64 v[5:6], v34 offset:22528
	v_mov_b32_e32 v7, s63
	s_waitcnt lgkmcnt(1)
	v_lshlrev_b64 v[3:4], 3, v[3:4]
	v_add_co_u32_e32 v3, vcc, s62, v3
	v_addc_co_u32_e32 v4, vcc, v7, v4, vcc
	v_lshlrev_b32_e32 v7, 3, v55
	v_add_co_u32_e32 v3, vcc, v3, v7
	v_addc_co_u32_e32 v4, vcc, 0, v4, vcc
	s_waitcnt lgkmcnt(0)
	global_store_dwordx2 v[3:4], v[5:6], off
	s_or_b64 exec, exec, s[0:1]
	s_and_saveexec_b64 s[0:1], s[50:51]
	s_cbranch_execnz .LBB150_207
.LBB150_149:
	s_or_b64 exec, exec, s[0:1]
	s_add_i32 s33, s33, -1
	s_cmp_eq_u32 s6, s33
	s_cbranch_scc0 .LBB150_151
.LBB150_150:
	ds_read_b64 v[3:4], v34
	v_add_co_u32_e32 v5, vcc, v30, v29
	v_addc_co_u32_e64 v6, s[0:1], 0, 0, vcc
	s_waitcnt lgkmcnt(0)
	v_add_co_u32_e32 v3, vcc, v5, v3
	v_addc_co_u32_e32 v4, vcc, v6, v4, vcc
	global_store_dwordx2 v34, v[3:4], s[66:67]
.LBB150_151:
	s_mov_b64 s[0:1], 0
.LBB150_152:
	s_and_b64 vcc, exec, s[0:1]
	s_cbranch_vccz .LBB150_195
; %bb.153:
	s_mov_b32 s73, 0
	s_lshl_b64 s[10:11], s[72:73], 3
	v_mbcnt_hi_u32_b32 v31, -1, v31
	s_add_u32 s0, s56, s10
	v_lshlrev_b32_e32 v29, 3, v31
	s_addc_u32 s1, s57, s11
	v_and_b32_e32 v33, 0xc0, v0
	v_add_co_u32_e32 v6, vcc, s0, v29
	s_load_dword s14, s[4:5], 0x50
	s_load_dword s0, s[4:5], 0x5c
	v_mul_u32_u24_e32 v3, 12, v33
	v_mov_b32_e32 v4, s1
	v_addc_co_u32_e32 v4, vcc, 0, v4, vcc
	v_lshlrev_b32_e32 v30, 3, v3
	v_add_co_u32_e32 v6, vcc, v6, v30
	v_addc_co_u32_e32 v7, vcc, 0, v4, vcc
	s_add_u32 s1, s4, 0x50
	global_load_dwordx2 v[27:28], v[6:7], off
	s_addc_u32 s2, s5, 0
	s_waitcnt lgkmcnt(0)
	s_lshr_b32 s4, s0, 16
	s_cmp_lt_u32 s6, s14
	s_cselect_b32 s0, 12, 18
	s_add_u32 s0, s1, s0
	v_mov_b32_e32 v5, 0
	s_addc_u32 s1, s2, 0
	global_load_ushort v34, v5, s[0:1]
	v_mul_u32_u24_e32 v32, 20, v0
	ds_write2_b32 v32, v5, v5 offset0:4 offset1:5
	ds_write2_b32 v32, v5, v5 offset0:6 offset1:7
	ds_write_b32 v32, v5 offset:32
	s_movk_i32 s0, 0x1000
	global_load_dwordx2 v[3:4], v[6:7], off offset:512
	global_load_dwordx2 v[25:26], v[6:7], off offset:1024
	;; [unrolled: 1-line block ×7, first 2 shown]
	v_mad_u32_u24 v35, v2, s4, v1
	v_add_co_u32_e32 v1, vcc, s0, v6
	v_addc_co_u32_e32 v2, vcc, 0, v7, vcc
	global_load_dwordx2 v[19:20], v[1:2], off
	global_load_dwordx2 v[15:16], v[1:2], off offset:512
	global_load_dwordx2 v[11:12], v[1:2], off offset:1024
	;; [unrolled: 1-line block ×3, first 2 shown]
	v_bfrev_b32_e32 v36, -2
	s_brev_b32 s3, 1
	s_mov_b32 s2, s73
	s_lshl_b32 s0, -1, s69
	s_not_b32 s15, s0
	s_waitcnt vmcnt(0) lgkmcnt(0)
	s_barrier
	; wave barrier
	v_cmp_gt_i64_e32 vcc, 0, v[27:28]
	v_ashrrev_i32_e32 v2, 31, v28
	v_cndmask_b32_e64 v1, v36, 0, vcc
	v_not_b32_e32 v6, v2
	v_xor_b32_e32 v2, v1, v28
	v_xor_b32_e32 v1, v6, v27
	v_cmp_ne_u64_e32 vcc, s[2:3], v[1:2]
	v_mad_u64_u32 v[27:28], s[0:1], v35, v34, v[0:1]
	v_cndmask_b32_e32 v35, v36, v2, vcc
	v_cndmask_b32_e32 v34, -1, v1, vcc
	v_lshrrev_b64 v[34:35], s68, v[34:35]
	v_lshrrev_b32_e32 v39, 6, v27
	v_and_b32_e32 v27, s15, v34
	v_and_b32_e32 v34, 1, v27
	v_add_co_u32_e32 v35, vcc, -1, v34
	v_mul_lo_u32 v28, v27, 20
	v_lshlrev_b32_e32 v6, 30, v27
	v_addc_co_u32_e64 v37, s[0:1], 0, -1, vcc
	v_cmp_ne_u32_e32 vcc, 0, v34
	v_cmp_gt_i64_e64 s[0:1], 0, v[5:6]
	v_not_b32_e32 v34, v6
	v_lshlrev_b32_e32 v6, 29, v27
	v_xor_b32_e32 v37, vcc_hi, v37
	v_xor_b32_e32 v35, vcc_lo, v35
	v_ashrrev_i32_e32 v34, 31, v34
	v_cmp_gt_i64_e32 vcc, 0, v[5:6]
	v_not_b32_e32 v38, v6
	v_lshlrev_b32_e32 v6, 28, v27
	v_and_b32_e32 v37, exec_hi, v37
	v_xor_b32_e32 v40, s1, v34
	v_ashrrev_i32_e32 v38, 31, v38
	v_and_b32_e32 v35, exec_lo, v35
	v_xor_b32_e32 v41, s0, v34
	v_lshl_add_u32 v34, v39, 2, v28
	v_and_b32_e32 v28, v37, v40
	v_xor_b32_e32 v37, vcc_hi, v38
	v_xor_b32_e32 v38, vcc_lo, v38
	v_cmp_gt_i64_e32 vcc, 0, v[5:6]
	v_not_b32_e32 v6, v6
	v_and_b32_e32 v35, v35, v41
	v_ashrrev_i32_e32 v6, 31, v6
	v_and_b32_e32 v28, v28, v37
	v_and_b32_e32 v35, v35, v38
	v_xor_b32_e32 v37, vcc_hi, v6
	v_xor_b32_e32 v6, vcc_lo, v6
	v_and_b32_e32 v35, v35, v6
	v_lshlrev_b32_e32 v6, 27, v27
	v_cmp_gt_i64_e32 vcc, 0, v[5:6]
	v_not_b32_e32 v6, v6
	v_ashrrev_i32_e32 v6, 31, v6
	v_and_b32_e32 v28, v28, v37
	v_xor_b32_e32 v37, vcc_hi, v6
	v_xor_b32_e32 v6, vcc_lo, v6
	v_and_b32_e32 v35, v35, v6
	v_lshlrev_b32_e32 v6, 26, v27
	v_cmp_gt_i64_e32 vcc, 0, v[5:6]
	v_not_b32_e32 v6, v6
	v_ashrrev_i32_e32 v6, 31, v6
	;; [unrolled: 8-line block ×4, first 2 shown]
	v_and_b32_e32 v28, v28, v37
	v_xor_b32_e32 v27, vcc_hi, v6
	v_xor_b32_e32 v6, vcc_lo, v6
	v_and_b32_e32 v28, v28, v27
	v_and_b32_e32 v27, v35, v6
	v_mbcnt_lo_u32_b32 v6, v27, 0
	v_mbcnt_hi_u32_b32 v35, v28, v6
	v_cmp_ne_u64_e32 vcc, 0, v[27:28]
	v_cmp_eq_u32_e64 s[0:1], 0, v35
	s_and_b64 s[4:5], vcc, s[0:1]
	s_and_saveexec_b64 s[0:1], s[4:5]
; %bb.154:
	v_bcnt_u32_b32 v6, v27, 0
	v_bcnt_u32_b32 v6, v28, v6
	ds_write_b32 v34, v6 offset:16
; %bb.155:
	s_or_b64 exec, exec, s[0:1]
	v_cmp_gt_i64_e32 vcc, 0, v[3:4]
	v_ashrrev_i32_e32 v27, 31, v4
	v_cndmask_b32_e64 v6, v36, 0, vcc
	v_not_b32_e32 v27, v27
	v_xor_b32_e32 v4, v6, v4
	v_xor_b32_e32 v3, v27, v3
	v_cmp_ne_u64_e32 vcc, s[2:3], v[3:4]
	v_cndmask_b32_e32 v28, v36, v4, vcc
	v_cndmask_b32_e32 v27, -1, v3, vcc
	v_lshrrev_b64 v[27:28], s68, v[27:28]
	; wave barrier
	v_and_b32_e32 v27, s15, v27
	v_mul_lo_u32 v6, v27, 20
	v_lshl_add_u32 v37, v39, 2, v6
	v_and_b32_e32 v6, 1, v27
	v_add_co_u32_e32 v28, vcc, -1, v6
	v_addc_co_u32_e64 v38, s[0:1], 0, -1, vcc
	v_cmp_ne_u32_e32 vcc, 0, v6
	v_xor_b32_e32 v6, vcc_hi, v38
	v_and_b32_e32 v38, exec_hi, v6
	v_lshlrev_b32_e32 v6, 30, v27
	v_xor_b32_e32 v28, vcc_lo, v28
	v_cmp_gt_i64_e32 vcc, 0, v[5:6]
	v_not_b32_e32 v6, v6
	v_ashrrev_i32_e32 v6, 31, v6
	v_and_b32_e32 v28, exec_lo, v28
	v_xor_b32_e32 v40, vcc_hi, v6
	v_xor_b32_e32 v6, vcc_lo, v6
	v_and_b32_e32 v28, v28, v6
	v_lshlrev_b32_e32 v6, 29, v27
	v_cmp_gt_i64_e32 vcc, 0, v[5:6]
	v_not_b32_e32 v6, v6
	v_ashrrev_i32_e32 v6, 31, v6
	v_and_b32_e32 v38, v38, v40
	v_xor_b32_e32 v40, vcc_hi, v6
	v_xor_b32_e32 v6, vcc_lo, v6
	v_and_b32_e32 v28, v28, v6
	v_lshlrev_b32_e32 v6, 28, v27
	v_cmp_gt_i64_e32 vcc, 0, v[5:6]
	v_not_b32_e32 v6, v6
	v_ashrrev_i32_e32 v6, 31, v6
	v_and_b32_e32 v38, v38, v40
	;; [unrolled: 8-line block ×5, first 2 shown]
	v_xor_b32_e32 v40, vcc_hi, v6
	v_xor_b32_e32 v6, vcc_lo, v6
	v_and_b32_e32 v28, v28, v6
	v_lshlrev_b32_e32 v6, 24, v27
	v_cmp_gt_i64_e32 vcc, 0, v[5:6]
	v_not_b32_e32 v5, v6
	v_ashrrev_i32_e32 v5, 31, v5
	v_xor_b32_e32 v6, vcc_hi, v5
	v_xor_b32_e32 v5, vcc_lo, v5
	ds_read_b32 v36, v37 offset:16
	v_and_b32_e32 v38, v38, v40
	v_and_b32_e32 v5, v28, v5
	;; [unrolled: 1-line block ×3, first 2 shown]
	v_mbcnt_lo_u32_b32 v27, v5, 0
	v_mbcnt_hi_u32_b32 v38, v6, v27
	v_cmp_ne_u64_e32 vcc, 0, v[5:6]
	v_cmp_eq_u32_e64 s[0:1], 0, v38
	s_and_b64 s[2:3], vcc, s[0:1]
	; wave barrier
	s_and_saveexec_b64 s[0:1], s[2:3]
	s_cbranch_execz .LBB150_157
; %bb.156:
	v_bcnt_u32_b32 v5, v5, 0
	v_bcnt_u32_b32 v5, v6, v5
	s_waitcnt lgkmcnt(0)
	v_add_u32_e32 v5, v36, v5
	ds_write_b32 v37, v5 offset:16
.LBB150_157:
	s_or_b64 exec, exec, s[0:1]
	v_cmp_gt_i64_e32 vcc, 0, v[25:26]
	v_bfrev_b32_e32 v28, -2
	v_ashrrev_i32_e32 v6, 31, v26
	s_mov_b32 s2, 0
	v_cndmask_b32_e64 v5, v28, 0, vcc
	v_not_b32_e32 v27, v6
	s_brev_b32 s3, 1
	v_xor_b32_e32 v6, v5, v26
	v_xor_b32_e32 v5, v27, v25
	v_cmp_ne_u64_e32 vcc, s[2:3], v[5:6]
	v_cndmask_b32_e32 v26, v28, v6, vcc
	v_cndmask_b32_e32 v25, -1, v5, vcc
	v_lshrrev_b64 v[25:26], s68, v[25:26]
	; wave barrier
	v_and_b32_e32 v27, s15, v25
	v_mul_lo_u32 v25, v27, 20
	v_and_b32_e32 v26, 1, v27
	v_add_co_u32_e32 v42, vcc, -1, v26
	v_addc_co_u32_e64 v43, s[0:1], 0, -1, vcc
	v_cmp_ne_u32_e32 vcc, 0, v26
	v_xor_b32_e32 v26, vcc_hi, v43
	v_lshl_add_u32 v41, v39, 2, v25
	v_mov_b32_e32 v25, 0
	v_and_b32_e32 v43, exec_hi, v26
	v_lshlrev_b32_e32 v26, 30, v27
	v_xor_b32_e32 v42, vcc_lo, v42
	v_cmp_gt_i64_e32 vcc, 0, v[25:26]
	v_not_b32_e32 v26, v26
	v_ashrrev_i32_e32 v26, 31, v26
	v_and_b32_e32 v42, exec_lo, v42
	v_xor_b32_e32 v44, vcc_hi, v26
	v_xor_b32_e32 v26, vcc_lo, v26
	v_and_b32_e32 v42, v42, v26
	v_lshlrev_b32_e32 v26, 29, v27
	v_cmp_gt_i64_e32 vcc, 0, v[25:26]
	v_not_b32_e32 v26, v26
	v_ashrrev_i32_e32 v26, 31, v26
	v_and_b32_e32 v43, v43, v44
	v_xor_b32_e32 v44, vcc_hi, v26
	v_xor_b32_e32 v26, vcc_lo, v26
	v_and_b32_e32 v42, v42, v26
	v_lshlrev_b32_e32 v26, 28, v27
	v_cmp_gt_i64_e32 vcc, 0, v[25:26]
	v_not_b32_e32 v26, v26
	v_ashrrev_i32_e32 v26, 31, v26
	v_and_b32_e32 v43, v43, v44
	;; [unrolled: 8-line block ×5, first 2 shown]
	v_xor_b32_e32 v44, vcc_hi, v26
	v_xor_b32_e32 v26, vcc_lo, v26
	v_and_b32_e32 v42, v42, v26
	v_lshlrev_b32_e32 v26, 24, v27
	v_cmp_gt_i64_e32 vcc, 0, v[25:26]
	v_not_b32_e32 v26, v26
	v_ashrrev_i32_e32 v26, 31, v26
	v_xor_b32_e32 v27, vcc_hi, v26
	v_xor_b32_e32 v26, vcc_lo, v26
	ds_read_b32 v40, v41 offset:16
	v_and_b32_e32 v43, v43, v44
	v_and_b32_e32 v26, v42, v26
	;; [unrolled: 1-line block ×3, first 2 shown]
	v_mbcnt_lo_u32_b32 v42, v26, 0
	v_mbcnt_hi_u32_b32 v42, v27, v42
	v_cmp_ne_u64_e32 vcc, 0, v[26:27]
	v_cmp_eq_u32_e64 s[0:1], 0, v42
	s_and_b64 s[4:5], vcc, s[0:1]
	; wave barrier
	s_and_saveexec_b64 s[0:1], s[4:5]
	s_cbranch_execz .LBB150_159
; %bb.158:
	v_bcnt_u32_b32 v26, v26, 0
	v_bcnt_u32_b32 v26, v27, v26
	s_waitcnt lgkmcnt(0)
	v_add_u32_e32 v26, v40, v26
	ds_write_b32 v41, v26 offset:16
.LBB150_159:
	s_or_b64 exec, exec, s[0:1]
	v_cmp_gt_i64_e32 vcc, 0, v[9:10]
	v_ashrrev_i32_e32 v27, 31, v10
	v_cndmask_b32_e64 v26, v28, 0, vcc
	v_not_b32_e32 v27, v27
	v_xor_b32_e32 v10, v26, v10
	v_xor_b32_e32 v9, v27, v9
	v_cmp_ne_u64_e32 vcc, s[2:3], v[9:10]
	v_cndmask_b32_e32 v27, v28, v10, vcc
	v_cndmask_b32_e32 v26, -1, v9, vcc
	v_lshrrev_b64 v[26:27], s68, v[26:27]
	; wave barrier
	v_and_b32_e32 v27, s15, v26
	v_mul_lo_u32 v26, v27, 20
	v_lshl_add_u32 v44, v39, 2, v26
	v_and_b32_e32 v26, 1, v27
	v_add_co_u32_e32 v28, vcc, -1, v26
	v_addc_co_u32_e64 v45, s[0:1], 0, -1, vcc
	v_cmp_ne_u32_e32 vcc, 0, v26
	v_xor_b32_e32 v26, vcc_hi, v45
	v_and_b32_e32 v45, exec_hi, v26
	v_lshlrev_b32_e32 v26, 30, v27
	v_xor_b32_e32 v28, vcc_lo, v28
	v_cmp_gt_i64_e32 vcc, 0, v[25:26]
	v_not_b32_e32 v26, v26
	v_ashrrev_i32_e32 v26, 31, v26
	v_and_b32_e32 v28, exec_lo, v28
	v_xor_b32_e32 v46, vcc_hi, v26
	v_xor_b32_e32 v26, vcc_lo, v26
	v_and_b32_e32 v28, v28, v26
	v_lshlrev_b32_e32 v26, 29, v27
	v_cmp_gt_i64_e32 vcc, 0, v[25:26]
	v_not_b32_e32 v26, v26
	v_ashrrev_i32_e32 v26, 31, v26
	v_and_b32_e32 v45, v45, v46
	v_xor_b32_e32 v46, vcc_hi, v26
	v_xor_b32_e32 v26, vcc_lo, v26
	v_and_b32_e32 v28, v28, v26
	v_lshlrev_b32_e32 v26, 28, v27
	v_cmp_gt_i64_e32 vcc, 0, v[25:26]
	v_not_b32_e32 v26, v26
	v_ashrrev_i32_e32 v26, 31, v26
	v_and_b32_e32 v45, v45, v46
	;; [unrolled: 8-line block ×5, first 2 shown]
	v_xor_b32_e32 v46, vcc_hi, v26
	v_xor_b32_e32 v26, vcc_lo, v26
	v_and_b32_e32 v28, v28, v26
	v_lshlrev_b32_e32 v26, 24, v27
	v_cmp_gt_i64_e32 vcc, 0, v[25:26]
	v_not_b32_e32 v25, v26
	v_ashrrev_i32_e32 v25, 31, v25
	v_xor_b32_e32 v26, vcc_hi, v25
	v_xor_b32_e32 v25, vcc_lo, v25
	ds_read_b32 v43, v44 offset:16
	v_and_b32_e32 v45, v45, v46
	v_and_b32_e32 v25, v28, v25
	;; [unrolled: 1-line block ×3, first 2 shown]
	v_mbcnt_lo_u32_b32 v27, v25, 0
	v_mbcnt_hi_u32_b32 v45, v26, v27
	v_cmp_ne_u64_e32 vcc, 0, v[25:26]
	v_cmp_eq_u32_e64 s[0:1], 0, v45
	s_and_b64 s[2:3], vcc, s[0:1]
	; wave barrier
	s_and_saveexec_b64 s[0:1], s[2:3]
	s_cbranch_execz .LBB150_161
; %bb.160:
	v_bcnt_u32_b32 v25, v25, 0
	v_bcnt_u32_b32 v25, v26, v25
	s_waitcnt lgkmcnt(0)
	v_add_u32_e32 v25, v43, v25
	ds_write_b32 v44, v25 offset:16
.LBB150_161:
	s_or_b64 exec, exec, s[0:1]
	v_cmp_gt_i64_e32 vcc, 0, v[13:14]
	v_bfrev_b32_e32 v28, -2
	v_ashrrev_i32_e32 v26, 31, v14
	s_mov_b32 s2, 0
	v_cndmask_b32_e64 v25, v28, 0, vcc
	v_not_b32_e32 v26, v26
	s_brev_b32 s3, 1
	v_xor_b32_e32 v14, v25, v14
	v_xor_b32_e32 v13, v26, v13
	v_cmp_ne_u64_e32 vcc, s[2:3], v[13:14]
	v_cndmask_b32_e32 v26, v28, v14, vcc
	v_cndmask_b32_e32 v25, -1, v13, vcc
	v_lshrrev_b64 v[25:26], s68, v[25:26]
	; wave barrier
	v_and_b32_e32 v27, s15, v25
	v_mul_lo_u32 v25, v27, 20
	v_and_b32_e32 v26, 1, v27
	v_add_co_u32_e32 v48, vcc, -1, v26
	v_addc_co_u32_e64 v49, s[0:1], 0, -1, vcc
	v_cmp_ne_u32_e32 vcc, 0, v26
	v_xor_b32_e32 v26, vcc_hi, v49
	v_lshl_add_u32 v47, v39, 2, v25
	v_mov_b32_e32 v25, 0
	v_and_b32_e32 v49, exec_hi, v26
	v_lshlrev_b32_e32 v26, 30, v27
	v_xor_b32_e32 v48, vcc_lo, v48
	v_cmp_gt_i64_e32 vcc, 0, v[25:26]
	v_not_b32_e32 v26, v26
	v_ashrrev_i32_e32 v26, 31, v26
	v_and_b32_e32 v48, exec_lo, v48
	v_xor_b32_e32 v50, vcc_hi, v26
	v_xor_b32_e32 v26, vcc_lo, v26
	v_and_b32_e32 v48, v48, v26
	v_lshlrev_b32_e32 v26, 29, v27
	v_cmp_gt_i64_e32 vcc, 0, v[25:26]
	v_not_b32_e32 v26, v26
	v_ashrrev_i32_e32 v26, 31, v26
	v_and_b32_e32 v49, v49, v50
	v_xor_b32_e32 v50, vcc_hi, v26
	v_xor_b32_e32 v26, vcc_lo, v26
	v_and_b32_e32 v48, v48, v26
	v_lshlrev_b32_e32 v26, 28, v27
	v_cmp_gt_i64_e32 vcc, 0, v[25:26]
	v_not_b32_e32 v26, v26
	v_ashrrev_i32_e32 v26, 31, v26
	v_and_b32_e32 v49, v49, v50
	;; [unrolled: 8-line block ×5, first 2 shown]
	v_xor_b32_e32 v50, vcc_hi, v26
	v_xor_b32_e32 v26, vcc_lo, v26
	v_and_b32_e32 v48, v48, v26
	v_lshlrev_b32_e32 v26, 24, v27
	v_cmp_gt_i64_e32 vcc, 0, v[25:26]
	v_not_b32_e32 v26, v26
	v_ashrrev_i32_e32 v26, 31, v26
	v_xor_b32_e32 v27, vcc_hi, v26
	v_xor_b32_e32 v26, vcc_lo, v26
	ds_read_b32 v46, v47 offset:16
	v_and_b32_e32 v49, v49, v50
	v_and_b32_e32 v26, v48, v26
	;; [unrolled: 1-line block ×3, first 2 shown]
	v_mbcnt_lo_u32_b32 v48, v26, 0
	v_mbcnt_hi_u32_b32 v48, v27, v48
	v_cmp_ne_u64_e32 vcc, 0, v[26:27]
	v_cmp_eq_u32_e64 s[0:1], 0, v48
	s_and_b64 s[4:5], vcc, s[0:1]
	; wave barrier
	s_and_saveexec_b64 s[0:1], s[4:5]
	s_cbranch_execz .LBB150_163
; %bb.162:
	v_bcnt_u32_b32 v26, v26, 0
	v_bcnt_u32_b32 v26, v27, v26
	s_waitcnt lgkmcnt(0)
	v_add_u32_e32 v26, v46, v26
	ds_write_b32 v47, v26 offset:16
.LBB150_163:
	s_or_b64 exec, exec, s[0:1]
	v_cmp_gt_i64_e32 vcc, 0, v[17:18]
	v_ashrrev_i32_e32 v27, 31, v18
	v_cndmask_b32_e64 v26, v28, 0, vcc
	v_not_b32_e32 v27, v27
	v_xor_b32_e32 v18, v26, v18
	v_xor_b32_e32 v17, v27, v17
	v_cmp_ne_u64_e32 vcc, s[2:3], v[17:18]
	v_cndmask_b32_e32 v27, v28, v18, vcc
	v_cndmask_b32_e32 v26, -1, v17, vcc
	v_lshrrev_b64 v[26:27], s68, v[26:27]
	; wave barrier
	v_and_b32_e32 v27, s15, v26
	v_mul_lo_u32 v26, v27, 20
	v_lshl_add_u32 v50, v39, 2, v26
	v_and_b32_e32 v26, 1, v27
	v_add_co_u32_e32 v28, vcc, -1, v26
	v_addc_co_u32_e64 v51, s[0:1], 0, -1, vcc
	v_cmp_ne_u32_e32 vcc, 0, v26
	v_xor_b32_e32 v26, vcc_hi, v51
	v_and_b32_e32 v51, exec_hi, v26
	v_lshlrev_b32_e32 v26, 30, v27
	v_xor_b32_e32 v28, vcc_lo, v28
	v_cmp_gt_i64_e32 vcc, 0, v[25:26]
	v_not_b32_e32 v26, v26
	v_ashrrev_i32_e32 v26, 31, v26
	v_and_b32_e32 v28, exec_lo, v28
	v_xor_b32_e32 v52, vcc_hi, v26
	v_xor_b32_e32 v26, vcc_lo, v26
	v_and_b32_e32 v28, v28, v26
	v_lshlrev_b32_e32 v26, 29, v27
	v_cmp_gt_i64_e32 vcc, 0, v[25:26]
	v_not_b32_e32 v26, v26
	v_ashrrev_i32_e32 v26, 31, v26
	v_and_b32_e32 v51, v51, v52
	v_xor_b32_e32 v52, vcc_hi, v26
	v_xor_b32_e32 v26, vcc_lo, v26
	v_and_b32_e32 v28, v28, v26
	v_lshlrev_b32_e32 v26, 28, v27
	v_cmp_gt_i64_e32 vcc, 0, v[25:26]
	v_not_b32_e32 v26, v26
	v_ashrrev_i32_e32 v26, 31, v26
	v_and_b32_e32 v51, v51, v52
	;; [unrolled: 8-line block ×5, first 2 shown]
	v_xor_b32_e32 v52, vcc_hi, v26
	v_xor_b32_e32 v26, vcc_lo, v26
	v_and_b32_e32 v28, v28, v26
	v_lshlrev_b32_e32 v26, 24, v27
	v_cmp_gt_i64_e32 vcc, 0, v[25:26]
	v_not_b32_e32 v25, v26
	v_ashrrev_i32_e32 v25, 31, v25
	v_xor_b32_e32 v26, vcc_hi, v25
	v_xor_b32_e32 v25, vcc_lo, v25
	ds_read_b32 v49, v50 offset:16
	v_and_b32_e32 v51, v51, v52
	v_and_b32_e32 v25, v28, v25
	;; [unrolled: 1-line block ×3, first 2 shown]
	v_mbcnt_lo_u32_b32 v27, v25, 0
	v_mbcnt_hi_u32_b32 v51, v26, v27
	v_cmp_ne_u64_e32 vcc, 0, v[25:26]
	v_cmp_eq_u32_e64 s[0:1], 0, v51
	s_and_b64 s[2:3], vcc, s[0:1]
	; wave barrier
	s_and_saveexec_b64 s[0:1], s[2:3]
	s_cbranch_execz .LBB150_165
; %bb.164:
	v_bcnt_u32_b32 v25, v25, 0
	v_bcnt_u32_b32 v25, v26, v25
	s_waitcnt lgkmcnt(0)
	v_add_u32_e32 v25, v49, v25
	ds_write_b32 v50, v25 offset:16
.LBB150_165:
	s_or_b64 exec, exec, s[0:1]
	v_cmp_gt_i64_e32 vcc, 0, v[21:22]
	v_bfrev_b32_e32 v28, -2
	v_ashrrev_i32_e32 v26, 31, v22
	s_mov_b32 s2, 0
	v_cndmask_b32_e64 v25, v28, 0, vcc
	v_not_b32_e32 v26, v26
	s_brev_b32 s3, 1
	v_xor_b32_e32 v22, v25, v22
	v_xor_b32_e32 v21, v26, v21
	v_cmp_ne_u64_e32 vcc, s[2:3], v[21:22]
	v_cndmask_b32_e32 v26, v28, v22, vcc
	v_cndmask_b32_e32 v25, -1, v21, vcc
	v_lshrrev_b64 v[25:26], s68, v[25:26]
	; wave barrier
	v_and_b32_e32 v27, s15, v25
	v_mul_lo_u32 v25, v27, 20
	v_and_b32_e32 v26, 1, v27
	v_add_co_u32_e32 v54, vcc, -1, v26
	v_addc_co_u32_e64 v55, s[0:1], 0, -1, vcc
	v_cmp_ne_u32_e32 vcc, 0, v26
	v_xor_b32_e32 v26, vcc_hi, v55
	v_lshl_add_u32 v53, v39, 2, v25
	v_mov_b32_e32 v25, 0
	v_and_b32_e32 v55, exec_hi, v26
	v_lshlrev_b32_e32 v26, 30, v27
	v_xor_b32_e32 v54, vcc_lo, v54
	v_cmp_gt_i64_e32 vcc, 0, v[25:26]
	v_not_b32_e32 v26, v26
	v_ashrrev_i32_e32 v26, 31, v26
	v_and_b32_e32 v54, exec_lo, v54
	v_xor_b32_e32 v56, vcc_hi, v26
	v_xor_b32_e32 v26, vcc_lo, v26
	v_and_b32_e32 v54, v54, v26
	v_lshlrev_b32_e32 v26, 29, v27
	v_cmp_gt_i64_e32 vcc, 0, v[25:26]
	v_not_b32_e32 v26, v26
	v_ashrrev_i32_e32 v26, 31, v26
	v_and_b32_e32 v55, v55, v56
	v_xor_b32_e32 v56, vcc_hi, v26
	v_xor_b32_e32 v26, vcc_lo, v26
	v_and_b32_e32 v54, v54, v26
	v_lshlrev_b32_e32 v26, 28, v27
	v_cmp_gt_i64_e32 vcc, 0, v[25:26]
	v_not_b32_e32 v26, v26
	v_ashrrev_i32_e32 v26, 31, v26
	v_and_b32_e32 v55, v55, v56
	v_xor_b32_e32 v56, vcc_hi, v26
	v_xor_b32_e32 v26, vcc_lo, v26
	v_and_b32_e32 v54, v54, v26
	v_lshlrev_b32_e32 v26, 27, v27
	v_cmp_gt_i64_e32 vcc, 0, v[25:26]
	v_not_b32_e32 v26, v26
	v_ashrrev_i32_e32 v26, 31, v26
	v_and_b32_e32 v55, v55, v56
	v_xor_b32_e32 v56, vcc_hi, v26
	v_xor_b32_e32 v26, vcc_lo, v26
	v_and_b32_e32 v54, v54, v26
	v_lshlrev_b32_e32 v26, 26, v27
	v_cmp_gt_i64_e32 vcc, 0, v[25:26]
	v_not_b32_e32 v26, v26
	v_ashrrev_i32_e32 v26, 31, v26
	v_and_b32_e32 v55, v55, v56
	v_xor_b32_e32 v56, vcc_hi, v26
	v_xor_b32_e32 v26, vcc_lo, v26
	v_and_b32_e32 v54, v54, v26
	v_lshlrev_b32_e32 v26, 25, v27
	v_cmp_gt_i64_e32 vcc, 0, v[25:26]
	v_not_b32_e32 v26, v26
	v_ashrrev_i32_e32 v26, 31, v26
	v_and_b32_e32 v55, v55, v56
	v_xor_b32_e32 v56, vcc_hi, v26
	v_xor_b32_e32 v26, vcc_lo, v26
	v_and_b32_e32 v54, v54, v26
	v_lshlrev_b32_e32 v26, 24, v27
	v_cmp_gt_i64_e32 vcc, 0, v[25:26]
	v_not_b32_e32 v26, v26
	v_ashrrev_i32_e32 v26, 31, v26
	v_xor_b32_e32 v27, vcc_hi, v26
	v_xor_b32_e32 v26, vcc_lo, v26
	ds_read_b32 v52, v53 offset:16
	v_and_b32_e32 v55, v55, v56
	v_and_b32_e32 v26, v54, v26
	v_and_b32_e32 v27, v55, v27
	v_mbcnt_lo_u32_b32 v54, v26, 0
	v_mbcnt_hi_u32_b32 v54, v27, v54
	v_cmp_ne_u64_e32 vcc, 0, v[26:27]
	v_cmp_eq_u32_e64 s[0:1], 0, v54
	s_and_b64 s[4:5], vcc, s[0:1]
	; wave barrier
	s_and_saveexec_b64 s[0:1], s[4:5]
	s_cbranch_execz .LBB150_167
; %bb.166:
	v_bcnt_u32_b32 v26, v26, 0
	v_bcnt_u32_b32 v26, v27, v26
	s_waitcnt lgkmcnt(0)
	v_add_u32_e32 v26, v52, v26
	ds_write_b32 v53, v26 offset:16
.LBB150_167:
	s_or_b64 exec, exec, s[0:1]
	v_cmp_gt_i64_e32 vcc, 0, v[23:24]
	v_ashrrev_i32_e32 v27, 31, v24
	v_cndmask_b32_e64 v26, v28, 0, vcc
	v_not_b32_e32 v27, v27
	v_xor_b32_e32 v24, v26, v24
	v_xor_b32_e32 v23, v27, v23
	v_cmp_ne_u64_e32 vcc, s[2:3], v[23:24]
	v_cndmask_b32_e32 v27, v28, v24, vcc
	v_cndmask_b32_e32 v26, -1, v23, vcc
	v_lshrrev_b64 v[26:27], s68, v[26:27]
	; wave barrier
	v_and_b32_e32 v27, s15, v26
	v_mul_lo_u32 v26, v27, 20
	v_lshl_add_u32 v56, v39, 2, v26
	v_and_b32_e32 v26, 1, v27
	v_add_co_u32_e32 v28, vcc, -1, v26
	v_addc_co_u32_e64 v57, s[0:1], 0, -1, vcc
	v_cmp_ne_u32_e32 vcc, 0, v26
	v_xor_b32_e32 v26, vcc_hi, v57
	v_and_b32_e32 v57, exec_hi, v26
	v_lshlrev_b32_e32 v26, 30, v27
	v_xor_b32_e32 v28, vcc_lo, v28
	v_cmp_gt_i64_e32 vcc, 0, v[25:26]
	v_not_b32_e32 v26, v26
	v_ashrrev_i32_e32 v26, 31, v26
	v_and_b32_e32 v28, exec_lo, v28
	v_xor_b32_e32 v58, vcc_hi, v26
	v_xor_b32_e32 v26, vcc_lo, v26
	v_and_b32_e32 v28, v28, v26
	v_lshlrev_b32_e32 v26, 29, v27
	v_cmp_gt_i64_e32 vcc, 0, v[25:26]
	v_not_b32_e32 v26, v26
	v_ashrrev_i32_e32 v26, 31, v26
	v_and_b32_e32 v57, v57, v58
	v_xor_b32_e32 v58, vcc_hi, v26
	v_xor_b32_e32 v26, vcc_lo, v26
	v_and_b32_e32 v28, v28, v26
	v_lshlrev_b32_e32 v26, 28, v27
	v_cmp_gt_i64_e32 vcc, 0, v[25:26]
	v_not_b32_e32 v26, v26
	v_ashrrev_i32_e32 v26, 31, v26
	v_and_b32_e32 v57, v57, v58
	;; [unrolled: 8-line block ×5, first 2 shown]
	v_xor_b32_e32 v58, vcc_hi, v26
	v_xor_b32_e32 v26, vcc_lo, v26
	v_and_b32_e32 v28, v28, v26
	v_lshlrev_b32_e32 v26, 24, v27
	v_cmp_gt_i64_e32 vcc, 0, v[25:26]
	v_not_b32_e32 v25, v26
	v_ashrrev_i32_e32 v25, 31, v25
	v_xor_b32_e32 v26, vcc_hi, v25
	v_xor_b32_e32 v25, vcc_lo, v25
	ds_read_b32 v55, v56 offset:16
	v_and_b32_e32 v57, v57, v58
	v_and_b32_e32 v25, v28, v25
	;; [unrolled: 1-line block ×3, first 2 shown]
	v_mbcnt_lo_u32_b32 v27, v25, 0
	v_mbcnt_hi_u32_b32 v57, v26, v27
	v_cmp_ne_u64_e32 vcc, 0, v[25:26]
	v_cmp_eq_u32_e64 s[0:1], 0, v57
	s_and_b64 s[2:3], vcc, s[0:1]
	; wave barrier
	s_and_saveexec_b64 s[0:1], s[2:3]
	s_cbranch_execz .LBB150_169
; %bb.168:
	v_bcnt_u32_b32 v25, v25, 0
	v_bcnt_u32_b32 v25, v26, v25
	s_waitcnt lgkmcnt(0)
	v_add_u32_e32 v25, v55, v25
	ds_write_b32 v56, v25 offset:16
.LBB150_169:
	s_or_b64 exec, exec, s[0:1]
	v_cmp_gt_i64_e32 vcc, 0, v[19:20]
	v_bfrev_b32_e32 v28, -2
	v_ashrrev_i32_e32 v26, 31, v20
	s_mov_b32 s2, 0
	v_cndmask_b32_e64 v25, v28, 0, vcc
	v_not_b32_e32 v26, v26
	s_brev_b32 s3, 1
	v_xor_b32_e32 v20, v25, v20
	v_xor_b32_e32 v19, v26, v19
	v_cmp_ne_u64_e32 vcc, s[2:3], v[19:20]
	v_cndmask_b32_e32 v26, v28, v20, vcc
	v_cndmask_b32_e32 v25, -1, v19, vcc
	v_lshrrev_b64 v[25:26], s68, v[25:26]
	; wave barrier
	v_and_b32_e32 v27, s15, v25
	v_mul_lo_u32 v25, v27, 20
	v_and_b32_e32 v26, 1, v27
	v_add_co_u32_e32 v60, vcc, -1, v26
	v_addc_co_u32_e64 v61, s[0:1], 0, -1, vcc
	v_cmp_ne_u32_e32 vcc, 0, v26
	v_xor_b32_e32 v26, vcc_hi, v61
	v_lshl_add_u32 v59, v39, 2, v25
	v_mov_b32_e32 v25, 0
	v_and_b32_e32 v61, exec_hi, v26
	v_lshlrev_b32_e32 v26, 30, v27
	v_xor_b32_e32 v60, vcc_lo, v60
	v_cmp_gt_i64_e32 vcc, 0, v[25:26]
	v_not_b32_e32 v26, v26
	v_ashrrev_i32_e32 v26, 31, v26
	v_and_b32_e32 v60, exec_lo, v60
	v_xor_b32_e32 v62, vcc_hi, v26
	v_xor_b32_e32 v26, vcc_lo, v26
	v_and_b32_e32 v60, v60, v26
	v_lshlrev_b32_e32 v26, 29, v27
	v_cmp_gt_i64_e32 vcc, 0, v[25:26]
	v_not_b32_e32 v26, v26
	v_ashrrev_i32_e32 v26, 31, v26
	v_and_b32_e32 v61, v61, v62
	v_xor_b32_e32 v62, vcc_hi, v26
	v_xor_b32_e32 v26, vcc_lo, v26
	v_and_b32_e32 v60, v60, v26
	v_lshlrev_b32_e32 v26, 28, v27
	v_cmp_gt_i64_e32 vcc, 0, v[25:26]
	v_not_b32_e32 v26, v26
	v_ashrrev_i32_e32 v26, 31, v26
	v_and_b32_e32 v61, v61, v62
	;; [unrolled: 8-line block ×5, first 2 shown]
	v_xor_b32_e32 v62, vcc_hi, v26
	v_xor_b32_e32 v26, vcc_lo, v26
	v_and_b32_e32 v60, v60, v26
	v_lshlrev_b32_e32 v26, 24, v27
	v_cmp_gt_i64_e32 vcc, 0, v[25:26]
	v_not_b32_e32 v26, v26
	v_ashrrev_i32_e32 v26, 31, v26
	v_xor_b32_e32 v27, vcc_hi, v26
	v_xor_b32_e32 v26, vcc_lo, v26
	ds_read_b32 v58, v59 offset:16
	v_and_b32_e32 v61, v61, v62
	v_and_b32_e32 v26, v60, v26
	;; [unrolled: 1-line block ×3, first 2 shown]
	v_mbcnt_lo_u32_b32 v60, v26, 0
	v_mbcnt_hi_u32_b32 v60, v27, v60
	v_cmp_ne_u64_e32 vcc, 0, v[26:27]
	v_cmp_eq_u32_e64 s[0:1], 0, v60
	s_and_b64 s[4:5], vcc, s[0:1]
	; wave barrier
	s_and_saveexec_b64 s[0:1], s[4:5]
	s_cbranch_execz .LBB150_171
; %bb.170:
	v_bcnt_u32_b32 v26, v26, 0
	v_bcnt_u32_b32 v26, v27, v26
	s_waitcnt lgkmcnt(0)
	v_add_u32_e32 v26, v58, v26
	ds_write_b32 v59, v26 offset:16
.LBB150_171:
	s_or_b64 exec, exec, s[0:1]
	v_cmp_gt_i64_e32 vcc, 0, v[15:16]
	v_ashrrev_i32_e32 v27, 31, v16
	v_cndmask_b32_e64 v26, v28, 0, vcc
	v_not_b32_e32 v27, v27
	v_xor_b32_e32 v16, v26, v16
	v_xor_b32_e32 v15, v27, v15
	v_cmp_ne_u64_e32 vcc, s[2:3], v[15:16]
	v_cndmask_b32_e32 v27, v28, v16, vcc
	v_cndmask_b32_e32 v26, -1, v15, vcc
	v_lshrrev_b64 v[26:27], s68, v[26:27]
	; wave barrier
	v_and_b32_e32 v27, s15, v26
	v_mul_lo_u32 v26, v27, 20
	v_lshl_add_u32 v62, v39, 2, v26
	v_and_b32_e32 v26, 1, v27
	v_add_co_u32_e32 v28, vcc, -1, v26
	v_addc_co_u32_e64 v63, s[0:1], 0, -1, vcc
	v_cmp_ne_u32_e32 vcc, 0, v26
	v_xor_b32_e32 v26, vcc_hi, v63
	v_and_b32_e32 v63, exec_hi, v26
	v_lshlrev_b32_e32 v26, 30, v27
	v_xor_b32_e32 v28, vcc_lo, v28
	v_cmp_gt_i64_e32 vcc, 0, v[25:26]
	v_not_b32_e32 v26, v26
	v_ashrrev_i32_e32 v26, 31, v26
	v_and_b32_e32 v28, exec_lo, v28
	v_xor_b32_e32 v64, vcc_hi, v26
	v_xor_b32_e32 v26, vcc_lo, v26
	v_and_b32_e32 v28, v28, v26
	v_lshlrev_b32_e32 v26, 29, v27
	v_cmp_gt_i64_e32 vcc, 0, v[25:26]
	v_not_b32_e32 v26, v26
	v_ashrrev_i32_e32 v26, 31, v26
	v_and_b32_e32 v63, v63, v64
	v_xor_b32_e32 v64, vcc_hi, v26
	v_xor_b32_e32 v26, vcc_lo, v26
	v_and_b32_e32 v28, v28, v26
	v_lshlrev_b32_e32 v26, 28, v27
	v_cmp_gt_i64_e32 vcc, 0, v[25:26]
	v_not_b32_e32 v26, v26
	v_ashrrev_i32_e32 v26, 31, v26
	v_and_b32_e32 v63, v63, v64
	;; [unrolled: 8-line block ×5, first 2 shown]
	v_xor_b32_e32 v64, vcc_hi, v26
	v_xor_b32_e32 v26, vcc_lo, v26
	v_and_b32_e32 v28, v28, v26
	v_lshlrev_b32_e32 v26, 24, v27
	v_cmp_gt_i64_e32 vcc, 0, v[25:26]
	v_not_b32_e32 v25, v26
	v_ashrrev_i32_e32 v25, 31, v25
	v_xor_b32_e32 v26, vcc_hi, v25
	v_xor_b32_e32 v25, vcc_lo, v25
	ds_read_b32 v61, v62 offset:16
	v_and_b32_e32 v63, v63, v64
	v_and_b32_e32 v25, v28, v25
	;; [unrolled: 1-line block ×3, first 2 shown]
	v_mbcnt_lo_u32_b32 v27, v25, 0
	v_mbcnt_hi_u32_b32 v63, v26, v27
	v_cmp_ne_u64_e32 vcc, 0, v[25:26]
	v_cmp_eq_u32_e64 s[0:1], 0, v63
	s_and_b64 s[2:3], vcc, s[0:1]
	; wave barrier
	s_and_saveexec_b64 s[0:1], s[2:3]
	s_cbranch_execz .LBB150_173
; %bb.172:
	v_bcnt_u32_b32 v25, v25, 0
	v_bcnt_u32_b32 v25, v26, v25
	s_waitcnt lgkmcnt(0)
	v_add_u32_e32 v25, v61, v25
	ds_write_b32 v62, v25 offset:16
.LBB150_173:
	s_or_b64 exec, exec, s[0:1]
	v_cmp_gt_i64_e32 vcc, 0, v[11:12]
	v_bfrev_b32_e32 v28, -2
	v_ashrrev_i32_e32 v26, 31, v12
	s_mov_b32 s2, 0
	v_cndmask_b32_e64 v25, v28, 0, vcc
	v_not_b32_e32 v26, v26
	s_brev_b32 s3, 1
	v_xor_b32_e32 v12, v25, v12
	v_xor_b32_e32 v11, v26, v11
	v_cmp_ne_u64_e32 vcc, s[2:3], v[11:12]
	v_cndmask_b32_e32 v26, v28, v12, vcc
	v_cndmask_b32_e32 v25, -1, v11, vcc
	v_lshrrev_b64 v[25:26], s68, v[25:26]
	; wave barrier
	v_and_b32_e32 v27, s15, v25
	v_mul_lo_u32 v25, v27, 20
	v_and_b32_e32 v26, 1, v27
	v_add_co_u32_e32 v66, vcc, -1, v26
	v_addc_co_u32_e64 v67, s[0:1], 0, -1, vcc
	v_cmp_ne_u32_e32 vcc, 0, v26
	v_xor_b32_e32 v26, vcc_hi, v67
	v_lshl_add_u32 v65, v39, 2, v25
	v_mov_b32_e32 v25, 0
	v_and_b32_e32 v67, exec_hi, v26
	v_lshlrev_b32_e32 v26, 30, v27
	v_xor_b32_e32 v66, vcc_lo, v66
	v_cmp_gt_i64_e32 vcc, 0, v[25:26]
	v_not_b32_e32 v26, v26
	v_ashrrev_i32_e32 v26, 31, v26
	v_and_b32_e32 v66, exec_lo, v66
	v_xor_b32_e32 v68, vcc_hi, v26
	v_xor_b32_e32 v26, vcc_lo, v26
	v_and_b32_e32 v66, v66, v26
	v_lshlrev_b32_e32 v26, 29, v27
	v_cmp_gt_i64_e32 vcc, 0, v[25:26]
	v_not_b32_e32 v26, v26
	v_ashrrev_i32_e32 v26, 31, v26
	v_and_b32_e32 v67, v67, v68
	v_xor_b32_e32 v68, vcc_hi, v26
	v_xor_b32_e32 v26, vcc_lo, v26
	v_and_b32_e32 v66, v66, v26
	v_lshlrev_b32_e32 v26, 28, v27
	v_cmp_gt_i64_e32 vcc, 0, v[25:26]
	v_not_b32_e32 v26, v26
	v_ashrrev_i32_e32 v26, 31, v26
	v_and_b32_e32 v67, v67, v68
	;; [unrolled: 8-line block ×5, first 2 shown]
	v_xor_b32_e32 v68, vcc_hi, v26
	v_xor_b32_e32 v26, vcc_lo, v26
	v_and_b32_e32 v66, v66, v26
	v_lshlrev_b32_e32 v26, 24, v27
	v_cmp_gt_i64_e32 vcc, 0, v[25:26]
	v_not_b32_e32 v26, v26
	v_ashrrev_i32_e32 v26, 31, v26
	v_xor_b32_e32 v27, vcc_hi, v26
	v_xor_b32_e32 v26, vcc_lo, v26
	ds_read_b32 v64, v65 offset:16
	v_and_b32_e32 v67, v67, v68
	v_and_b32_e32 v26, v66, v26
	;; [unrolled: 1-line block ×3, first 2 shown]
	v_mbcnt_lo_u32_b32 v66, v26, 0
	v_mbcnt_hi_u32_b32 v66, v27, v66
	v_cmp_ne_u64_e32 vcc, 0, v[26:27]
	v_cmp_eq_u32_e64 s[0:1], 0, v66
	s_and_b64 s[4:5], vcc, s[0:1]
	; wave barrier
	s_and_saveexec_b64 s[0:1], s[4:5]
	s_cbranch_execz .LBB150_175
; %bb.174:
	v_bcnt_u32_b32 v26, v26, 0
	v_bcnt_u32_b32 v26, v27, v26
	s_waitcnt lgkmcnt(0)
	v_add_u32_e32 v26, v64, v26
	ds_write_b32 v65, v26 offset:16
.LBB150_175:
	s_or_b64 exec, exec, s[0:1]
	v_cmp_gt_i64_e32 vcc, 0, v[7:8]
	v_ashrrev_i32_e32 v27, 31, v8
	v_cndmask_b32_e64 v26, v28, 0, vcc
	v_not_b32_e32 v27, v27
	v_xor_b32_e32 v8, v26, v8
	v_xor_b32_e32 v7, v27, v7
	v_cmp_ne_u64_e32 vcc, s[2:3], v[7:8]
	v_cndmask_b32_e32 v27, v28, v8, vcc
	v_cndmask_b32_e32 v26, -1, v7, vcc
	v_lshrrev_b64 v[26:27], s68, v[26:27]
	; wave barrier
	v_and_b32_e32 v27, s15, v26
	v_mul_lo_u32 v26, v27, 20
	v_lshl_add_u32 v67, v39, 2, v26
	v_and_b32_e32 v26, 1, v27
	v_add_co_u32_e32 v28, vcc, -1, v26
	v_addc_co_u32_e64 v68, s[0:1], 0, -1, vcc
	v_cmp_ne_u32_e32 vcc, 0, v26
	v_xor_b32_e32 v26, vcc_hi, v68
	v_and_b32_e32 v68, exec_hi, v26
	v_lshlrev_b32_e32 v26, 30, v27
	v_xor_b32_e32 v28, vcc_lo, v28
	v_cmp_gt_i64_e32 vcc, 0, v[25:26]
	v_not_b32_e32 v26, v26
	v_ashrrev_i32_e32 v26, 31, v26
	v_and_b32_e32 v28, exec_lo, v28
	v_xor_b32_e32 v69, vcc_hi, v26
	v_xor_b32_e32 v26, vcc_lo, v26
	v_and_b32_e32 v28, v28, v26
	v_lshlrev_b32_e32 v26, 29, v27
	v_cmp_gt_i64_e32 vcc, 0, v[25:26]
	v_not_b32_e32 v26, v26
	v_ashrrev_i32_e32 v26, 31, v26
	v_and_b32_e32 v68, v68, v69
	v_xor_b32_e32 v69, vcc_hi, v26
	v_xor_b32_e32 v26, vcc_lo, v26
	v_and_b32_e32 v28, v28, v26
	v_lshlrev_b32_e32 v26, 28, v27
	v_cmp_gt_i64_e32 vcc, 0, v[25:26]
	v_not_b32_e32 v26, v26
	v_ashrrev_i32_e32 v26, 31, v26
	v_and_b32_e32 v68, v68, v69
	;; [unrolled: 8-line block ×5, first 2 shown]
	v_xor_b32_e32 v69, vcc_hi, v26
	v_xor_b32_e32 v26, vcc_lo, v26
	v_and_b32_e32 v28, v28, v26
	v_lshlrev_b32_e32 v26, 24, v27
	v_cmp_gt_i64_e32 vcc, 0, v[25:26]
	v_not_b32_e32 v25, v26
	v_ashrrev_i32_e32 v25, 31, v25
	v_xor_b32_e32 v26, vcc_hi, v25
	v_xor_b32_e32 v25, vcc_lo, v25
	ds_read_b32 v39, v67 offset:16
	v_and_b32_e32 v68, v68, v69
	v_and_b32_e32 v25, v28, v25
	;; [unrolled: 1-line block ×3, first 2 shown]
	v_mbcnt_lo_u32_b32 v27, v25, 0
	v_mbcnt_hi_u32_b32 v68, v26, v27
	v_cmp_ne_u64_e32 vcc, 0, v[25:26]
	v_cmp_eq_u32_e64 s[0:1], 0, v68
	s_and_b64 s[2:3], vcc, s[0:1]
	; wave barrier
	s_and_saveexec_b64 s[0:1], s[2:3]
	s_cbranch_execz .LBB150_177
; %bb.176:
	v_bcnt_u32_b32 v25, v25, 0
	v_bcnt_u32_b32 v25, v26, v25
	s_waitcnt lgkmcnt(0)
	v_add_u32_e32 v25, v39, v25
	ds_write_b32 v67, v25 offset:16
.LBB150_177:
	s_or_b64 exec, exec, s[0:1]
	; wave barrier
	s_waitcnt lgkmcnt(0)
	s_barrier
	ds_read2_b32 v[27:28], v32 offset0:4 offset1:5
	ds_read2_b32 v[25:26], v32 offset0:6 offset1:7
	ds_read_b32 v69, v32 offset:32
	v_min_u32_e32 v33, 0xc0, v33
	v_or_b32_e32 v33, 63, v33
	s_waitcnt lgkmcnt(1)
	v_add3_u32 v70, v28, v27, v25
	s_waitcnt lgkmcnt(0)
	v_add3_u32 v69, v70, v26, v69
	v_and_b32_e32 v70, 15, v31
	v_cmp_ne_u32_e32 vcc, 0, v70
	v_mov_b32_dpp v71, v69 row_shr:1 row_mask:0xf bank_mask:0xf
	v_cndmask_b32_e32 v71, 0, v71, vcc
	v_add_u32_e32 v69, v71, v69
	v_cmp_lt_u32_e32 vcc, 1, v70
	s_nop 0
	v_mov_b32_dpp v71, v69 row_shr:2 row_mask:0xf bank_mask:0xf
	v_cndmask_b32_e32 v71, 0, v71, vcc
	v_add_u32_e32 v69, v69, v71
	v_cmp_lt_u32_e32 vcc, 3, v70
	s_nop 0
	;; [unrolled: 5-line block ×3, first 2 shown]
	v_mov_b32_dpp v71, v69 row_shr:8 row_mask:0xf bank_mask:0xf
	v_cndmask_b32_e32 v70, 0, v71, vcc
	v_add_u32_e32 v69, v69, v70
	v_bfe_i32 v71, v31, 4, 1
	v_cmp_lt_u32_e32 vcc, 31, v31
	v_mov_b32_dpp v70, v69 row_bcast:15 row_mask:0xf bank_mask:0xf
	v_and_b32_e32 v70, v71, v70
	v_add_u32_e32 v69, v69, v70
	s_nop 1
	v_mov_b32_dpp v70, v69 row_bcast:31 row_mask:0xf bank_mask:0xf
	v_cndmask_b32_e32 v70, 0, v70, vcc
	v_add_u32_e32 v69, v69, v70
	v_lshrrev_b32_e32 v70, 6, v0
	v_cmp_eq_u32_e32 vcc, v0, v33
	s_and_saveexec_b64 s[0:1], vcc
; %bb.178:
	v_lshlrev_b32_e32 v33, 2, v70
	ds_write_b32 v33, v69
; %bb.179:
	s_or_b64 exec, exec, s[0:1]
	v_cmp_gt_u32_e32 vcc, 4, v0
	s_waitcnt lgkmcnt(0)
	s_barrier
	s_and_saveexec_b64 s[0:1], vcc
	s_cbranch_execz .LBB150_181
; %bb.180:
	v_lshlrev_b32_e32 v33, 2, v0
	ds_read_b32 v71, v33
	v_and_b32_e32 v72, 3, v31
	v_cmp_ne_u32_e32 vcc, 0, v72
	s_waitcnt lgkmcnt(0)
	v_mov_b32_dpp v73, v71 row_shr:1 row_mask:0xf bank_mask:0xf
	v_cndmask_b32_e32 v73, 0, v73, vcc
	v_add_u32_e32 v71, v73, v71
	v_cmp_lt_u32_e32 vcc, 1, v72
	s_nop 0
	v_mov_b32_dpp v73, v71 row_shr:2 row_mask:0xf bank_mask:0xf
	v_cndmask_b32_e32 v72, 0, v73, vcc
	v_add_u32_e32 v71, v71, v72
	ds_write_b32 v33, v71
.LBB150_181:
	s_or_b64 exec, exec, s[0:1]
	v_cmp_lt_u32_e32 vcc, 63, v0
	v_mov_b32_e32 v33, 0
	s_waitcnt lgkmcnt(0)
	s_barrier
	s_and_saveexec_b64 s[0:1], vcc
; %bb.182:
	v_lshl_add_u32 v33, v70, 2, -4
	ds_read_b32 v33, v33
; %bb.183:
	s_or_b64 exec, exec, s[0:1]
	v_add_u32_e32 v70, -1, v31
	v_and_b32_e32 v71, 64, v31
	v_cmp_lt_i32_e32 vcc, v70, v71
	v_cndmask_b32_e32 v70, v70, v31, vcc
	s_waitcnt lgkmcnt(0)
	v_add_u32_e32 v69, v33, v69
	v_lshlrev_b32_e32 v70, 2, v70
	ds_bpermute_b32 v69, v70, v69
	v_cmp_eq_u32_e32 vcc, 0, v31
	s_movk_i32 s0, 0x100
	s_waitcnt lgkmcnt(0)
	v_cndmask_b32_e32 v31, v69, v33, vcc
	v_cmp_ne_u32_e32 vcc, 0, v0
	v_cndmask_b32_e32 v31, 0, v31, vcc
	v_add_u32_e32 v27, v31, v27
	v_add_u32_e32 v28, v27, v28
	v_add_u32_e32 v25, v28, v25
	v_add_u32_e32 v26, v25, v26
	ds_write2_b32 v32, v31, v27 offset0:4 offset1:5
	ds_write2_b32 v32, v28, v25 offset0:6 offset1:7
	ds_write_b32 v32, v26 offset:32
	s_waitcnt lgkmcnt(0)
	s_barrier
	ds_read_b32 v70, v56 offset:16
	ds_read_b32 v69, v59 offset:16
	;; [unrolled: 1-line block ×13, first 2 shown]
	v_add_u32_e32 v44, 1, v0
	v_cmp_ne_u32_e32 vcc, s0, v44
	v_mov_b32_e32 v32, 0xc00
	s_and_saveexec_b64 s[0:1], vcc
; %bb.184:
	v_mul_u32_u24_e32 v32, 20, v44
	ds_read_b32 v32, v32 offset:16
; %bb.185:
	s_or_b64 exec, exec, s[0:1]
	v_lshlrev_b32_e32 v35, 3, v35
	s_waitcnt lgkmcnt(7)
	v_lshl_add_u32 v26, v26, 3, v35
	s_waitcnt lgkmcnt(0)
	s_barrier
	ds_write_b64 v26, v[1:2] offset:2048
	v_lshlrev_b32_e32 v1, 3, v27
	v_lshlrev_b32_e32 v2, 3, v38
	;; [unrolled: 1-line block ×3, first 2 shown]
	v_add3_u32 v27, v1, v2, v27
	ds_write_b64 v27, v[3:4] offset:2048
	v_lshlrev_b32_e32 v1, 3, v28
	v_lshlrev_b32_e32 v2, 3, v42
	;; [unrolled: 1-line block ×3, first 2 shown]
	v_add3_u32 v28, v1, v2, v3
	v_lshlrev_b32_e32 v1, 3, v31
	v_lshlrev_b32_e32 v2, 3, v45
	;; [unrolled: 1-line block ×3, first 2 shown]
	v_add3_u32 v31, v1, v2, v3
	v_lshlrev_b32_e32 v1, 3, v41
	v_lshlrev_b32_e32 v2, 3, v48
	;; [unrolled: 1-line block ×3, first 2 shown]
	ds_write_b64 v28, v[5:6] offset:2048
	ds_write_b64 v31, v[9:10] offset:2048
	v_add3_u32 v9, v1, v2, v3
	v_lshlrev_b32_e32 v1, 3, v37
	v_lshlrev_b32_e32 v2, 3, v51
	v_lshlrev_b32_e32 v3, 3, v49
	v_add3_u32 v10, v1, v2, v3
	v_lshlrev_b32_e32 v1, 3, v34
	v_lshlrev_b32_e32 v2, 3, v54
	v_lshlrev_b32_e32 v3, 3, v52
	ds_write_b64 v9, v[13:14] offset:2048
	v_add3_u32 v13, v1, v2, v3
	v_lshlrev_b32_e32 v1, 3, v70
	v_lshlrev_b32_e32 v2, 3, v57
	v_lshlrev_b32_e32 v3, 3, v55
	v_add3_u32 v14, v1, v2, v3
	v_lshlrev_b32_e32 v1, 3, v69
	v_lshlrev_b32_e32 v2, 3, v60
	v_lshlrev_b32_e32 v3, 3, v58
	;; [unrolled: 9-line block ×3, first 2 shown]
	ds_write_b64 v13, v[21:22] offset:2048
	ds_write_b64 v14, v[23:24] offset:2048
	;; [unrolled: 1-line block ×4, first 2 shown]
	v_add3_u32 v15, v1, v2, v3
	v_lshlrev_b32_e32 v1, 3, v33
	v_lshlrev_b32_e32 v2, 3, v68
	;; [unrolled: 1-line block ×3, first 2 shown]
	ds_write_b64 v15, v[11:12] offset:2048
	v_add3_u32 v11, v1, v2, v3
	v_lshl_or_b32 v3, s6, 8, v0
	v_mov_b32_e32 v4, 0
	v_lshlrev_b64 v[1:2], 2, v[3:4]
	ds_write_b64 v11, v[7:8] offset:2048
	v_sub_u32_e32 v7, v32, v25
	v_mov_b32_e32 v8, s55
	v_add_co_u32_e32 v1, vcc, s54, v1
	v_addc_co_u32_e32 v2, vcc, v8, v2, vcc
	v_or_b32_e32 v3, 2.0, v7
	s_mov_b64 s[0:1], 0
	s_brev_b32 s8, -4
	v_mov_b32_e32 v12, 0
	s_waitcnt lgkmcnt(0)
	s_barrier
	global_store_dword v[1:2], v3, off
                                        ; implicit-def: $sgpr2_sgpr3
	s_branch .LBB150_188
.LBB150_186:                            ;   in Loop: Header=BB150_188 Depth=1
	s_or_b64 exec, exec, s[4:5]
.LBB150_187:                            ;   in Loop: Header=BB150_188 Depth=1
	s_or_b64 exec, exec, s[2:3]
	v_and_b32_e32 v5, 0x3fffffff, v3
	v_add_u32_e32 v12, v5, v12
	v_cmp_gt_i32_e64 s[2:3], -2.0, v3
	s_and_b64 s[4:5], exec, s[2:3]
	s_or_b64 s[0:1], s[4:5], s[0:1]
	s_andn2_b64 exec, exec, s[0:1]
	s_cbranch_execz .LBB150_193
.LBB150_188:                            ; =>This Loop Header: Depth=1
                                        ;     Child Loop BB150_191 Depth 2
	s_or_b64 s[2:3], s[2:3], exec
	s_cmp_eq_u32 s7, 0
	s_cbranch_scc1 .LBB150_192
; %bb.189:                              ;   in Loop: Header=BB150_188 Depth=1
	s_add_i32 s7, s7, -1
	v_lshl_or_b32 v3, s7, 8, v0
	v_lshlrev_b64 v[5:6], 2, v[3:4]
	v_add_co_u32_e32 v5, vcc, s54, v5
	v_addc_co_u32_e32 v6, vcc, v8, v6, vcc
	global_load_dword v3, v[5:6], off glc
	s_waitcnt vmcnt(0)
	v_cmp_gt_u32_e32 vcc, 2.0, v3
	s_and_saveexec_b64 s[2:3], vcc
	s_cbranch_execz .LBB150_187
; %bb.190:                              ;   in Loop: Header=BB150_188 Depth=1
	s_mov_b64 s[4:5], 0
.LBB150_191:                            ;   Parent Loop BB150_188 Depth=1
                                        ; =>  This Inner Loop Header: Depth=2
	global_load_dword v3, v[5:6], off glc
	s_waitcnt vmcnt(0)
	v_cmp_lt_u32_e32 vcc, s8, v3
	s_or_b64 s[4:5], vcc, s[4:5]
	s_andn2_b64 exec, exec, s[4:5]
	s_cbranch_execnz .LBB150_191
	s_branch .LBB150_186
.LBB150_192:                            ;   in Loop: Header=BB150_188 Depth=1
                                        ; implicit-def: $sgpr7
	s_and_b64 s[4:5], exec, s[2:3]
	s_or_b64 s[0:1], s[4:5], s[0:1]
	s_andn2_b64 exec, exec, s[0:1]
	s_cbranch_execnz .LBB150_188
.LBB150_193:
	s_or_b64 exec, exec, s[0:1]
	v_add_u32_e32 v3, v12, v7
	v_or_b32_e32 v3, 0x80000000, v3
	v_lshlrev_b32_e32 v0, 3, v0
	global_store_dword v[1:2], v3, off
	global_load_dwordx2 v[2:3], v0, s[64:65]
	v_sub_co_u32_e32 v4, vcc, v12, v25
	v_subb_co_u32_e64 v5, s[0:1], 0, 0, vcc
	s_mov_b32 s12, 0
	s_brev_b32 s13, 1
	v_bfrev_b32_e32 v1, -2
	v_mov_b32_e32 v8, s59
	v_mov_b32_e32 v12, s59
	;; [unrolled: 1-line block ×3, first 2 shown]
	v_or_b32_e32 v70, 0x2000, v0
	v_or_b32_e32 v71, 0x2800, v0
	;; [unrolled: 1-line block ×4, first 2 shown]
	s_movk_i32 s7, 0x1000
	s_waitcnt vmcnt(0)
	v_add_co_u32_e32 v2, vcc, v4, v2
	v_addc_co_u32_e32 v3, vcc, v5, v3, vcc
	ds_write_b64 v0, v[2:3]
	s_waitcnt lgkmcnt(0)
	s_barrier
	ds_read2st64_b64 v[3:6], v0 offset0:4 offset1:8
	ds_read2st64_b64 v[19:22], v0 offset0:12 offset1:16
	v_or_b32_e32 v2, 0x1000, v0
	s_waitcnt lgkmcnt(1)
	v_cmp_gt_i64_e64 s[0:1], 0, v[3:4]
	v_cmp_gt_i64_e64 s[2:3], 0, v[5:6]
	v_cmp_ne_u64_e32 vcc, s[12:13], v[3:4]
	v_cndmask_b32_e64 v23, v1, 0, s[0:1]
	v_ashrrev_i32_e32 v32, 31, v4
	v_cmp_ne_u64_e64 s[0:1], s[12:13], v[5:6]
	s_waitcnt lgkmcnt(0)
	v_cmp_gt_i64_e64 s[4:5], 0, v[19:20]
	v_cndmask_b32_e64 v34, v1, 0, s[2:3]
	v_cmp_ne_u64_e64 s[2:3], s[12:13], v[19:20]
	v_not_b32_e32 v32, v32
	v_cndmask_b32_e32 v24, v1, v4, vcc
	v_cndmask_b32_e64 v33, v1, v6, s[0:1]
	v_ashrrev_i32_e32 v36, 31, v6
	v_cndmask_b32_e64 v38, v1, 0, s[4:5]
	v_cmp_ne_u64_e64 s[4:5], s[12:13], v[21:22]
	v_xor_b32_e32 v4, v23, v4
	v_cndmask_b32_e32 v23, -1, v3, vcc
	v_xor_b32_e32 v3, v32, v3
	v_cndmask_b32_e64 v32, -1, v5, s[0:1]
	v_cndmask_b32_e64 v35, v1, v20, s[2:3]
	v_not_b32_e32 v36, v36
	v_xor_b32_e32 v6, v34, v6
	v_cndmask_b32_e64 v34, -1, v19, s[2:3]
	v_lshrrev_b64 v[23:24], s68, v[23:24]
	v_lshrrev_b64 v[32:33], s68, v[32:33]
	v_cndmask_b32_e64 v37, v1, v22, s[4:5]
	v_xor_b32_e32 v5, v36, v5
	v_cndmask_b32_e64 v36, -1, v21, s[4:5]
	v_lshrrev_b64 v[33:34], s68, v[34:35]
	v_lshrrev_b64 v[34:35], s68, v[36:37]
	v_and_b32_e32 v23, s15, v23
	v_and_b32_e32 v24, s15, v32
	;; [unrolled: 1-line block ×3, first 2 shown]
	v_lshlrev_b32_e32 v62, 3, v23
	v_and_b32_e32 v36, s15, v34
	v_lshlrev_b32_e32 v63, 3, v24
	v_lshlrev_b32_e32 v64, 3, v32
	ds_read_b64 v[23:24], v62
	ds_read_b64 v[32:33], v63
	;; [unrolled: 1-line block ×3, first 2 shown]
	v_lshlrev_b32_e32 v65, 3, v36
	ds_read_b64 v[36:37], v65
	s_waitcnt lgkmcnt(3)
	v_lshlrev_b64 v[23:24], 3, v[23:24]
	s_waitcnt lgkmcnt(2)
	v_lshlrev_b64 v[32:33], 3, v[32:33]
	v_add_co_u32_e32 v23, vcc, s58, v23
	v_addc_co_u32_e32 v8, vcc, v8, v24, vcc
	s_waitcnt lgkmcnt(1)
	v_lshlrev_b64 v[34:35], 3, v[34:35]
	v_add_co_u32_e32 v32, vcc, s58, v32
	v_addc_co_u32_e32 v12, vcc, v12, v33, vcc
	v_add_co_u32_e32 v34, vcc, s58, v34
	v_addc_co_u32_e32 v16, vcc, v16, v35, vcc
	;; [unrolled: 2-line block ×3, first 2 shown]
	v_add_co_u32_e32 v32, vcc, v32, v0
	v_ashrrev_i32_e32 v39, 31, v20
	v_addc_co_u32_e32 v33, vcc, 0, v12, vcc
	v_ashrrev_i32_e32 v41, 31, v22
	v_not_b32_e32 v39, v39
	v_add_co_u32_e32 v34, vcc, v34, v2
	v_xor_b32_e32 v20, v38, v20
	v_xor_b32_e32 v19, v39, v19
	v_addc_co_u32_e32 v35, vcc, 0, v16, vcc
	global_store_dwordx2 v[23:24], v[3:4], off
	global_store_dwordx2 v[32:33], v[5:6], off offset:2048
	global_store_dwordx2 v[34:35], v[19:20], off
	v_not_b32_e32 v3, v41
	v_xor_b32_e32 v19, v3, v21
	s_waitcnt lgkmcnt(0)
	v_lshlrev_b64 v[3:4], 3, v[36:37]
	v_mov_b32_e32 v5, s59
	v_add_co_u32_e32 v8, vcc, s58, v3
	v_addc_co_u32_e32 v12, vcc, v5, v4, vcc
	ds_read2st64_b64 v[3:6], v0 offset0:20 offset1:24
	v_cmp_gt_i64_e64 s[8:9], 0, v[21:22]
	v_or_b32_e32 v16, 0x1800, v0
	v_cndmask_b32_e64 v40, v1, 0, s[8:9]
	v_add_co_u32_e32 v21, vcc, v8, v16
	v_xor_b32_e32 v20, v40, v22
	v_addc_co_u32_e32 v22, vcc, 0, v12, vcc
	s_waitcnt lgkmcnt(0)
	v_cmp_ne_u64_e32 vcc, s[12:13], v[3:4]
	global_store_dwordx2 v[21:22], v[19:20], off
	v_ashrrev_i32_e32 v19, 31, v4
	v_not_b32_e32 v19, v19
	v_cndmask_b32_e32 v24, v1, v4, vcc
	v_cndmask_b32_e32 v23, -1, v3, vcc
	v_cmp_gt_i64_e32 vcc, 0, v[3:4]
	v_xor_b32_e32 v3, v19, v3
	ds_read2st64_b64 v[19:22], v0 offset0:28 offset1:32
	v_lshrrev_b64 v[23:24], s68, v[23:24]
	v_cndmask_b32_e64 v12, v1, 0, vcc
	v_cmp_ne_u64_e32 vcc, s[12:13], v[5:6]
	v_and_b32_e32 v8, s15, v23
	v_cndmask_b32_e32 v24, v1, v6, vcc
	v_cndmask_b32_e32 v23, -1, v5, vcc
	v_lshrrev_b64 v[23:24], s68, v[23:24]
	s_waitcnt lgkmcnt(0)
	v_cmp_ne_u64_e32 vcc, s[12:13], v[19:20]
	v_lshlrev_b32_e32 v66, 3, v8
	ds_read_b64 v[32:33], v66
	v_and_b32_e32 v8, s15, v23
	v_cndmask_b32_e32 v24, v1, v20, vcc
	v_cndmask_b32_e32 v23, -1, v19, vcc
	v_lshrrev_b64 v[23:24], s68, v[23:24]
	v_cmp_ne_u64_e32 vcc, s[12:13], v[21:22]
	v_lshlrev_b32_e32 v67, 3, v8
	v_and_b32_e32 v8, s15, v23
	v_cndmask_b32_e32 v24, v1, v22, vcc
	v_cndmask_b32_e32 v23, -1, v21, vcc
	v_lshrrev_b64 v[23:24], s68, v[23:24]
	s_waitcnt lgkmcnt(0)
	v_lshlrev_b64 v[32:33], 3, v[32:33]
	v_lshlrev_b32_e32 v68, 3, v8
	v_and_b32_e32 v8, s15, v23
	v_xor_b32_e32 v4, v12, v4
	v_lshlrev_b32_e32 v69, 3, v8
	v_mov_b32_e32 v8, s59
	v_add_co_u32_e32 v12, vcc, s58, v32
	v_addc_co_u32_e32 v8, vcc, v8, v33, vcc
	v_add_co_u32_e32 v32, vcc, v12, v70
	v_addc_co_u32_e32 v33, vcc, 0, v8, vcc
	ds_read_b64 v[23:24], v67
	ds_read_b64 v[34:35], v68
	;; [unrolled: 1-line block ×3, first 2 shown]
	v_cmp_gt_i64_e32 vcc, 0, v[5:6]
	global_store_dwordx2 v[32:33], v[3:4], off
	v_ashrrev_i32_e32 v4, 31, v6
	v_cndmask_b32_e64 v3, v1, 0, vcc
	v_not_b32_e32 v8, v4
	v_xor_b32_e32 v4, v3, v6
	v_xor_b32_e32 v3, v8, v5
	s_waitcnt lgkmcnt(2)
	v_lshlrev_b64 v[5:6], 3, v[23:24]
	v_mov_b32_e32 v8, s59
	v_add_co_u32_e32 v5, vcc, s58, v5
	v_addc_co_u32_e32 v6, vcc, v8, v6, vcc
	v_add_co_u32_e32 v5, vcc, v5, v71
	v_addc_co_u32_e32 v6, vcc, 0, v6, vcc
	v_cmp_gt_i64_e32 vcc, 0, v[19:20]
	global_store_dwordx2 v[5:6], v[3:4], off
	v_ashrrev_i32_e32 v4, 31, v20
	v_cndmask_b32_e64 v3, v1, 0, vcc
	v_not_b32_e32 v5, v4
	v_xor_b32_e32 v4, v3, v20
	v_xor_b32_e32 v3, v5, v19
	s_waitcnt lgkmcnt(1)
	v_lshlrev_b64 v[5:6], 3, v[34:35]
	s_add_u32 s0, s60, s10
	v_add_co_u32_e32 v5, vcc, s58, v5
	v_addc_co_u32_e32 v6, vcc, v8, v6, vcc
	v_add_co_u32_e32 v5, vcc, v5, v72
	v_addc_co_u32_e32 v6, vcc, 0, v6, vcc
	v_cmp_gt_i64_e32 vcc, 0, v[21:22]
	global_store_dwordx2 v[5:6], v[3:4], off
	v_ashrrev_i32_e32 v4, 31, v22
	v_cndmask_b32_e64 v3, v1, 0, vcc
	v_not_b32_e32 v4, v4
	v_xor_b32_e32 v20, v3, v22
	v_xor_b32_e32 v19, v4, v21
	s_waitcnt lgkmcnt(0)
	v_lshlrev_b64 v[3:4], 3, v[36:37]
	v_mov_b32_e32 v5, s59
	v_add_co_u32_e32 v8, vcc, s58, v3
	v_addc_co_u32_e32 v12, vcc, v5, v4, vcc
	ds_read2st64_b64 v[3:6], v0 offset0:36 offset1:40
	v_add_co_u32_e32 v21, vcc, v8, v73
	v_addc_co_u32_e32 v22, vcc, 0, v12, vcc
	s_waitcnt lgkmcnt(0)
	v_cmp_ne_u64_e32 vcc, s[12:13], v[3:4]
	global_store_dwordx2 v[21:22], v[19:20], off
	v_ashrrev_i32_e32 v19, 31, v4
	v_not_b32_e32 v19, v19
	v_cndmask_b32_e32 v24, v1, v4, vcc
	v_cndmask_b32_e32 v23, -1, v3, vcc
	v_cmp_gt_i64_e32 vcc, 0, v[3:4]
	v_xor_b32_e32 v3, v19, v3
	ds_read2st64_b64 v[19:22], v0 offset0:44 offset1:48
	v_lshrrev_b64 v[23:24], s68, v[23:24]
	v_cndmask_b32_e64 v12, v1, 0, vcc
	v_cmp_ne_u64_e32 vcc, s[12:13], v[5:6]
	v_and_b32_e32 v8, s15, v23
	v_cndmask_b32_e32 v24, v1, v6, vcc
	v_cndmask_b32_e32 v23, -1, v5, vcc
	v_lshrrev_b64 v[23:24], s68, v[23:24]
	s_waitcnt lgkmcnt(0)
	v_cmp_ne_u64_e32 vcc, s[12:13], v[19:20]
	v_lshlrev_b32_e32 v74, 3, v8
	v_and_b32_e32 v8, s15, v23
	v_cndmask_b32_e32 v24, v1, v20, vcc
	v_cndmask_b32_e32 v23, -1, v19, vcc
	v_lshrrev_b64 v[23:24], s68, v[23:24]
	v_cmp_ne_u64_e32 vcc, s[12:13], v[21:22]
	v_lshlrev_b32_e32 v75, 3, v8
	v_and_b32_e32 v8, s15, v23
	v_cndmask_b32_e32 v24, v1, v22, vcc
	v_cndmask_b32_e32 v23, -1, v21, vcc
	v_lshrrev_b64 v[23:24], s68, v[23:24]
	v_lshlrev_b32_e32 v76, 3, v8
	v_and_b32_e32 v8, s15, v23
	s_addc_u32 s1, s61, s11
	v_xor_b32_e32 v4, v12, v4
	v_lshlrev_b32_e32 v77, 3, v8
	v_mov_b32_e32 v8, s1
	v_add_co_u32_e32 v12, vcc, s0, v29
	v_addc_co_u32_e32 v8, vcc, 0, v8, vcc
	v_add_co_u32_e32 v29, vcc, v12, v30
	v_addc_co_u32_e32 v30, vcc, 0, v8, vcc
	ds_read_b64 v[32:33], v74
	ds_read_b64 v[23:24], v75
	;; [unrolled: 1-line block ×4, first 2 shown]
	global_load_dwordx2 v[38:39], v[29:30], off
	global_load_dwordx2 v[40:41], v[29:30], off offset:512
	global_load_dwordx2 v[42:43], v[29:30], off offset:1024
	;; [unrolled: 1-line block ×7, first 2 shown]
	v_add_co_u32_e32 v29, vcc, s7, v29
	v_addc_co_u32_e32 v30, vcc, 0, v30, vcc
	global_load_dwordx2 v[54:55], v[29:30], off
	global_load_dwordx2 v[56:57], v[29:30], off offset:512
	global_load_dwordx2 v[58:59], v[29:30], off offset:1024
	global_load_dwordx2 v[60:61], v[29:30], off offset:1536
	s_waitcnt lgkmcnt(3)
	v_lshlrev_b64 v[32:33], 3, v[32:33]
	v_mov_b32_e32 v8, s59
	v_add_co_u32_e32 v12, vcc, s58, v32
	v_addc_co_u32_e32 v8, vcc, v8, v33, vcc
	v_or_b32_e32 v32, 0x4000, v0
	v_add_co_u32_e32 v29, vcc, v12, v32
	v_addc_co_u32_e32 v30, vcc, 0, v8, vcc
	v_cmp_gt_i64_e32 vcc, 0, v[5:6]
	global_store_dwordx2 v[29:30], v[3:4], off
	v_ashrrev_i32_e32 v4, 31, v6
	v_cndmask_b32_e64 v3, v1, 0, vcc
	v_not_b32_e32 v8, v4
	v_xor_b32_e32 v4, v3, v6
	v_xor_b32_e32 v3, v8, v5
	s_waitcnt lgkmcnt(2)
	v_lshlrev_b64 v[5:6], 3, v[23:24]
	v_mov_b32_e32 v8, s59
	v_add_co_u32_e32 v5, vcc, s58, v5
	v_addc_co_u32_e32 v6, vcc, v8, v6, vcc
	v_or_b32_e32 v23, 0x4800, v0
	v_add_co_u32_e32 v5, vcc, v5, v23
	v_addc_co_u32_e32 v6, vcc, 0, v6, vcc
	v_cmp_gt_i64_e32 vcc, 0, v[19:20]
	global_store_dwordx2 v[5:6], v[3:4], off
	v_ashrrev_i32_e32 v4, 31, v20
	v_cndmask_b32_e64 v3, v1, 0, vcc
	v_not_b32_e32 v5, v4
	v_xor_b32_e32 v4, v3, v20
	v_xor_b32_e32 v3, v5, v19
	s_waitcnt lgkmcnt(1)
	v_lshlrev_b64 v[5:6], 3, v[34:35]
	v_or_b32_e32 v19, 0x5000, v0
	v_add_co_u32_e32 v5, vcc, s58, v5
	v_addc_co_u32_e32 v6, vcc, v8, v6, vcc
	v_add_co_u32_e32 v5, vcc, v5, v19
	v_addc_co_u32_e32 v6, vcc, 0, v6, vcc
	v_cmp_gt_i64_e32 vcc, 0, v[21:22]
	global_store_dwordx2 v[5:6], v[3:4], off
	s_waitcnt lgkmcnt(0)
	v_lshlrev_b64 v[5:6], 3, v[36:37]
	v_cndmask_b32_e64 v1, v1, 0, vcc
	v_xor_b32_e32 v4, v1, v22
	v_mov_b32_e32 v1, s59
	v_add_co_u32_e32 v5, vcc, s58, v5
	v_ashrrev_i32_e32 v3, 31, v22
	v_addc_co_u32_e32 v1, vcc, v1, v6, vcc
	v_or_b32_e32 v20, 0x5800, v0
	v_not_b32_e32 v3, v3
	v_add_co_u32_e32 v5, vcc, v5, v20
	v_xor_b32_e32 v3, v3, v21
	v_addc_co_u32_e32 v6, vcc, 0, v1, vcc
	global_store_dwordx2 v[5:6], v[3:4], off
	s_waitcnt vmcnt(0)
	s_barrier
	ds_write_b64 v26, v[38:39] offset:2048
	ds_write_b64 v27, v[40:41] offset:2048
	;; [unrolled: 1-line block ×12, first 2 shown]
	s_waitcnt lgkmcnt(0)
	s_barrier
	ds_read_b64 v[8:9], v62
	ds_read2st64_b64 v[3:6], v0 offset0:4 offset1:8
	ds_read_b64 v[10:11], v63
	ds_read_b64 v[12:13], v64
	;; [unrolled: 1-line block ×3, first 2 shown]
	s_waitcnt lgkmcnt(4)
	v_lshlrev_b64 v[8:9], 3, v[8:9]
	v_mov_b32_e32 v1, s63
	v_add_co_u32_e32 v8, vcc, s62, v8
	v_addc_co_u32_e32 v1, vcc, v1, v9, vcc
	v_add_co_u32_e32 v8, vcc, v8, v0
	v_addc_co_u32_e32 v9, vcc, 0, v1, vcc
	s_waitcnt lgkmcnt(3)
	global_store_dwordx2 v[8:9], v[3:4], off
	s_waitcnt lgkmcnt(2)
	v_lshlrev_b64 v[3:4], 3, v[10:11]
	v_mov_b32_e32 v1, s63
	v_add_co_u32_e32 v3, vcc, s62, v3
	v_addc_co_u32_e32 v1, vcc, v1, v4, vcc
	v_add_co_u32_e32 v3, vcc, v3, v0
	v_addc_co_u32_e32 v4, vcc, 0, v1, vcc
	s_waitcnt lgkmcnt(1)
	v_lshlrev_b64 v[8:9], 3, v[12:13]
	global_store_dwordx2 v[3:4], v[5:6], off offset:2048
	ds_read2st64_b64 v[3:6], v0 offset0:12 offset1:16
	v_mov_b32_e32 v1, s63
	v_add_co_u32_e32 v8, vcc, s62, v8
	v_addc_co_u32_e32 v9, vcc, v1, v9, vcc
	v_add_co_u32_e32 v1, vcc, v8, v2
	v_addc_co_u32_e32 v2, vcc, 0, v9, vcc
	s_waitcnt lgkmcnt(0)
	global_store_dwordx2 v[1:2], v[3:4], off
	v_lshlrev_b64 v[1:2], 3, v[14:15]
	v_mov_b32_e32 v3, s63
	v_add_co_u32_e32 v1, vcc, s62, v1
	v_addc_co_u32_e32 v2, vcc, v3, v2, vcc
	v_add_co_u32_e32 v1, vcc, v1, v16
	v_addc_co_u32_e32 v2, vcc, 0, v2, vcc
	global_store_dwordx2 v[1:2], v[5:6], off
	ds_read_b64 v[5:6], v66
	ds_read2st64_b64 v[1:4], v0 offset0:20 offset1:24
	ds_read_b64 v[8:9], v67
	ds_read_b64 v[10:11], v68
	;; [unrolled: 1-line block ×3, first 2 shown]
	s_waitcnt lgkmcnt(4)
	v_lshlrev_b64 v[5:6], 3, v[5:6]
	v_mov_b32_e32 v14, s63
	v_add_co_u32_e32 v5, vcc, s62, v5
	v_addc_co_u32_e32 v6, vcc, v14, v6, vcc
	v_add_co_u32_e32 v5, vcc, v5, v70
	v_addc_co_u32_e32 v6, vcc, 0, v6, vcc
	s_waitcnt lgkmcnt(3)
	global_store_dwordx2 v[5:6], v[1:2], off
	s_waitcnt lgkmcnt(2)
	v_lshlrev_b64 v[1:2], 3, v[8:9]
	v_mov_b32_e32 v5, s63
	v_add_co_u32_e32 v1, vcc, s62, v1
	v_addc_co_u32_e32 v2, vcc, v5, v2, vcc
	v_add_co_u32_e32 v1, vcc, v1, v71
	v_addc_co_u32_e32 v2, vcc, 0, v2, vcc
	s_waitcnt lgkmcnt(1)
	v_lshlrev_b64 v[5:6], 3, v[10:11]
	global_store_dwordx2 v[1:2], v[3:4], off
	ds_read2st64_b64 v[1:4], v0 offset0:28 offset1:32
	v_mov_b32_e32 v8, s63
	v_add_co_u32_e32 v5, vcc, s62, v5
	v_addc_co_u32_e32 v6, vcc, v8, v6, vcc
	v_add_co_u32_e32 v5, vcc, v5, v72
	v_addc_co_u32_e32 v6, vcc, 0, v6, vcc
	s_waitcnt lgkmcnt(0)
	global_store_dwordx2 v[5:6], v[1:2], off
	v_lshlrev_b64 v[1:2], 3, v[12:13]
	v_mov_b32_e32 v5, s63
	v_add_co_u32_e32 v1, vcc, s62, v1
	v_addc_co_u32_e32 v2, vcc, v5, v2, vcc
	v_add_co_u32_e32 v1, vcc, v1, v73
	v_addc_co_u32_e32 v2, vcc, 0, v2, vcc
	global_store_dwordx2 v[1:2], v[3:4], off
	ds_read_b64 v[5:6], v74
	ds_read2st64_b64 v[1:4], v0 offset0:36 offset1:40
	ds_read_b64 v[8:9], v75
	ds_read_b64 v[10:11], v76
	;; [unrolled: 1-line block ×3, first 2 shown]
	s_waitcnt lgkmcnt(4)
	v_lshlrev_b64 v[5:6], 3, v[5:6]
	s_add_i32 s14, s14, -1
	v_add_co_u32_e32 v5, vcc, s62, v5
	v_addc_co_u32_e32 v6, vcc, v14, v6, vcc
	v_add_co_u32_e32 v5, vcc, v5, v32
	v_addc_co_u32_e32 v6, vcc, 0, v6, vcc
	s_waitcnt lgkmcnt(3)
	global_store_dwordx2 v[5:6], v[1:2], off
	s_waitcnt lgkmcnt(2)
	v_lshlrev_b64 v[1:2], 3, v[8:9]
	v_mov_b32_e32 v5, s63
	v_add_co_u32_e32 v1, vcc, s62, v1
	v_addc_co_u32_e32 v2, vcc, v5, v2, vcc
	v_add_co_u32_e32 v1, vcc, v1, v23
	v_addc_co_u32_e32 v2, vcc, 0, v2, vcc
	s_waitcnt lgkmcnt(1)
	v_lshlrev_b64 v[5:6], 3, v[10:11]
	global_store_dwordx2 v[1:2], v[3:4], off
	ds_read2st64_b64 v[1:4], v0 offset0:44 offset1:48
	v_mov_b32_e32 v8, s63
	v_add_co_u32_e32 v5, vcc, s62, v5
	v_addc_co_u32_e32 v6, vcc, v8, v6, vcc
	v_add_co_u32_e32 v5, vcc, v5, v19
	v_addc_co_u32_e32 v6, vcc, 0, v6, vcc
	s_waitcnt lgkmcnt(0)
	global_store_dwordx2 v[5:6], v[1:2], off
	v_lshlrev_b64 v[1:2], 3, v[12:13]
	v_mov_b32_e32 v5, s63
	v_add_co_u32_e32 v1, vcc, s62, v1
	v_addc_co_u32_e32 v2, vcc, v5, v2, vcc
	v_add_co_u32_e32 v1, vcc, v1, v20
	v_addc_co_u32_e32 v2, vcc, 0, v2, vcc
	s_cmp_lg_u32 s6, s14
	global_store_dwordx2 v[1:2], v[3:4], off
	s_cbranch_scc1 .LBB150_195
; %bb.194:
	ds_read_b64 v[1:2], v0
	v_add_co_u32_e32 v3, vcc, v7, v25
	v_addc_co_u32_e64 v4, s[0:1], 0, 0, vcc
	s_waitcnt lgkmcnt(0)
	v_add_co_u32_e32 v1, vcc, v3, v1
	v_addc_co_u32_e32 v2, vcc, v4, v2, vcc
	global_store_dwordx2 v0, v[1:2], s[66:67]
.LBB150_195:
	s_endpgm
.LBB150_196:
	s_or_b64 exec, exec, s[0:1]
	s_and_saveexec_b64 s[0:1], s[28:29]
	s_cbranch_execz .LBB150_139
.LBB150_197:
	v_lshlrev_b32_e32 v3, 3, v27
	ds_read_b64 v[3:4], v3
	ds_read_b64 v[5:6], v34 offset:4096
	v_mov_b32_e32 v7, s63
	s_waitcnt lgkmcnt(1)
	v_lshlrev_b64 v[3:4], 3, v[3:4]
	v_add_co_u32_e32 v3, vcc, s62, v3
	v_addc_co_u32_e32 v4, vcc, v7, v4, vcc
	v_add_co_u32_e32 v3, vcc, v3, v34
	v_addc_co_u32_e32 v4, vcc, 0, v4, vcc
	s_waitcnt lgkmcnt(0)
	global_store_dwordx2 v[3:4], v[5:6], off offset:2048
	s_or_b64 exec, exec, s[0:1]
	s_and_saveexec_b64 s[0:1], s[30:31]
	s_cbranch_execnz .LBB150_140
.LBB150_198:
	s_or_b64 exec, exec, s[0:1]
	s_and_saveexec_b64 s[0:1], s[34:35]
	s_cbranch_execz .LBB150_141
.LBB150_199:
	v_lshlrev_b32_e32 v3, 3, v28
	ds_read_b64 v[3:4], v3
	ds_read_b64 v[5:6], v34 offset:8192
	v_mov_b32_e32 v7, s63
	s_waitcnt lgkmcnt(1)
	v_lshlrev_b64 v[3:4], 3, v[3:4]
	v_add_co_u32_e32 v3, vcc, s62, v3
	v_addc_co_u32_e32 v4, vcc, v7, v4, vcc
	v_lshlrev_b32_e32 v7, 3, v48
	v_add_co_u32_e32 v3, vcc, v3, v7
	v_addc_co_u32_e32 v4, vcc, 0, v4, vcc
	s_waitcnt lgkmcnt(0)
	global_store_dwordx2 v[3:4], v[5:6], off
	s_or_b64 exec, exec, s[0:1]
	s_and_saveexec_b64 s[0:1], s[36:37]
	s_cbranch_execnz .LBB150_142
.LBB150_200:
	s_or_b64 exec, exec, s[0:1]
	s_and_saveexec_b64 s[0:1], s[38:39]
	s_cbranch_execz .LBB150_143
.LBB150_201:
	v_lshlrev_b32_e32 v3, 3, v32
	ds_read_b64 v[3:4], v3
	ds_read_b64 v[5:6], v34 offset:12288
	v_mov_b32_e32 v7, s63
	s_waitcnt lgkmcnt(1)
	v_lshlrev_b64 v[3:4], 3, v[3:4]
	v_add_co_u32_e32 v3, vcc, s62, v3
	v_addc_co_u32_e32 v4, vcc, v7, v4, vcc
	v_lshlrev_b32_e32 v7, 3, v50
	v_add_co_u32_e32 v3, vcc, v3, v7
	v_addc_co_u32_e32 v4, vcc, 0, v4, vcc
	s_waitcnt lgkmcnt(0)
	global_store_dwordx2 v[3:4], v[5:6], off
	s_or_b64 exec, exec, s[0:1]
	s_and_saveexec_b64 s[0:1], s[40:41]
	s_cbranch_execnz .LBB150_144
.LBB150_202:
	s_or_b64 exec, exec, s[0:1]
	s_and_saveexec_b64 s[0:1], s[42:43]
	s_cbranch_execz .LBB150_145
.LBB150_203:
	v_lshlrev_b32_e32 v3, 3, v33
	ds_read_b64 v[3:4], v3
	ds_read_b64 v[5:6], v34 offset:16384
	v_mov_b32_e32 v7, s63
	s_waitcnt lgkmcnt(1)
	v_lshlrev_b64 v[3:4], 3, v[3:4]
	v_add_co_u32_e32 v3, vcc, s62, v3
	v_addc_co_u32_e32 v4, vcc, v7, v4, vcc
	v_lshlrev_b32_e32 v7, 3, v52
	v_add_co_u32_e32 v3, vcc, v3, v7
	v_addc_co_u32_e32 v4, vcc, 0, v4, vcc
	s_waitcnt lgkmcnt(0)
	global_store_dwordx2 v[3:4], v[5:6], off
	s_or_b64 exec, exec, s[0:1]
	s_and_saveexec_b64 s[0:1], s[44:45]
	s_cbranch_execnz .LBB150_146
.LBB150_204:
	s_or_b64 exec, exec, s[0:1]
	s_and_saveexec_b64 s[0:1], s[46:47]
	s_cbranch_execz .LBB150_147
.LBB150_205:
	v_lshlrev_b32_e32 v3, 3, v57
	ds_read_b64 v[3:4], v3
	ds_read_b64 v[5:6], v34 offset:20480
	v_mov_b32_e32 v7, s63
	s_waitcnt lgkmcnt(1)
	v_lshlrev_b64 v[3:4], 3, v[3:4]
	v_add_co_u32_e32 v3, vcc, s62, v3
	v_addc_co_u32_e32 v4, vcc, v7, v4, vcc
	v_lshlrev_b32_e32 v7, 3, v54
	v_add_co_u32_e32 v3, vcc, v3, v7
	v_addc_co_u32_e32 v4, vcc, 0, v4, vcc
	s_waitcnt lgkmcnt(0)
	global_store_dwordx2 v[3:4], v[5:6], off
	s_or_b64 exec, exec, s[0:1]
	s_and_saveexec_b64 s[0:1], s[48:49]
	s_cbranch_execnz .LBB150_148
.LBB150_206:
	s_or_b64 exec, exec, s[0:1]
	s_and_saveexec_b64 s[0:1], s[50:51]
	s_cbranch_execz .LBB150_149
.LBB150_207:
	v_lshlrev_b32_e32 v3, 3, v59
	ds_read_b64 v[3:4], v3
	ds_read_b64 v[5:6], v34 offset:24576
	v_mov_b32_e32 v7, s63
	s_waitcnt lgkmcnt(1)
	v_lshlrev_b64 v[3:4], 3, v[3:4]
	v_add_co_u32_e32 v3, vcc, s62, v3
	v_addc_co_u32_e32 v4, vcc, v7, v4, vcc
	v_lshlrev_b32_e32 v7, 3, v56
	v_add_co_u32_e32 v3, vcc, v3, v7
	v_addc_co_u32_e32 v4, vcc, 0, v4, vcc
	s_waitcnt lgkmcnt(0)
	global_store_dwordx2 v[3:4], v[5:6], off
	s_or_b64 exec, exec, s[0:1]
	s_add_i32 s33, s33, -1
	s_cmp_eq_u32 s6, s33
	s_cbranch_scc1 .LBB150_150
	s_branch .LBB150_151
	.section	.rodata,"a",@progbits
	.p2align	6, 0x0
	.amdhsa_kernel _ZN7rocprim17ROCPRIM_304000_NS6detail25onesweep_iteration_kernelINS1_34wrapped_radix_sort_onesweep_configINS0_14default_configEdN2at4cuda3cub6detail10OpaqueTypeILi8EEEEELb1EPdSC_PSA_SD_mNS0_19identity_decomposerEEEvT1_T2_T3_T4_jPT5_SK_PNS1_23onesweep_lookback_stateET6_jjj
		.amdhsa_group_segment_fixed_size 26624
		.amdhsa_private_segment_fixed_size 0
		.amdhsa_kernarg_size 336
		.amdhsa_user_sgpr_count 6
		.amdhsa_user_sgpr_private_segment_buffer 1
		.amdhsa_user_sgpr_dispatch_ptr 0
		.amdhsa_user_sgpr_queue_ptr 0
		.amdhsa_user_sgpr_kernarg_segment_ptr 1
		.amdhsa_user_sgpr_dispatch_id 0
		.amdhsa_user_sgpr_flat_scratch_init 0
		.amdhsa_user_sgpr_private_segment_size 0
		.amdhsa_uses_dynamic_stack 0
		.amdhsa_system_sgpr_private_segment_wavefront_offset 0
		.amdhsa_system_sgpr_workgroup_id_x 1
		.amdhsa_system_sgpr_workgroup_id_y 0
		.amdhsa_system_sgpr_workgroup_id_z 0
		.amdhsa_system_sgpr_workgroup_info 0
		.amdhsa_system_vgpr_workitem_id 2
		.amdhsa_next_free_vgpr 85
		.amdhsa_next_free_sgpr 98
		.amdhsa_reserve_vcc 1
		.amdhsa_reserve_flat_scratch 0
		.amdhsa_float_round_mode_32 0
		.amdhsa_float_round_mode_16_64 0
		.amdhsa_float_denorm_mode_32 3
		.amdhsa_float_denorm_mode_16_64 3
		.amdhsa_dx10_clamp 1
		.amdhsa_ieee_mode 1
		.amdhsa_fp16_overflow 0
		.amdhsa_exception_fp_ieee_invalid_op 0
		.amdhsa_exception_fp_denorm_src 0
		.amdhsa_exception_fp_ieee_div_zero 0
		.amdhsa_exception_fp_ieee_overflow 0
		.amdhsa_exception_fp_ieee_underflow 0
		.amdhsa_exception_fp_ieee_inexact 0
		.amdhsa_exception_int_div_zero 0
	.end_amdhsa_kernel
	.section	.text._ZN7rocprim17ROCPRIM_304000_NS6detail25onesweep_iteration_kernelINS1_34wrapped_radix_sort_onesweep_configINS0_14default_configEdN2at4cuda3cub6detail10OpaqueTypeILi8EEEEELb1EPdSC_PSA_SD_mNS0_19identity_decomposerEEEvT1_T2_T3_T4_jPT5_SK_PNS1_23onesweep_lookback_stateET6_jjj,"axG",@progbits,_ZN7rocprim17ROCPRIM_304000_NS6detail25onesweep_iteration_kernelINS1_34wrapped_radix_sort_onesweep_configINS0_14default_configEdN2at4cuda3cub6detail10OpaqueTypeILi8EEEEELb1EPdSC_PSA_SD_mNS0_19identity_decomposerEEEvT1_T2_T3_T4_jPT5_SK_PNS1_23onesweep_lookback_stateET6_jjj,comdat
.Lfunc_end150:
	.size	_ZN7rocprim17ROCPRIM_304000_NS6detail25onesweep_iteration_kernelINS1_34wrapped_radix_sort_onesweep_configINS0_14default_configEdN2at4cuda3cub6detail10OpaqueTypeILi8EEEEELb1EPdSC_PSA_SD_mNS0_19identity_decomposerEEEvT1_T2_T3_T4_jPT5_SK_PNS1_23onesweep_lookback_stateET6_jjj, .Lfunc_end150-_ZN7rocprim17ROCPRIM_304000_NS6detail25onesweep_iteration_kernelINS1_34wrapped_radix_sort_onesweep_configINS0_14default_configEdN2at4cuda3cub6detail10OpaqueTypeILi8EEEEELb1EPdSC_PSA_SD_mNS0_19identity_decomposerEEEvT1_T2_T3_T4_jPT5_SK_PNS1_23onesweep_lookback_stateET6_jjj
                                        ; -- End function
	.set _ZN7rocprim17ROCPRIM_304000_NS6detail25onesweep_iteration_kernelINS1_34wrapped_radix_sort_onesweep_configINS0_14default_configEdN2at4cuda3cub6detail10OpaqueTypeILi8EEEEELb1EPdSC_PSA_SD_mNS0_19identity_decomposerEEEvT1_T2_T3_T4_jPT5_SK_PNS1_23onesweep_lookback_stateET6_jjj.num_vgpr, 78
	.set _ZN7rocprim17ROCPRIM_304000_NS6detail25onesweep_iteration_kernelINS1_34wrapped_radix_sort_onesweep_configINS0_14default_configEdN2at4cuda3cub6detail10OpaqueTypeILi8EEEEELb1EPdSC_PSA_SD_mNS0_19identity_decomposerEEEvT1_T2_T3_T4_jPT5_SK_PNS1_23onesweep_lookback_stateET6_jjj.num_agpr, 0
	.set _ZN7rocprim17ROCPRIM_304000_NS6detail25onesweep_iteration_kernelINS1_34wrapped_radix_sort_onesweep_configINS0_14default_configEdN2at4cuda3cub6detail10OpaqueTypeILi8EEEEELb1EPdSC_PSA_SD_mNS0_19identity_decomposerEEEvT1_T2_T3_T4_jPT5_SK_PNS1_23onesweep_lookback_stateET6_jjj.numbered_sgpr, 78
	.set _ZN7rocprim17ROCPRIM_304000_NS6detail25onesweep_iteration_kernelINS1_34wrapped_radix_sort_onesweep_configINS0_14default_configEdN2at4cuda3cub6detail10OpaqueTypeILi8EEEEELb1EPdSC_PSA_SD_mNS0_19identity_decomposerEEEvT1_T2_T3_T4_jPT5_SK_PNS1_23onesweep_lookback_stateET6_jjj.num_named_barrier, 0
	.set _ZN7rocprim17ROCPRIM_304000_NS6detail25onesweep_iteration_kernelINS1_34wrapped_radix_sort_onesweep_configINS0_14default_configEdN2at4cuda3cub6detail10OpaqueTypeILi8EEEEELb1EPdSC_PSA_SD_mNS0_19identity_decomposerEEEvT1_T2_T3_T4_jPT5_SK_PNS1_23onesweep_lookback_stateET6_jjj.private_seg_size, 0
	.set _ZN7rocprim17ROCPRIM_304000_NS6detail25onesweep_iteration_kernelINS1_34wrapped_radix_sort_onesweep_configINS0_14default_configEdN2at4cuda3cub6detail10OpaqueTypeILi8EEEEELb1EPdSC_PSA_SD_mNS0_19identity_decomposerEEEvT1_T2_T3_T4_jPT5_SK_PNS1_23onesweep_lookback_stateET6_jjj.uses_vcc, 1
	.set _ZN7rocprim17ROCPRIM_304000_NS6detail25onesweep_iteration_kernelINS1_34wrapped_radix_sort_onesweep_configINS0_14default_configEdN2at4cuda3cub6detail10OpaqueTypeILi8EEEEELb1EPdSC_PSA_SD_mNS0_19identity_decomposerEEEvT1_T2_T3_T4_jPT5_SK_PNS1_23onesweep_lookback_stateET6_jjj.uses_flat_scratch, 0
	.set _ZN7rocprim17ROCPRIM_304000_NS6detail25onesweep_iteration_kernelINS1_34wrapped_radix_sort_onesweep_configINS0_14default_configEdN2at4cuda3cub6detail10OpaqueTypeILi8EEEEELb1EPdSC_PSA_SD_mNS0_19identity_decomposerEEEvT1_T2_T3_T4_jPT5_SK_PNS1_23onesweep_lookback_stateET6_jjj.has_dyn_sized_stack, 0
	.set _ZN7rocprim17ROCPRIM_304000_NS6detail25onesweep_iteration_kernelINS1_34wrapped_radix_sort_onesweep_configINS0_14default_configEdN2at4cuda3cub6detail10OpaqueTypeILi8EEEEELb1EPdSC_PSA_SD_mNS0_19identity_decomposerEEEvT1_T2_T3_T4_jPT5_SK_PNS1_23onesweep_lookback_stateET6_jjj.has_recursion, 0
	.set _ZN7rocprim17ROCPRIM_304000_NS6detail25onesweep_iteration_kernelINS1_34wrapped_radix_sort_onesweep_configINS0_14default_configEdN2at4cuda3cub6detail10OpaqueTypeILi8EEEEELb1EPdSC_PSA_SD_mNS0_19identity_decomposerEEEvT1_T2_T3_T4_jPT5_SK_PNS1_23onesweep_lookback_stateET6_jjj.has_indirect_call, 0
	.section	.AMDGPU.csdata,"",@progbits
; Kernel info:
; codeLenInByte = 20552
; TotalNumSgprs: 82
; NumVgprs: 78
; ScratchSize: 0
; MemoryBound: 0
; FloatMode: 240
; IeeeMode: 1
; LDSByteSize: 26624 bytes/workgroup (compile time only)
; SGPRBlocks: 12
; VGPRBlocks: 21
; NumSGPRsForWavesPerEU: 102
; NumVGPRsForWavesPerEU: 85
; Occupancy: 2
; WaveLimiterHint : 1
; COMPUTE_PGM_RSRC2:SCRATCH_EN: 0
; COMPUTE_PGM_RSRC2:USER_SGPR: 6
; COMPUTE_PGM_RSRC2:TRAP_HANDLER: 0
; COMPUTE_PGM_RSRC2:TGID_X_EN: 1
; COMPUTE_PGM_RSRC2:TGID_Y_EN: 0
; COMPUTE_PGM_RSRC2:TGID_Z_EN: 0
; COMPUTE_PGM_RSRC2:TIDIG_COMP_CNT: 2
	.section	.text._ZN7rocprim17ROCPRIM_304000_NS6detail28radix_sort_block_sort_kernelINS1_36wrapped_radix_sort_block_sort_configINS0_13kernel_configILj256ELj4ELj4294967295EEEdN2at4cuda3cub6detail10OpaqueTypeILi8EEEEELb0EPKdPdPKSB_PSB_NS0_19identity_decomposerEEEvT1_T2_T3_T4_jT5_jj,"axG",@progbits,_ZN7rocprim17ROCPRIM_304000_NS6detail28radix_sort_block_sort_kernelINS1_36wrapped_radix_sort_block_sort_configINS0_13kernel_configILj256ELj4ELj4294967295EEEdN2at4cuda3cub6detail10OpaqueTypeILi8EEEEELb0EPKdPdPKSB_PSB_NS0_19identity_decomposerEEEvT1_T2_T3_T4_jT5_jj,comdat
	.protected	_ZN7rocprim17ROCPRIM_304000_NS6detail28radix_sort_block_sort_kernelINS1_36wrapped_radix_sort_block_sort_configINS0_13kernel_configILj256ELj4ELj4294967295EEEdN2at4cuda3cub6detail10OpaqueTypeILi8EEEEELb0EPKdPdPKSB_PSB_NS0_19identity_decomposerEEEvT1_T2_T3_T4_jT5_jj ; -- Begin function _ZN7rocprim17ROCPRIM_304000_NS6detail28radix_sort_block_sort_kernelINS1_36wrapped_radix_sort_block_sort_configINS0_13kernel_configILj256ELj4ELj4294967295EEEdN2at4cuda3cub6detail10OpaqueTypeILi8EEEEELb0EPKdPdPKSB_PSB_NS0_19identity_decomposerEEEvT1_T2_T3_T4_jT5_jj
	.globl	_ZN7rocprim17ROCPRIM_304000_NS6detail28radix_sort_block_sort_kernelINS1_36wrapped_radix_sort_block_sort_configINS0_13kernel_configILj256ELj4ELj4294967295EEEdN2at4cuda3cub6detail10OpaqueTypeILi8EEEEELb0EPKdPdPKSB_PSB_NS0_19identity_decomposerEEEvT1_T2_T3_T4_jT5_jj
	.p2align	8
	.type	_ZN7rocprim17ROCPRIM_304000_NS6detail28radix_sort_block_sort_kernelINS1_36wrapped_radix_sort_block_sort_configINS0_13kernel_configILj256ELj4ELj4294967295EEEdN2at4cuda3cub6detail10OpaqueTypeILi8EEEEELb0EPKdPdPKSB_PSB_NS0_19identity_decomposerEEEvT1_T2_T3_T4_jT5_jj,@function
_ZN7rocprim17ROCPRIM_304000_NS6detail28radix_sort_block_sort_kernelINS1_36wrapped_radix_sort_block_sort_configINS0_13kernel_configILj256ELj4ELj4294967295EEEdN2at4cuda3cub6detail10OpaqueTypeILi8EEEEELb0EPKdPdPKSB_PSB_NS0_19identity_decomposerEEEvT1_T2_T3_T4_jT5_jj: ; @_ZN7rocprim17ROCPRIM_304000_NS6detail28radix_sort_block_sort_kernelINS1_36wrapped_radix_sort_block_sort_configINS0_13kernel_configILj256ELj4ELj4294967295EEEdN2at4cuda3cub6detail10OpaqueTypeILi8EEEEELb0EPKdPdPKSB_PSB_NS0_19identity_decomposerEEEvT1_T2_T3_T4_jT5_jj
; %bb.0:
	s_load_dword s7, s[4:5], 0x20
	s_load_dwordx8 s[36:43], s[4:5], 0x0
	s_lshl_b32 s0, s6, 10
	s_mov_b32 s1, 0
	v_mbcnt_lo_u32_b32 v3, -1, 0
	s_waitcnt lgkmcnt(0)
	s_lshr_b32 s2, s7, 10
	s_cmp_lg_u32 s6, s2
	s_cselect_b64 s[30:31], -1, 0
	s_lshl_b64 s[28:29], s[0:1], 3
	s_add_u32 s1, s36, s28
	v_mbcnt_hi_u32_b32 v19, -1, v3
	s_addc_u32 s3, s37, s29
	v_lshlrev_b32_e32 v21, 2, v0
	v_lshlrev_b32_e32 v22, 3, v19
	v_and_b32_e32 v23, 0x300, v21
	v_mov_b32_e32 v3, s3
	v_add_co_u32_e32 v4, vcc, s1, v22
	v_addc_co_u32_e32 v3, vcc, 0, v3, vcc
	v_lshlrev_b32_e32 v20, 3, v23
	v_add_co_u32_e32 v17, vcc, v4, v20
	s_cmp_eq_u32 s6, s2
	v_addc_co_u32_e32 v18, vcc, 0, v3, vcc
	s_cbranch_scc1 .LBB151_2
; %bb.1:
	s_add_u32 s1, s40, s28
	s_addc_u32 s2, s41, s29
	v_mov_b32_e32 v11, s2
	v_add_co_u32_e32 v12, vcc, s1, v22
	v_addc_co_u32_e32 v11, vcc, 0, v11, vcc
	v_add_co_u32_e32 v24, vcc, v12, v20
	global_load_dwordx2 v[3:4], v[17:18], off
	global_load_dwordx2 v[5:6], v[17:18], off offset:512
	global_load_dwordx2 v[7:8], v[17:18], off offset:1024
	;; [unrolled: 1-line block ×3, first 2 shown]
	v_addc_co_u32_e32 v25, vcc, 0, v11, vcc
	global_load_dwordx2 v[11:12], v[24:25], off
	global_load_dwordx2 v[13:14], v[24:25], off offset:512
	global_load_dwordx2 v[15:16], v[24:25], off offset:1024
	s_mov_b64 s[8:9], -1
	s_sub_i32 s33, s7, s0
	s_cbranch_execz .LBB151_3
	s_branch .LBB151_16
.LBB151_2:
	s_mov_b64 s[8:9], 0
                                        ; implicit-def: $vgpr3_vgpr4_vgpr5_vgpr6_vgpr7_vgpr8_vgpr9_vgpr10
                                        ; implicit-def: $vgpr11_vgpr12
                                        ; implicit-def: $vgpr15_vgpr16
	s_sub_i32 s33, s7, s0
.LBB151_3:
	s_waitcnt vmcnt(2)
	v_add_u32_e32 v11, v19, v23
	v_mov_b32_e32 v3, -1
	v_bfrev_b32_e32 v4, -2
	v_cmp_gt_u32_e32 vcc, s33, v11
	v_mov_b32_e32 v5, v3
	v_mov_b32_e32 v6, v4
	;; [unrolled: 1-line block ×6, first 2 shown]
	s_and_saveexec_b64 s[0:1], vcc
	s_cbranch_execz .LBB151_5
; %bb.4:
	global_load_dwordx2 v[23:24], v[17:18], off
	v_mov_b32_e32 v25, v3
	v_mov_b32_e32 v26, v4
	;; [unrolled: 1-line block ×6, first 2 shown]
	s_waitcnt vmcnt(0)
	v_mov_b32_e32 v3, v23
	v_mov_b32_e32 v4, v24
	v_mov_b32_e32 v5, v25
	v_mov_b32_e32 v6, v26
	v_mov_b32_e32 v7, v27
	v_mov_b32_e32 v8, v28
	v_mov_b32_e32 v9, v29
	v_mov_b32_e32 v10, v30
.LBB151_5:
	s_or_b64 exec, exec, s[0:1]
	v_add_u32_e32 v12, 64, v11
	v_cmp_gt_u32_e64 s[0:1], s33, v12
	s_and_saveexec_b64 s[2:3], s[0:1]
	s_cbranch_execz .LBB151_7
; %bb.6:
	global_load_dwordx2 v[5:6], v[17:18], off offset:512
.LBB151_7:
	s_or_b64 exec, exec, s[2:3]
	v_add_u32_e32 v12, 0x80, v11
	v_cmp_gt_u32_e64 s[2:3], s33, v12
	s_and_saveexec_b64 s[6:7], s[2:3]
	s_cbranch_execz .LBB151_9
; %bb.8:
	global_load_dwordx2 v[7:8], v[17:18], off offset:1024
.LBB151_9:
	;; [unrolled: 8-line block ×3, first 2 shown]
	s_or_b64 exec, exec, s[6:7]
	s_add_u32 s6, s40, s28
	s_addc_u32 s7, s41, s29
	v_mov_b32_e32 v11, s7
	v_add_co_u32_e64 v12, s[6:7], s6, v22
	v_addc_co_u32_e64 v11, s[6:7], 0, v11, s[6:7]
	v_add_co_u32_e64 v17, s[6:7], v12, v20
	v_addc_co_u32_e64 v18, s[6:7], 0, v11, s[6:7]
                                        ; implicit-def: $vgpr11_vgpr12
	s_and_saveexec_b64 s[6:7], vcc
	s_cbranch_execnz .LBB151_55
; %bb.12:
	s_or_b64 exec, exec, s[6:7]
	s_and_saveexec_b64 s[6:7], s[0:1]
	s_cbranch_execnz .LBB151_56
.LBB151_13:
	s_or_b64 exec, exec, s[6:7]
                                        ; implicit-def: $vgpr15_vgpr16
	s_and_saveexec_b64 s[0:1], s[2:3]
	s_cbranch_execz .LBB151_15
.LBB151_14:
	global_load_dwordx2 v[15:16], v[17:18], off offset:1024
.LBB151_15:
	s_or_b64 exec, exec, s[0:1]
.LBB151_16:
	s_and_saveexec_b64 s[0:1], s[8:9]
	s_cbranch_execz .LBB151_18
; %bb.17:
	s_add_u32 s2, s40, s28
	s_addc_u32 s3, s41, s29
	v_mov_b32_e32 v17, s3
	v_add_co_u32_e32 v18, vcc, s2, v22
	v_addc_co_u32_e32 v22, vcc, 0, v17, vcc
	v_add_co_u32_e32 v17, vcc, v18, v20
	v_addc_co_u32_e32 v18, vcc, 0, v22, vcc
	global_load_dwordx2 v[17:18], v[17:18], off offset:1536
.LBB151_18:
	s_or_b64 exec, exec, s[0:1]
	s_load_dwordx2 s[34:35], s[4:5], 0x28
	s_load_dword s0, s[4:5], 0x3c
	s_waitcnt vmcnt(6)
	v_cmp_lt_i64_e32 vcc, -1, v[3:4]
	v_bfrev_b32_e32 v41, 1
	v_cndmask_b32_e32 v22, -1, v41, vcc
	s_waitcnt vmcnt(0)
	v_cmp_lt_i64_e32 vcc, -1, v[5:6]
	s_waitcnt lgkmcnt(0)
	s_lshr_b32 s1, s0, 16
	s_and_b32 s0, s0, 0xffff
	v_mad_u32_u24 v1, v2, s1, v1
	v_mad_u64_u32 v[1:2], s[0:1], v1, s0, v[0:1]
	v_ashrrev_i32_e32 v23, 31, v4
	v_xor_b32_e32 v4, v22, v4
	v_lshrrev_b32_e32 v1, 4, v1
	v_cndmask_b32_e32 v22, -1, v41, vcc
	v_cmp_lt_i64_e32 vcc, -1, v[7:8]
	v_and_b32_e32 v43, 0xffffffc, v1
	v_and_b32_e32 v1, 15, v19
	v_cmp_eq_u32_e64 s[0:1], 0, v1
	v_cmp_lt_u32_e64 s[2:3], 1, v1
	v_cmp_lt_u32_e64 s[4:5], 3, v1
	;; [unrolled: 1-line block ×3, first 2 shown]
	v_and_b32_e32 v1, 16, v19
	v_xor_b32_e32 v3, v23, v3
	v_ashrrev_i32_e32 v23, 31, v6
	v_xor_b32_e32 v6, v22, v6
	v_cndmask_b32_e32 v22, -1, v41, vcc
	v_cmp_lt_i64_e32 vcc, -1, v[9:10]
	v_cmp_eq_u32_e64 s[8:9], 0, v1
	v_or_b32_e32 v1, 63, v0
	v_cmp_eq_u32_e64 s[12:13], v0, v1
	v_subrev_co_u32_e64 v1, s[18:19], 1, v19
	v_and_b32_e32 v2, 64, v19
	v_xor_b32_e32 v5, v23, v5
	v_ashrrev_i32_e32 v23, 31, v8
	v_xor_b32_e32 v8, v22, v8
	v_cndmask_b32_e32 v22, -1, v41, vcc
	v_cmp_lt_i32_e32 vcc, v1, v2
	s_mov_b32 s26, 0
	v_cndmask_b32_e32 v1, v1, v19, vcc
	v_lshlrev_b32_e32 v44, 2, v1
	v_lshrrev_b32_e32 v1, 4, v0
	s_mov_b32 s44, s26
	s_mov_b32 s36, -1
	v_xor_b32_e32 v7, v23, v7
	v_ashrrev_i32_e32 v23, 31, v10
	v_xor_b32_e32 v10, v22, v10
	v_lshlrev_b32_e32 v42, 2, v21
	v_cmp_lt_u32_e64 s[10:11], 31, v19
	v_and_b32_e32 v45, 12, v1
	v_mul_i32_i24_e32 v1, -12, v0
	v_and_b32_e32 v2, 3, v19
	v_lshl_add_u32 v47, v19, 3, v20
	s_mov_b32 s27, s26
	s_mov_b32 s45, s26
	v_mov_b32_e32 v19, s26
	v_mov_b32_e32 v21, s44
	s_brev_b32 s37, -2
	s_add_i32 s40, s35, s34
	v_xor_b32_e32 v9, v23, v9
	v_cmp_gt_u32_e64 s[14:15], 4, v0
	v_cmp_lt_u32_e64 s[16:17], 63, v0
	v_cmp_eq_u32_e64 s[20:21], 0, v0
	v_cmp_eq_u32_e64 s[22:23], 0, v2
	v_cmp_lt_u32_e64 s[24:25], 1, v2
	v_add_u32_e32 v46, -4, v45
	v_mov_b32_e32 v20, s27
	v_mov_b32_e32 v22, s45
	;; [unrolled: 1-line block ×3, first 2 shown]
	v_add_u32_e32 v48, v42, v1
	s_branch .LBB151_20
.LBB151_19:                             ;   in Loop: Header=BB151_20 Depth=1
	s_andn2_b64 vcc, exec, s[26:27]
	s_cbranch_vccz .LBB151_36
.LBB151_20:                             ; =>This Inner Loop Header: Depth=1
	v_mov_b32_e32 v40, v4
	v_mov_b32_e32 v39, v3
	v_cmp_ne_u64_e32 vcc, s[36:37], v[39:40]
	s_min_u32 s26, s35, 8
	v_cndmask_b32_e32 v2, v41, v40, vcc
	v_cndmask_b32_e32 v1, 0, v39, vcc
	s_lshl_b32 s26, -1, s26
	v_lshrrev_b64 v[1:2], s34, v[1:2]
	s_not_b32 s41, s26
	v_and_b32_e32 v3, s41, v1
	v_and_b32_e32 v1, 1, v3
	v_cmp_ne_u32_e32 vcc, 0, v1
	v_add_co_u32_e64 v1, s[26:27], -1, v1
	v_addc_co_u32_e64 v2, s[26:27], 0, -1, s[26:27]
	v_lshlrev_b32_e32 v32, 30, v3
	v_cmp_gt_i64_e64 s[26:27], 0, v[31:32]
	v_not_b32_e32 v4, v32
	v_mov_b32_e32 v38, v6
	v_ashrrev_i32_e32 v4, 31, v4
	v_xor_b32_e32 v1, vcc_lo, v1
	v_mov_b32_e32 v37, v5
	v_xor_b32_e32 v5, s27, v4
	v_and_b32_e32 v1, exec_lo, v1
	v_xor_b32_e32 v4, s26, v4
	v_lshlrev_b32_e32 v32, 29, v3
	v_xor_b32_e32 v2, vcc_hi, v2
	v_and_b32_e32 v1, v1, v4
	v_cmp_gt_i64_e32 vcc, 0, v[31:32]
	v_not_b32_e32 v4, v32
	v_and_b32_e32 v2, exec_hi, v2
	v_ashrrev_i32_e32 v4, 31, v4
	v_and_b32_e32 v2, v2, v5
	v_xor_b32_e32 v5, vcc_hi, v4
	v_xor_b32_e32 v4, vcc_lo, v4
	v_lshlrev_b32_e32 v32, 28, v3
	v_and_b32_e32 v1, v1, v4
	v_cmp_gt_i64_e32 vcc, 0, v[31:32]
	v_not_b32_e32 v4, v32
	v_ashrrev_i32_e32 v4, 31, v4
	v_and_b32_e32 v2, v2, v5
	v_xor_b32_e32 v5, vcc_hi, v4
	v_xor_b32_e32 v4, vcc_lo, v4
	v_lshlrev_b32_e32 v32, 27, v3
	v_and_b32_e32 v1, v1, v4
	v_cmp_gt_i64_e32 vcc, 0, v[31:32]
	v_not_b32_e32 v4, v32
	;; [unrolled: 8-line block ×5, first 2 shown]
	v_ashrrev_i32_e32 v4, 31, v4
	v_and_b32_e32 v2, v2, v5
	v_xor_b32_e32 v5, vcc_hi, v4
	v_xor_b32_e32 v4, vcc_lo, v4
	v_and_b32_e32 v1, v1, v4
	v_and_b32_e32 v2, v2, v5
	v_mbcnt_lo_u32_b32 v4, v1, 0
	v_mbcnt_hi_u32_b32 v5, v2, v4
	v_cmp_ne_u64_e32 vcc, 0, v[1:2]
	v_mov_b32_e32 v34, v10
	v_mov_b32_e32 v36, v8
	;; [unrolled: 1-line block ×6, first 2 shown]
	v_lshlrev_b32_e32 v3, 4, v3
	v_cmp_eq_u32_e64 s[26:27], 0, v5
	v_mov_b32_e32 v33, v9
	v_mov_b32_e32 v35, v7
	;; [unrolled: 1-line block ×6, first 2 shown]
	s_and_b64 s[44:45], vcc, s[26:27]
	v_add_u32_e32 v6, v43, v3
	ds_write2_b64 v42, v[19:20], v[21:22] offset0:2 offset1:3
	s_waitcnt lgkmcnt(0)
	s_barrier
	; wave barrier
	s_and_saveexec_b64 s[26:27], s[44:45]
; %bb.21:                               ;   in Loop: Header=BB151_20 Depth=1
	v_bcnt_u32_b32 v1, v1, 0
	v_bcnt_u32_b32 v1, v2, v1
	ds_write_b32 v6, v1 offset:16
; %bb.22:                               ;   in Loop: Header=BB151_20 Depth=1
	s_or_b64 exec, exec, s[26:27]
	v_cmp_ne_u64_e32 vcc, s[36:37], v[37:38]
	v_cndmask_b32_e32 v2, v41, v38, vcc
	v_cndmask_b32_e32 v1, 0, v37, vcc
	v_lshrrev_b64 v[1:2], s34, v[1:2]
	; wave barrier
	v_and_b32_e32 v1, s41, v1
	v_lshlrev_b32_e32 v2, 4, v1
	v_add_u32_e32 v8, v43, v2
	v_and_b32_e32 v2, 1, v1
	v_add_co_u32_e32 v3, vcc, -1, v2
	v_addc_co_u32_e64 v4, s[26:27], 0, -1, vcc
	v_cmp_ne_u32_e32 vcc, 0, v2
	v_lshlrev_b32_e32 v32, 30, v1
	v_xor_b32_e32 v2, vcc_hi, v4
	v_xor_b32_e32 v3, vcc_lo, v3
	v_cmp_gt_i64_e32 vcc, 0, v[31:32]
	v_not_b32_e32 v4, v32
	v_ashrrev_i32_e32 v4, 31, v4
	v_and_b32_e32 v3, exec_lo, v3
	v_xor_b32_e32 v9, vcc_hi, v4
	v_xor_b32_e32 v4, vcc_lo, v4
	v_lshlrev_b32_e32 v32, 29, v1
	v_and_b32_e32 v3, v3, v4
	v_cmp_gt_i64_e32 vcc, 0, v[31:32]
	v_not_b32_e32 v4, v32
	v_and_b32_e32 v2, exec_hi, v2
	v_ashrrev_i32_e32 v4, 31, v4
	v_and_b32_e32 v2, v2, v9
	v_xor_b32_e32 v9, vcc_hi, v4
	v_xor_b32_e32 v4, vcc_lo, v4
	v_lshlrev_b32_e32 v32, 28, v1
	v_and_b32_e32 v3, v3, v4
	v_cmp_gt_i64_e32 vcc, 0, v[31:32]
	v_not_b32_e32 v4, v32
	v_ashrrev_i32_e32 v4, 31, v4
	v_and_b32_e32 v2, v2, v9
	v_xor_b32_e32 v9, vcc_hi, v4
	v_xor_b32_e32 v4, vcc_lo, v4
	v_lshlrev_b32_e32 v32, 27, v1
	v_and_b32_e32 v3, v3, v4
	v_cmp_gt_i64_e32 vcc, 0, v[31:32]
	v_not_b32_e32 v4, v32
	;; [unrolled: 8-line block ×4, first 2 shown]
	v_ashrrev_i32_e32 v4, 31, v4
	v_lshlrev_b32_e32 v32, 24, v1
	v_and_b32_e32 v2, v2, v9
	v_xor_b32_e32 v9, vcc_hi, v4
	v_xor_b32_e32 v4, vcc_lo, v4
	v_cmp_gt_i64_e32 vcc, 0, v[31:32]
	v_not_b32_e32 v1, v32
	v_ashrrev_i32_e32 v1, 31, v1
	v_and_b32_e32 v3, v3, v4
	v_xor_b32_e32 v4, vcc_hi, v1
	v_xor_b32_e32 v1, vcc_lo, v1
	ds_read_b32 v7, v8 offset:16
	v_and_b32_e32 v2, v2, v9
	v_and_b32_e32 v1, v3, v1
	;; [unrolled: 1-line block ×3, first 2 shown]
	v_mbcnt_lo_u32_b32 v3, v1, 0
	v_mbcnt_hi_u32_b32 v9, v2, v3
	v_cmp_ne_u64_e32 vcc, 0, v[1:2]
	v_cmp_eq_u32_e64 s[26:27], 0, v9
	s_and_b64 s[44:45], vcc, s[26:27]
	; wave barrier
	s_and_saveexec_b64 s[26:27], s[44:45]
	s_cbranch_execz .LBB151_24
; %bb.23:                               ;   in Loop: Header=BB151_20 Depth=1
	v_bcnt_u32_b32 v1, v1, 0
	v_bcnt_u32_b32 v1, v2, v1
	s_waitcnt lgkmcnt(0)
	v_add_u32_e32 v1, v7, v1
	ds_write_b32 v8, v1 offset:16
.LBB151_24:                             ;   in Loop: Header=BB151_20 Depth=1
	s_or_b64 exec, exec, s[26:27]
	v_cmp_ne_u64_e32 vcc, s[36:37], v[35:36]
	v_cndmask_b32_e32 v2, v41, v36, vcc
	v_cndmask_b32_e32 v1, 0, v35, vcc
	v_lshrrev_b64 v[1:2], s34, v[1:2]
	; wave barrier
	v_and_b32_e32 v1, s41, v1
	v_lshlrev_b32_e32 v2, 4, v1
	v_add_u32_e32 v11, v43, v2
	v_and_b32_e32 v2, 1, v1
	v_add_co_u32_e32 v3, vcc, -1, v2
	v_addc_co_u32_e64 v4, s[26:27], 0, -1, vcc
	v_cmp_ne_u32_e32 vcc, 0, v2
	v_lshlrev_b32_e32 v32, 30, v1
	v_xor_b32_e32 v2, vcc_hi, v4
	v_xor_b32_e32 v3, vcc_lo, v3
	v_cmp_gt_i64_e32 vcc, 0, v[31:32]
	v_not_b32_e32 v4, v32
	v_ashrrev_i32_e32 v4, 31, v4
	v_and_b32_e32 v3, exec_lo, v3
	v_xor_b32_e32 v12, vcc_hi, v4
	v_xor_b32_e32 v4, vcc_lo, v4
	v_lshlrev_b32_e32 v32, 29, v1
	v_and_b32_e32 v3, v3, v4
	v_cmp_gt_i64_e32 vcc, 0, v[31:32]
	v_not_b32_e32 v4, v32
	v_and_b32_e32 v2, exec_hi, v2
	v_ashrrev_i32_e32 v4, 31, v4
	v_and_b32_e32 v2, v2, v12
	v_xor_b32_e32 v12, vcc_hi, v4
	v_xor_b32_e32 v4, vcc_lo, v4
	v_lshlrev_b32_e32 v32, 28, v1
	v_and_b32_e32 v3, v3, v4
	v_cmp_gt_i64_e32 vcc, 0, v[31:32]
	v_not_b32_e32 v4, v32
	v_ashrrev_i32_e32 v4, 31, v4
	v_and_b32_e32 v2, v2, v12
	v_xor_b32_e32 v12, vcc_hi, v4
	v_xor_b32_e32 v4, vcc_lo, v4
	v_lshlrev_b32_e32 v32, 27, v1
	v_and_b32_e32 v3, v3, v4
	v_cmp_gt_i64_e32 vcc, 0, v[31:32]
	v_not_b32_e32 v4, v32
	;; [unrolled: 8-line block ×4, first 2 shown]
	v_ashrrev_i32_e32 v4, 31, v4
	v_lshlrev_b32_e32 v32, 24, v1
	v_and_b32_e32 v2, v2, v12
	v_xor_b32_e32 v12, vcc_hi, v4
	v_xor_b32_e32 v4, vcc_lo, v4
	v_cmp_gt_i64_e32 vcc, 0, v[31:32]
	v_not_b32_e32 v1, v32
	v_ashrrev_i32_e32 v1, 31, v1
	v_and_b32_e32 v3, v3, v4
	v_xor_b32_e32 v4, vcc_hi, v1
	v_xor_b32_e32 v1, vcc_lo, v1
	ds_read_b32 v10, v11 offset:16
	v_and_b32_e32 v2, v2, v12
	v_and_b32_e32 v1, v3, v1
	;; [unrolled: 1-line block ×3, first 2 shown]
	v_mbcnt_lo_u32_b32 v3, v1, 0
	v_mbcnt_hi_u32_b32 v12, v2, v3
	v_cmp_ne_u64_e32 vcc, 0, v[1:2]
	v_cmp_eq_u32_e64 s[26:27], 0, v12
	s_and_b64 s[44:45], vcc, s[26:27]
	; wave barrier
	s_and_saveexec_b64 s[26:27], s[44:45]
	s_cbranch_execz .LBB151_26
; %bb.25:                               ;   in Loop: Header=BB151_20 Depth=1
	v_bcnt_u32_b32 v1, v1, 0
	v_bcnt_u32_b32 v1, v2, v1
	s_waitcnt lgkmcnt(0)
	v_add_u32_e32 v1, v10, v1
	ds_write_b32 v11, v1 offset:16
.LBB151_26:                             ;   in Loop: Header=BB151_20 Depth=1
	s_or_b64 exec, exec, s[26:27]
	v_cmp_ne_u64_e32 vcc, s[36:37], v[33:34]
	v_cndmask_b32_e32 v2, v41, v34, vcc
	v_cndmask_b32_e32 v1, 0, v33, vcc
	v_lshrrev_b64 v[1:2], s34, v[1:2]
	; wave barrier
	v_and_b32_e32 v1, s41, v1
	v_lshlrev_b32_e32 v2, 4, v1
	v_add_u32_e32 v14, v43, v2
	v_and_b32_e32 v2, 1, v1
	v_add_co_u32_e32 v3, vcc, -1, v2
	v_addc_co_u32_e64 v4, s[26:27], 0, -1, vcc
	v_cmp_ne_u32_e32 vcc, 0, v2
	v_lshlrev_b32_e32 v32, 30, v1
	v_xor_b32_e32 v2, vcc_hi, v4
	v_xor_b32_e32 v3, vcc_lo, v3
	v_cmp_gt_i64_e32 vcc, 0, v[31:32]
	v_not_b32_e32 v4, v32
	v_ashrrev_i32_e32 v4, 31, v4
	v_and_b32_e32 v3, exec_lo, v3
	v_xor_b32_e32 v15, vcc_hi, v4
	v_xor_b32_e32 v4, vcc_lo, v4
	v_lshlrev_b32_e32 v32, 29, v1
	v_and_b32_e32 v3, v3, v4
	v_cmp_gt_i64_e32 vcc, 0, v[31:32]
	v_not_b32_e32 v4, v32
	v_and_b32_e32 v2, exec_hi, v2
	v_ashrrev_i32_e32 v4, 31, v4
	v_and_b32_e32 v2, v2, v15
	v_xor_b32_e32 v15, vcc_hi, v4
	v_xor_b32_e32 v4, vcc_lo, v4
	v_lshlrev_b32_e32 v32, 28, v1
	v_and_b32_e32 v3, v3, v4
	v_cmp_gt_i64_e32 vcc, 0, v[31:32]
	v_not_b32_e32 v4, v32
	v_ashrrev_i32_e32 v4, 31, v4
	v_and_b32_e32 v2, v2, v15
	v_xor_b32_e32 v15, vcc_hi, v4
	v_xor_b32_e32 v4, vcc_lo, v4
	v_lshlrev_b32_e32 v32, 27, v1
	v_and_b32_e32 v3, v3, v4
	v_cmp_gt_i64_e32 vcc, 0, v[31:32]
	v_not_b32_e32 v4, v32
	;; [unrolled: 8-line block ×4, first 2 shown]
	v_ashrrev_i32_e32 v4, 31, v4
	v_lshlrev_b32_e32 v32, 24, v1
	v_and_b32_e32 v2, v2, v15
	v_xor_b32_e32 v15, vcc_hi, v4
	v_xor_b32_e32 v4, vcc_lo, v4
	v_cmp_gt_i64_e32 vcc, 0, v[31:32]
	v_not_b32_e32 v1, v32
	v_ashrrev_i32_e32 v1, 31, v1
	v_and_b32_e32 v3, v3, v4
	v_xor_b32_e32 v4, vcc_hi, v1
	v_xor_b32_e32 v1, vcc_lo, v1
	ds_read_b32 v13, v14 offset:16
	v_and_b32_e32 v2, v2, v15
	v_and_b32_e32 v1, v3, v1
	;; [unrolled: 1-line block ×3, first 2 shown]
	v_mbcnt_lo_u32_b32 v3, v1, 0
	v_mbcnt_hi_u32_b32 v15, v2, v3
	v_cmp_ne_u64_e32 vcc, 0, v[1:2]
	v_cmp_eq_u32_e64 s[26:27], 0, v15
	s_and_b64 s[44:45], vcc, s[26:27]
	; wave barrier
	s_and_saveexec_b64 s[26:27], s[44:45]
	s_cbranch_execz .LBB151_28
; %bb.27:                               ;   in Loop: Header=BB151_20 Depth=1
	v_bcnt_u32_b32 v1, v1, 0
	v_bcnt_u32_b32 v1, v2, v1
	s_waitcnt lgkmcnt(0)
	v_add_u32_e32 v1, v13, v1
	ds_write_b32 v14, v1 offset:16
.LBB151_28:                             ;   in Loop: Header=BB151_20 Depth=1
	s_or_b64 exec, exec, s[26:27]
	; wave barrier
	s_waitcnt lgkmcnt(0)
	s_barrier
	ds_read2_b64 v[1:4], v42 offset0:2 offset1:3
	s_waitcnt lgkmcnt(0)
	v_add_u32_e32 v16, v2, v1
	v_add3_u32 v4, v16, v3, v4
	s_nop 1
	v_mov_b32_dpp v16, v4 row_shr:1 row_mask:0xf bank_mask:0xf
	v_cndmask_b32_e64 v16, v16, 0, s[0:1]
	v_add_u32_e32 v4, v16, v4
	s_nop 1
	v_mov_b32_dpp v16, v4 row_shr:2 row_mask:0xf bank_mask:0xf
	v_cndmask_b32_e64 v16, 0, v16, s[2:3]
	v_add_u32_e32 v4, v4, v16
	;; [unrolled: 4-line block ×4, first 2 shown]
	s_nop 1
	v_mov_b32_dpp v16, v4 row_bcast:15 row_mask:0xf bank_mask:0xf
	v_cndmask_b32_e64 v16, v16, 0, s[8:9]
	v_add_u32_e32 v4, v4, v16
	s_nop 1
	v_mov_b32_dpp v16, v4 row_bcast:31 row_mask:0xf bank_mask:0xf
	v_cndmask_b32_e64 v16, 0, v16, s[10:11]
	v_add_u32_e32 v4, v4, v16
	s_and_saveexec_b64 s[26:27], s[12:13]
; %bb.29:                               ;   in Loop: Header=BB151_20 Depth=1
	ds_write_b32 v45, v4
; %bb.30:                               ;   in Loop: Header=BB151_20 Depth=1
	s_or_b64 exec, exec, s[26:27]
	s_waitcnt lgkmcnt(0)
	s_barrier
	s_and_saveexec_b64 s[26:27], s[14:15]
	s_cbranch_execz .LBB151_32
; %bb.31:                               ;   in Loop: Header=BB151_20 Depth=1
	ds_read_b32 v16, v48
	s_waitcnt lgkmcnt(0)
	s_nop 0
	v_mov_b32_dpp v17, v16 row_shr:1 row_mask:0xf bank_mask:0xf
	v_cndmask_b32_e64 v17, v17, 0, s[22:23]
	v_add_u32_e32 v16, v17, v16
	s_nop 1
	v_mov_b32_dpp v17, v16 row_shr:2 row_mask:0xf bank_mask:0xf
	v_cndmask_b32_e64 v17, 0, v17, s[24:25]
	v_add_u32_e32 v16, v16, v17
	ds_write_b32 v48, v16
.LBB151_32:                             ;   in Loop: Header=BB151_20 Depth=1
	s_or_b64 exec, exec, s[26:27]
	v_mov_b32_e32 v16, 0
	s_waitcnt lgkmcnt(0)
	s_barrier
	s_and_saveexec_b64 s[26:27], s[16:17]
; %bb.33:                               ;   in Loop: Header=BB151_20 Depth=1
	ds_read_b32 v16, v46
; %bb.34:                               ;   in Loop: Header=BB151_20 Depth=1
	s_or_b64 exec, exec, s[26:27]
	s_waitcnt lgkmcnt(0)
	v_add_u32_e32 v4, v16, v4
	ds_bpermute_b32 v4, v44, v4
	v_lshlrev_b32_e32 v5, 3, v5
	s_add_i32 s34, s34, 8
	s_cmp_ge_u32 s34, s40
	s_mov_b64 s[26:27], -1
	s_waitcnt lgkmcnt(0)
	v_cndmask_b32_e64 v4, v4, v16, s[18:19]
	v_cndmask_b32_e64 v16, v4, 0, s[20:21]
	v_add_u32_e32 v17, v16, v1
	v_add_u32_e32 v1, v17, v2
	;; [unrolled: 1-line block ×3, first 2 shown]
	ds_write2_b64 v42, v[16:17], v[1:2] offset0:2 offset1:3
	s_waitcnt lgkmcnt(0)
	s_barrier
	ds_read_b32 v1, v6 offset:16
	ds_read_b32 v2, v8 offset:16
	;; [unrolled: 1-line block ×4, first 2 shown]
	v_lshlrev_b32_e32 v6, 3, v7
	s_waitcnt lgkmcnt(3)
	v_lshl_add_u32 v1, v1, 3, v5
	v_lshlrev_b32_e32 v5, 3, v9
	s_waitcnt lgkmcnt(2)
	v_lshlrev_b32_e32 v2, 3, v2
	v_add3_u32 v2, v5, v6, v2
	v_lshlrev_b32_e32 v5, 3, v12
	v_lshlrev_b32_e32 v6, 3, v10
	s_waitcnt lgkmcnt(1)
	v_lshlrev_b32_e32 v3, 3, v3
	v_add3_u32 v32, v5, v6, v3
	v_lshlrev_b32_e32 v3, 3, v15
	v_lshlrev_b32_e32 v5, 3, v13
	s_waitcnt lgkmcnt(0)
	v_lshlrev_b32_e32 v4, 3, v4
	v_add3_u32 v49, v3, v5, v4
                                        ; implicit-def: $vgpr9_vgpr10
                                        ; implicit-def: $vgpr5_vgpr6
                                        ; implicit-def: $vgpr11_vgpr12
                                        ; implicit-def: $vgpr15_vgpr16
	s_cbranch_scc1 .LBB151_19
; %bb.35:                               ;   in Loop: Header=BB151_20 Depth=1
	s_barrier
	ds_write_b64 v1, v[39:40]
	ds_write_b64 v2, v[37:38]
	;; [unrolled: 1-line block ×4, first 2 shown]
	s_waitcnt lgkmcnt(0)
	s_barrier
	ds_read2st64_b64 v[3:6], v47 offset1:1
	ds_read2st64_b64 v[7:10], v47 offset0:2 offset1:3
	s_waitcnt lgkmcnt(0)
	s_barrier
	ds_write_b64 v1, v[29:30]
	ds_write_b64 v2, v[27:28]
	;; [unrolled: 1-line block ×4, first 2 shown]
	s_waitcnt lgkmcnt(0)
	s_barrier
	ds_read2st64_b64 v[11:14], v47 offset1:1
	ds_read2st64_b64 v[15:18], v47 offset0:2 offset1:3
	s_add_i32 s35, s35, -8
	s_mov_b64 s[26:27], 0
	s_waitcnt lgkmcnt(0)
	s_barrier
	s_branch .LBB151_19
.LBB151_36:
	v_lshlrev_b32_e32 v19, 3, v0
	s_barrier
	ds_write_b64 v1, v[39:40]
	ds_write_b64 v2, v[37:38]
	;; [unrolled: 1-line block ×4, first 2 shown]
	s_waitcnt lgkmcnt(0)
	s_barrier
	ds_read2st64_b64 v[9:12], v19 offset1:4
	ds_read2st64_b64 v[33:36], v19 offset0:8 offset1:12
	v_bfrev_b32_e32 v13, 1
	s_waitcnt lgkmcnt(0)
	s_barrier
	v_cmp_lt_i64_e32 vcc, -1, v[9:10]
	v_ashrrev_i32_e32 v15, 31, v10
	v_cndmask_b32_e64 v14, v13, -1, vcc
	v_cmp_lt_i64_e32 vcc, -1, v[11:12]
	v_not_b32_e32 v15, v15
	v_xor_b32_e32 v18, v14, v10
	v_ashrrev_i32_e32 v10, 31, v12
	v_xor_b32_e32 v17, v15, v9
	v_cndmask_b32_e64 v9, v13, -1, vcc
	v_not_b32_e32 v10, v10
	v_cmp_lt_i64_e32 vcc, -1, v[33:34]
	v_xor_b32_e32 v15, v10, v11
	v_ashrrev_i32_e32 v10, 31, v34
	v_xor_b32_e32 v16, v9, v12
	v_cndmask_b32_e64 v9, v13, -1, vcc
	v_not_b32_e32 v10, v10
	v_cmp_lt_i64_e32 vcc, -1, v[35:36]
	ds_write_b64 v1, v[29:30]
	ds_write_b64 v2, v[27:28]
	;; [unrolled: 1-line block ×4, first 2 shown]
	s_waitcnt lgkmcnt(0)
	s_barrier
	ds_read2st64_b64 v[5:8], v19 offset1:4
	ds_read2st64_b64 v[1:4], v19 offset0:8 offset1:12
	v_xor_b32_e32 v11, v10, v33
	v_ashrrev_i32_e32 v10, 31, v36
	s_add_u32 s2, s38, s28
	v_xor_b32_e32 v12, v9, v34
	v_cndmask_b32_e64 v9, v13, -1, vcc
	v_not_b32_e32 v13, v10
	s_addc_u32 s3, s39, s29
	v_xor_b32_e32 v10, v9, v36
	v_xor_b32_e32 v9, v13, v35
	v_mov_b32_e32 v14, s3
	v_add_co_u32_e32 v13, vcc, s2, v19
	v_addc_co_u32_e32 v14, vcc, 0, v14, vcc
	s_mov_b64 s[0:1], -1
	s_andn2_b64 vcc, exec, s[30:31]
	s_mov_b64 s[6:7], 0
	s_cbranch_vccz .LBB151_40
; %bb.37:
	s_andn2_b64 vcc, exec, s[0:1]
	s_cbranch_vccz .LBB151_41
.LBB151_38:
	s_and_saveexec_b64 s[0:1], s[6:7]
	s_cbranch_execnz .LBB151_54
.LBB151_39:
	s_endpgm
.LBB151_40:
	v_add_co_u32_e32 v20, vcc, 0x1000, v13
	s_add_u32 s0, s42, s28
	v_addc_co_u32_e32 v21, vcc, 0, v14, vcc
	s_addc_u32 s1, s43, s29
	global_store_dwordx2 v[13:14], v[17:18], off
	global_store_dwordx2 v[13:14], v[15:16], off offset:2048
	global_store_dwordx2 v[20:21], v[11:12], off
	global_store_dwordx2 v[20:21], v[9:10], off offset:2048
	v_mov_b32_e32 v20, s1
	v_add_co_u32_e32 v21, vcc, s0, v19
	v_addc_co_u32_e32 v22, vcc, 0, v20, vcc
	v_add_co_u32_e32 v20, vcc, 0x1000, v21
	s_waitcnt lgkmcnt(1)
	global_store_dwordx2 v19, v[5:6], s[0:1]
	global_store_dwordx2 v19, v[7:8], s[0:1] offset:2048
	v_addc_co_u32_e32 v21, vcc, 0, v22, vcc
	s_mov_b64 s[6:7], -1
	s_waitcnt lgkmcnt(0)
	global_store_dwordx2 v[20:21], v[1:2], off
	s_cbranch_execnz .LBB151_38
.LBB151_41:
	v_cmp_gt_u32_e64 s[0:1], s33, v0
	s_and_saveexec_b64 s[2:3], s[0:1]
	s_cbranch_execz .LBB151_43
; %bb.42:
	global_store_dwordx2 v[13:14], v[17:18], off
.LBB151_43:
	s_or_b64 exec, exec, s[2:3]
	v_or_b32_e32 v17, 0x100, v0
	v_cmp_gt_u32_e64 s[2:3], s33, v17
	s_and_saveexec_b64 s[4:5], s[2:3]
	s_cbranch_execz .LBB151_45
; %bb.44:
	global_store_dwordx2 v[13:14], v[15:16], off offset:2048
.LBB151_45:
	s_or_b64 exec, exec, s[4:5]
	v_or_b32_e32 v15, 0x200, v0
	v_cmp_gt_u32_e64 s[4:5], s33, v15
	s_and_saveexec_b64 s[6:7], s[4:5]
	s_cbranch_execz .LBB151_47
; %bb.46:
	v_add_co_u32_e32 v15, vcc, 0x1000, v13
	v_addc_co_u32_e32 v16, vcc, 0, v14, vcc
	global_store_dwordx2 v[15:16], v[11:12], off
.LBB151_47:
	s_or_b64 exec, exec, s[6:7]
	v_or_b32_e32 v0, 0x300, v0
	v_cmp_gt_u32_e64 s[6:7], s33, v0
	s_and_saveexec_b64 s[8:9], s[6:7]
	s_cbranch_execz .LBB151_49
; %bb.48:
	v_add_co_u32_e32 v11, vcc, 0x1000, v13
	v_addc_co_u32_e32 v12, vcc, 0, v14, vcc
	global_store_dwordx2 v[11:12], v[9:10], off offset:2048
.LBB151_49:
	s_or_b64 exec, exec, s[8:9]
	s_add_u32 s8, s42, s28
	s_addc_u32 s9, s43, s29
	v_mov_b32_e32 v0, s9
	v_add_co_u32_e32 v9, vcc, s8, v19
	v_addc_co_u32_e32 v10, vcc, 0, v0, vcc
	s_and_saveexec_b64 s[8:9], s[0:1]
	s_cbranch_execnz .LBB151_57
; %bb.50:
	s_or_b64 exec, exec, s[8:9]
	s_and_saveexec_b64 s[0:1], s[2:3]
	s_cbranch_execnz .LBB151_58
.LBB151_51:
	s_or_b64 exec, exec, s[0:1]
	s_and_saveexec_b64 s[0:1], s[4:5]
	s_cbranch_execz .LBB151_53
.LBB151_52:
	s_waitcnt lgkmcnt(1)
	v_add_co_u32_e32 v5, vcc, 0x1000, v9
	v_addc_co_u32_e32 v6, vcc, 0, v10, vcc
	s_waitcnt lgkmcnt(0)
	global_store_dwordx2 v[5:6], v[1:2], off
.LBB151_53:
	s_or_b64 exec, exec, s[0:1]
	s_and_saveexec_b64 s[0:1], s[6:7]
	s_cbranch_execz .LBB151_39
.LBB151_54:
	s_add_u32 s0, s42, s28
	s_addc_u32 s1, s43, s29
	v_mov_b32_e32 v0, s1
	s_waitcnt lgkmcnt(0)
	v_add_co_u32_e32 v1, vcc, s0, v19
	v_addc_co_u32_e32 v2, vcc, 0, v0, vcc
	v_add_co_u32_e32 v0, vcc, 0x1000, v1
	v_addc_co_u32_e32 v1, vcc, 0, v2, vcc
	global_store_dwordx2 v[0:1], v[3:4], off offset:2048
	s_endpgm
.LBB151_55:
	global_load_dwordx2 v[11:12], v[17:18], off
	s_or_b64 exec, exec, s[6:7]
	s_and_saveexec_b64 s[6:7], s[0:1]
	s_cbranch_execz .LBB151_13
.LBB151_56:
	global_load_dwordx2 v[13:14], v[17:18], off offset:512
	s_or_b64 exec, exec, s[6:7]
                                        ; implicit-def: $vgpr15_vgpr16
	s_and_saveexec_b64 s[0:1], s[2:3]
	s_cbranch_execnz .LBB151_14
	s_branch .LBB151_15
.LBB151_57:
	s_waitcnt lgkmcnt(1)
	global_store_dwordx2 v[9:10], v[5:6], off
	s_or_b64 exec, exec, s[8:9]
	s_and_saveexec_b64 s[0:1], s[2:3]
	s_cbranch_execz .LBB151_51
.LBB151_58:
	s_waitcnt lgkmcnt(1)
	global_store_dwordx2 v[9:10], v[7:8], off offset:2048
	s_or_b64 exec, exec, s[0:1]
	s_and_saveexec_b64 s[0:1], s[4:5]
	s_cbranch_execnz .LBB151_52
	s_branch .LBB151_53
	.section	.rodata,"a",@progbits
	.p2align	6, 0x0
	.amdhsa_kernel _ZN7rocprim17ROCPRIM_304000_NS6detail28radix_sort_block_sort_kernelINS1_36wrapped_radix_sort_block_sort_configINS0_13kernel_configILj256ELj4ELj4294967295EEEdN2at4cuda3cub6detail10OpaqueTypeILi8EEEEELb0EPKdPdPKSB_PSB_NS0_19identity_decomposerEEEvT1_T2_T3_T4_jT5_jj
		.amdhsa_group_segment_fixed_size 8192
		.amdhsa_private_segment_fixed_size 0
		.amdhsa_kernarg_size 304
		.amdhsa_user_sgpr_count 6
		.amdhsa_user_sgpr_private_segment_buffer 1
		.amdhsa_user_sgpr_dispatch_ptr 0
		.amdhsa_user_sgpr_queue_ptr 0
		.amdhsa_user_sgpr_kernarg_segment_ptr 1
		.amdhsa_user_sgpr_dispatch_id 0
		.amdhsa_user_sgpr_flat_scratch_init 0
		.amdhsa_user_sgpr_private_segment_size 0
		.amdhsa_uses_dynamic_stack 0
		.amdhsa_system_sgpr_private_segment_wavefront_offset 0
		.amdhsa_system_sgpr_workgroup_id_x 1
		.amdhsa_system_sgpr_workgroup_id_y 0
		.amdhsa_system_sgpr_workgroup_id_z 0
		.amdhsa_system_sgpr_workgroup_info 0
		.amdhsa_system_vgpr_workitem_id 2
		.amdhsa_next_free_vgpr 50
		.amdhsa_next_free_sgpr 61
		.amdhsa_reserve_vcc 1
		.amdhsa_reserve_flat_scratch 0
		.amdhsa_float_round_mode_32 0
		.amdhsa_float_round_mode_16_64 0
		.amdhsa_float_denorm_mode_32 3
		.amdhsa_float_denorm_mode_16_64 3
		.amdhsa_dx10_clamp 1
		.amdhsa_ieee_mode 1
		.amdhsa_fp16_overflow 0
		.amdhsa_exception_fp_ieee_invalid_op 0
		.amdhsa_exception_fp_denorm_src 0
		.amdhsa_exception_fp_ieee_div_zero 0
		.amdhsa_exception_fp_ieee_overflow 0
		.amdhsa_exception_fp_ieee_underflow 0
		.amdhsa_exception_fp_ieee_inexact 0
		.amdhsa_exception_int_div_zero 0
	.end_amdhsa_kernel
	.section	.text._ZN7rocprim17ROCPRIM_304000_NS6detail28radix_sort_block_sort_kernelINS1_36wrapped_radix_sort_block_sort_configINS0_13kernel_configILj256ELj4ELj4294967295EEEdN2at4cuda3cub6detail10OpaqueTypeILi8EEEEELb0EPKdPdPKSB_PSB_NS0_19identity_decomposerEEEvT1_T2_T3_T4_jT5_jj,"axG",@progbits,_ZN7rocprim17ROCPRIM_304000_NS6detail28radix_sort_block_sort_kernelINS1_36wrapped_radix_sort_block_sort_configINS0_13kernel_configILj256ELj4ELj4294967295EEEdN2at4cuda3cub6detail10OpaqueTypeILi8EEEEELb0EPKdPdPKSB_PSB_NS0_19identity_decomposerEEEvT1_T2_T3_T4_jT5_jj,comdat
.Lfunc_end151:
	.size	_ZN7rocprim17ROCPRIM_304000_NS6detail28radix_sort_block_sort_kernelINS1_36wrapped_radix_sort_block_sort_configINS0_13kernel_configILj256ELj4ELj4294967295EEEdN2at4cuda3cub6detail10OpaqueTypeILi8EEEEELb0EPKdPdPKSB_PSB_NS0_19identity_decomposerEEEvT1_T2_T3_T4_jT5_jj, .Lfunc_end151-_ZN7rocprim17ROCPRIM_304000_NS6detail28radix_sort_block_sort_kernelINS1_36wrapped_radix_sort_block_sort_configINS0_13kernel_configILj256ELj4ELj4294967295EEEdN2at4cuda3cub6detail10OpaqueTypeILi8EEEEELb0EPKdPdPKSB_PSB_NS0_19identity_decomposerEEEvT1_T2_T3_T4_jT5_jj
                                        ; -- End function
	.set _ZN7rocprim17ROCPRIM_304000_NS6detail28radix_sort_block_sort_kernelINS1_36wrapped_radix_sort_block_sort_configINS0_13kernel_configILj256ELj4ELj4294967295EEEdN2at4cuda3cub6detail10OpaqueTypeILi8EEEEELb0EPKdPdPKSB_PSB_NS0_19identity_decomposerEEEvT1_T2_T3_T4_jT5_jj.num_vgpr, 50
	.set _ZN7rocprim17ROCPRIM_304000_NS6detail28radix_sort_block_sort_kernelINS1_36wrapped_radix_sort_block_sort_configINS0_13kernel_configILj256ELj4ELj4294967295EEEdN2at4cuda3cub6detail10OpaqueTypeILi8EEEEELb0EPKdPdPKSB_PSB_NS0_19identity_decomposerEEEvT1_T2_T3_T4_jT5_jj.num_agpr, 0
	.set _ZN7rocprim17ROCPRIM_304000_NS6detail28radix_sort_block_sort_kernelINS1_36wrapped_radix_sort_block_sort_configINS0_13kernel_configILj256ELj4ELj4294967295EEEdN2at4cuda3cub6detail10OpaqueTypeILi8EEEEELb0EPKdPdPKSB_PSB_NS0_19identity_decomposerEEEvT1_T2_T3_T4_jT5_jj.numbered_sgpr, 46
	.set _ZN7rocprim17ROCPRIM_304000_NS6detail28radix_sort_block_sort_kernelINS1_36wrapped_radix_sort_block_sort_configINS0_13kernel_configILj256ELj4ELj4294967295EEEdN2at4cuda3cub6detail10OpaqueTypeILi8EEEEELb0EPKdPdPKSB_PSB_NS0_19identity_decomposerEEEvT1_T2_T3_T4_jT5_jj.num_named_barrier, 0
	.set _ZN7rocprim17ROCPRIM_304000_NS6detail28radix_sort_block_sort_kernelINS1_36wrapped_radix_sort_block_sort_configINS0_13kernel_configILj256ELj4ELj4294967295EEEdN2at4cuda3cub6detail10OpaqueTypeILi8EEEEELb0EPKdPdPKSB_PSB_NS0_19identity_decomposerEEEvT1_T2_T3_T4_jT5_jj.private_seg_size, 0
	.set _ZN7rocprim17ROCPRIM_304000_NS6detail28radix_sort_block_sort_kernelINS1_36wrapped_radix_sort_block_sort_configINS0_13kernel_configILj256ELj4ELj4294967295EEEdN2at4cuda3cub6detail10OpaqueTypeILi8EEEEELb0EPKdPdPKSB_PSB_NS0_19identity_decomposerEEEvT1_T2_T3_T4_jT5_jj.uses_vcc, 1
	.set _ZN7rocprim17ROCPRIM_304000_NS6detail28radix_sort_block_sort_kernelINS1_36wrapped_radix_sort_block_sort_configINS0_13kernel_configILj256ELj4ELj4294967295EEEdN2at4cuda3cub6detail10OpaqueTypeILi8EEEEELb0EPKdPdPKSB_PSB_NS0_19identity_decomposerEEEvT1_T2_T3_T4_jT5_jj.uses_flat_scratch, 0
	.set _ZN7rocprim17ROCPRIM_304000_NS6detail28radix_sort_block_sort_kernelINS1_36wrapped_radix_sort_block_sort_configINS0_13kernel_configILj256ELj4ELj4294967295EEEdN2at4cuda3cub6detail10OpaqueTypeILi8EEEEELb0EPKdPdPKSB_PSB_NS0_19identity_decomposerEEEvT1_T2_T3_T4_jT5_jj.has_dyn_sized_stack, 0
	.set _ZN7rocprim17ROCPRIM_304000_NS6detail28radix_sort_block_sort_kernelINS1_36wrapped_radix_sort_block_sort_configINS0_13kernel_configILj256ELj4ELj4294967295EEEdN2at4cuda3cub6detail10OpaqueTypeILi8EEEEELb0EPKdPdPKSB_PSB_NS0_19identity_decomposerEEEvT1_T2_T3_T4_jT5_jj.has_recursion, 0
	.set _ZN7rocprim17ROCPRIM_304000_NS6detail28radix_sort_block_sort_kernelINS1_36wrapped_radix_sort_block_sort_configINS0_13kernel_configILj256ELj4ELj4294967295EEEdN2at4cuda3cub6detail10OpaqueTypeILi8EEEEELb0EPKdPdPKSB_PSB_NS0_19identity_decomposerEEEvT1_T2_T3_T4_jT5_jj.has_indirect_call, 0
	.section	.AMDGPU.csdata,"",@progbits
; Kernel info:
; codeLenInByte = 4016
; TotalNumSgprs: 50
; NumVgprs: 50
; ScratchSize: 0
; MemoryBound: 1
; FloatMode: 240
; IeeeMode: 1
; LDSByteSize: 8192 bytes/workgroup (compile time only)
; SGPRBlocks: 8
; VGPRBlocks: 12
; NumSGPRsForWavesPerEU: 65
; NumVGPRsForWavesPerEU: 50
; Occupancy: 4
; WaveLimiterHint : 1
; COMPUTE_PGM_RSRC2:SCRATCH_EN: 0
; COMPUTE_PGM_RSRC2:USER_SGPR: 6
; COMPUTE_PGM_RSRC2:TRAP_HANDLER: 0
; COMPUTE_PGM_RSRC2:TGID_X_EN: 1
; COMPUTE_PGM_RSRC2:TGID_Y_EN: 0
; COMPUTE_PGM_RSRC2:TGID_Z_EN: 0
; COMPUTE_PGM_RSRC2:TIDIG_COMP_CNT: 2
	.section	.text._ZN7rocprim17ROCPRIM_304000_NS6detail45device_block_merge_mergepath_partition_kernelINS1_37wrapped_merge_sort_block_merge_configINS0_14default_configEdN2at4cuda3cub6detail10OpaqueTypeILi8EEEEEPdjNS1_19radix_merge_compareILb0ELb0EdNS0_19identity_decomposerEEEEEvT0_T1_jPSH_T2_SH_,"axG",@progbits,_ZN7rocprim17ROCPRIM_304000_NS6detail45device_block_merge_mergepath_partition_kernelINS1_37wrapped_merge_sort_block_merge_configINS0_14default_configEdN2at4cuda3cub6detail10OpaqueTypeILi8EEEEEPdjNS1_19radix_merge_compareILb0ELb0EdNS0_19identity_decomposerEEEEEvT0_T1_jPSH_T2_SH_,comdat
	.protected	_ZN7rocprim17ROCPRIM_304000_NS6detail45device_block_merge_mergepath_partition_kernelINS1_37wrapped_merge_sort_block_merge_configINS0_14default_configEdN2at4cuda3cub6detail10OpaqueTypeILi8EEEEEPdjNS1_19radix_merge_compareILb0ELb0EdNS0_19identity_decomposerEEEEEvT0_T1_jPSH_T2_SH_ ; -- Begin function _ZN7rocprim17ROCPRIM_304000_NS6detail45device_block_merge_mergepath_partition_kernelINS1_37wrapped_merge_sort_block_merge_configINS0_14default_configEdN2at4cuda3cub6detail10OpaqueTypeILi8EEEEEPdjNS1_19radix_merge_compareILb0ELb0EdNS0_19identity_decomposerEEEEEvT0_T1_jPSH_T2_SH_
	.globl	_ZN7rocprim17ROCPRIM_304000_NS6detail45device_block_merge_mergepath_partition_kernelINS1_37wrapped_merge_sort_block_merge_configINS0_14default_configEdN2at4cuda3cub6detail10OpaqueTypeILi8EEEEEPdjNS1_19radix_merge_compareILb0ELb0EdNS0_19identity_decomposerEEEEEvT0_T1_jPSH_T2_SH_
	.p2align	8
	.type	_ZN7rocprim17ROCPRIM_304000_NS6detail45device_block_merge_mergepath_partition_kernelINS1_37wrapped_merge_sort_block_merge_configINS0_14default_configEdN2at4cuda3cub6detail10OpaqueTypeILi8EEEEEPdjNS1_19radix_merge_compareILb0ELb0EdNS0_19identity_decomposerEEEEEvT0_T1_jPSH_T2_SH_,@function
_ZN7rocprim17ROCPRIM_304000_NS6detail45device_block_merge_mergepath_partition_kernelINS1_37wrapped_merge_sort_block_merge_configINS0_14default_configEdN2at4cuda3cub6detail10OpaqueTypeILi8EEEEEPdjNS1_19radix_merge_compareILb0ELb0EdNS0_19identity_decomposerEEEEEvT0_T1_jPSH_T2_SH_: ; @_ZN7rocprim17ROCPRIM_304000_NS6detail45device_block_merge_mergepath_partition_kernelINS1_37wrapped_merge_sort_block_merge_configINS0_14default_configEdN2at4cuda3cub6detail10OpaqueTypeILi8EEEEEPdjNS1_19radix_merge_compareILb0ELb0EdNS0_19identity_decomposerEEEEEvT0_T1_jPSH_T2_SH_
; %bb.0:
	s_load_dwordx2 s[0:1], s[4:5], 0x8
	v_lshl_or_b32 v0, s6, 7, v0
	s_waitcnt lgkmcnt(0)
	v_cmp_gt_u32_e32 vcc, s1, v0
	s_and_saveexec_b64 s[2:3], vcc
	s_cbranch_execz .LBB152_6
; %bb.1:
	s_load_dword s1, s[4:5], 0x1c
	s_mov_b32 s2, 0
	s_waitcnt lgkmcnt(0)
	s_lshr_b32 s3, s1, 9
	s_and_b32 s3, s3, 0x7ffffe
	s_add_i32 s6, s3, -1
	s_sub_i32 s3, 0, s3
	v_and_b32_e32 v1, s3, v0
	v_lshlrev_b32_e32 v3, 10, v1
	v_min_u32_e32 v1, s0, v3
	v_add_u32_e32 v3, s1, v3
	v_min_u32_e32 v3, s0, v3
	v_add_u32_e32 v4, s1, v3
	v_and_b32_e32 v2, s6, v0
	v_min_u32_e32 v4, s0, v4
	v_sub_u32_e32 v5, v4, v1
	v_lshlrev_b32_e32 v2, 10, v2
	v_min_u32_e32 v6, v5, v2
	v_sub_u32_e32 v2, v3, v1
	v_sub_u32_e32 v4, v4, v3
	v_sub_u32_e64 v5, v6, v4 clamp
	v_min_u32_e32 v7, v6, v2
	v_cmp_lt_u32_e32 vcc, v5, v7
	s_and_saveexec_b64 s[6:7], vcc
	s_cbranch_execz .LBB152_5
; %bb.2:
	s_load_dwordx2 s[0:1], s[4:5], 0x0
	v_mov_b32_e32 v4, 0
	v_mov_b32_e32 v2, v4
	v_lshlrev_b64 v[8:9], 3, v[1:2]
	s_mov_b64 s[8:9], 0
	s_waitcnt lgkmcnt(0)
	v_mov_b32_e32 v11, s1
	v_add_co_u32_e32 v2, vcc, s0, v8
	v_addc_co_u32_e32 v8, vcc, v11, v9, vcc
	v_lshlrev_b64 v[9:10], 3, v[3:4]
	s_brev_b32 s3, 1
	v_add_co_u32_e32 v9, vcc, s0, v9
	v_addc_co_u32_e32 v10, vcc, v11, v10, vcc
	v_bfrev_b32_e32 v11, 1
.LBB152_3:                              ; =>This Inner Loop Header: Depth=1
	v_add_u32_e32 v3, v7, v5
	v_lshrrev_b32_e32 v3, 1, v3
	v_lshlrev_b64 v[14:15], 3, v[3:4]
	v_mov_b32_e32 v13, v4
	v_xad_u32 v12, v3, -1, v6
	v_lshlrev_b64 v[12:13], 3, v[12:13]
	v_add_co_u32_e32 v14, vcc, v2, v14
	v_addc_co_u32_e32 v15, vcc, v8, v15, vcc
	global_load_dwordx2 v[14:15], v[14:15], off
	v_add_co_u32_e32 v12, vcc, v9, v12
	v_addc_co_u32_e32 v13, vcc, v10, v13, vcc
	global_load_dwordx2 v[12:13], v[12:13], off
	v_add_u32_e32 v16, 1, v3
	s_waitcnt vmcnt(1)
	v_cmp_ne_u64_e32 vcc, s[2:3], v[14:15]
	v_cndmask_b32_e32 v15, 0, v15, vcc
	v_cndmask_b32_e32 v14, 0, v14, vcc
	v_cmp_lt_i64_e32 vcc, -1, v[14:15]
	s_waitcnt vmcnt(0)
	v_cmp_ne_u64_e64 s[0:1], s[2:3], v[12:13]
	v_cndmask_b32_e32 v19, -1, v11, vcc
	v_cndmask_b32_e64 v13, 0, v13, s[0:1]
	v_cndmask_b32_e64 v12, 0, v12, s[0:1]
	v_cmp_lt_i64_e32 vcc, -1, v[12:13]
	v_ashrrev_i32_e32 v17, 31, v15
	v_ashrrev_i32_e32 v18, 31, v13
	v_xor_b32_e32 v14, v17, v14
	v_cndmask_b32_e32 v17, -1, v11, vcc
	v_xor_b32_e32 v15, v19, v15
	v_xor_b32_e32 v12, v18, v12
	;; [unrolled: 1-line block ×3, first 2 shown]
	v_cmp_gt_u64_e32 vcc, v[14:15], v[12:13]
	v_cndmask_b32_e32 v7, v7, v3, vcc
	v_cndmask_b32_e32 v5, v16, v5, vcc
	v_cmp_ge_u32_e32 vcc, v5, v7
	s_or_b64 s[8:9], vcc, s[8:9]
	s_andn2_b64 exec, exec, s[8:9]
	s_cbranch_execnz .LBB152_3
; %bb.4:
	s_or_b64 exec, exec, s[8:9]
.LBB152_5:
	s_or_b64 exec, exec, s[6:7]
	s_load_dwordx2 s[0:1], s[4:5], 0x10
	v_add_u32_e32 v2, v5, v1
	v_mov_b32_e32 v1, 0
	v_lshlrev_b64 v[0:1], 2, v[0:1]
	s_waitcnt lgkmcnt(0)
	v_mov_b32_e32 v3, s1
	v_add_co_u32_e32 v0, vcc, s0, v0
	v_addc_co_u32_e32 v1, vcc, v3, v1, vcc
	global_store_dword v[0:1], v2, off
.LBB152_6:
	s_endpgm
	.section	.rodata,"a",@progbits
	.p2align	6, 0x0
	.amdhsa_kernel _ZN7rocprim17ROCPRIM_304000_NS6detail45device_block_merge_mergepath_partition_kernelINS1_37wrapped_merge_sort_block_merge_configINS0_14default_configEdN2at4cuda3cub6detail10OpaqueTypeILi8EEEEEPdjNS1_19radix_merge_compareILb0ELb0EdNS0_19identity_decomposerEEEEEvT0_T1_jPSH_T2_SH_
		.amdhsa_group_segment_fixed_size 0
		.amdhsa_private_segment_fixed_size 0
		.amdhsa_kernarg_size 32
		.amdhsa_user_sgpr_count 6
		.amdhsa_user_sgpr_private_segment_buffer 1
		.amdhsa_user_sgpr_dispatch_ptr 0
		.amdhsa_user_sgpr_queue_ptr 0
		.amdhsa_user_sgpr_kernarg_segment_ptr 1
		.amdhsa_user_sgpr_dispatch_id 0
		.amdhsa_user_sgpr_flat_scratch_init 0
		.amdhsa_user_sgpr_private_segment_size 0
		.amdhsa_uses_dynamic_stack 0
		.amdhsa_system_sgpr_private_segment_wavefront_offset 0
		.amdhsa_system_sgpr_workgroup_id_x 1
		.amdhsa_system_sgpr_workgroup_id_y 0
		.amdhsa_system_sgpr_workgroup_id_z 0
		.amdhsa_system_sgpr_workgroup_info 0
		.amdhsa_system_vgpr_workitem_id 0
		.amdhsa_next_free_vgpr 20
		.amdhsa_next_free_sgpr 10
		.amdhsa_reserve_vcc 1
		.amdhsa_reserve_flat_scratch 0
		.amdhsa_float_round_mode_32 0
		.amdhsa_float_round_mode_16_64 0
		.amdhsa_float_denorm_mode_32 3
		.amdhsa_float_denorm_mode_16_64 3
		.amdhsa_dx10_clamp 1
		.amdhsa_ieee_mode 1
		.amdhsa_fp16_overflow 0
		.amdhsa_exception_fp_ieee_invalid_op 0
		.amdhsa_exception_fp_denorm_src 0
		.amdhsa_exception_fp_ieee_div_zero 0
		.amdhsa_exception_fp_ieee_overflow 0
		.amdhsa_exception_fp_ieee_underflow 0
		.amdhsa_exception_fp_ieee_inexact 0
		.amdhsa_exception_int_div_zero 0
	.end_amdhsa_kernel
	.section	.text._ZN7rocprim17ROCPRIM_304000_NS6detail45device_block_merge_mergepath_partition_kernelINS1_37wrapped_merge_sort_block_merge_configINS0_14default_configEdN2at4cuda3cub6detail10OpaqueTypeILi8EEEEEPdjNS1_19radix_merge_compareILb0ELb0EdNS0_19identity_decomposerEEEEEvT0_T1_jPSH_T2_SH_,"axG",@progbits,_ZN7rocprim17ROCPRIM_304000_NS6detail45device_block_merge_mergepath_partition_kernelINS1_37wrapped_merge_sort_block_merge_configINS0_14default_configEdN2at4cuda3cub6detail10OpaqueTypeILi8EEEEEPdjNS1_19radix_merge_compareILb0ELb0EdNS0_19identity_decomposerEEEEEvT0_T1_jPSH_T2_SH_,comdat
.Lfunc_end152:
	.size	_ZN7rocprim17ROCPRIM_304000_NS6detail45device_block_merge_mergepath_partition_kernelINS1_37wrapped_merge_sort_block_merge_configINS0_14default_configEdN2at4cuda3cub6detail10OpaqueTypeILi8EEEEEPdjNS1_19radix_merge_compareILb0ELb0EdNS0_19identity_decomposerEEEEEvT0_T1_jPSH_T2_SH_, .Lfunc_end152-_ZN7rocprim17ROCPRIM_304000_NS6detail45device_block_merge_mergepath_partition_kernelINS1_37wrapped_merge_sort_block_merge_configINS0_14default_configEdN2at4cuda3cub6detail10OpaqueTypeILi8EEEEEPdjNS1_19radix_merge_compareILb0ELb0EdNS0_19identity_decomposerEEEEEvT0_T1_jPSH_T2_SH_
                                        ; -- End function
	.set _ZN7rocprim17ROCPRIM_304000_NS6detail45device_block_merge_mergepath_partition_kernelINS1_37wrapped_merge_sort_block_merge_configINS0_14default_configEdN2at4cuda3cub6detail10OpaqueTypeILi8EEEEEPdjNS1_19radix_merge_compareILb0ELb0EdNS0_19identity_decomposerEEEEEvT0_T1_jPSH_T2_SH_.num_vgpr, 20
	.set _ZN7rocprim17ROCPRIM_304000_NS6detail45device_block_merge_mergepath_partition_kernelINS1_37wrapped_merge_sort_block_merge_configINS0_14default_configEdN2at4cuda3cub6detail10OpaqueTypeILi8EEEEEPdjNS1_19radix_merge_compareILb0ELb0EdNS0_19identity_decomposerEEEEEvT0_T1_jPSH_T2_SH_.num_agpr, 0
	.set _ZN7rocprim17ROCPRIM_304000_NS6detail45device_block_merge_mergepath_partition_kernelINS1_37wrapped_merge_sort_block_merge_configINS0_14default_configEdN2at4cuda3cub6detail10OpaqueTypeILi8EEEEEPdjNS1_19radix_merge_compareILb0ELb0EdNS0_19identity_decomposerEEEEEvT0_T1_jPSH_T2_SH_.numbered_sgpr, 10
	.set _ZN7rocprim17ROCPRIM_304000_NS6detail45device_block_merge_mergepath_partition_kernelINS1_37wrapped_merge_sort_block_merge_configINS0_14default_configEdN2at4cuda3cub6detail10OpaqueTypeILi8EEEEEPdjNS1_19radix_merge_compareILb0ELb0EdNS0_19identity_decomposerEEEEEvT0_T1_jPSH_T2_SH_.num_named_barrier, 0
	.set _ZN7rocprim17ROCPRIM_304000_NS6detail45device_block_merge_mergepath_partition_kernelINS1_37wrapped_merge_sort_block_merge_configINS0_14default_configEdN2at4cuda3cub6detail10OpaqueTypeILi8EEEEEPdjNS1_19radix_merge_compareILb0ELb0EdNS0_19identity_decomposerEEEEEvT0_T1_jPSH_T2_SH_.private_seg_size, 0
	.set _ZN7rocprim17ROCPRIM_304000_NS6detail45device_block_merge_mergepath_partition_kernelINS1_37wrapped_merge_sort_block_merge_configINS0_14default_configEdN2at4cuda3cub6detail10OpaqueTypeILi8EEEEEPdjNS1_19radix_merge_compareILb0ELb0EdNS0_19identity_decomposerEEEEEvT0_T1_jPSH_T2_SH_.uses_vcc, 1
	.set _ZN7rocprim17ROCPRIM_304000_NS6detail45device_block_merge_mergepath_partition_kernelINS1_37wrapped_merge_sort_block_merge_configINS0_14default_configEdN2at4cuda3cub6detail10OpaqueTypeILi8EEEEEPdjNS1_19radix_merge_compareILb0ELb0EdNS0_19identity_decomposerEEEEEvT0_T1_jPSH_T2_SH_.uses_flat_scratch, 0
	.set _ZN7rocprim17ROCPRIM_304000_NS6detail45device_block_merge_mergepath_partition_kernelINS1_37wrapped_merge_sort_block_merge_configINS0_14default_configEdN2at4cuda3cub6detail10OpaqueTypeILi8EEEEEPdjNS1_19radix_merge_compareILb0ELb0EdNS0_19identity_decomposerEEEEEvT0_T1_jPSH_T2_SH_.has_dyn_sized_stack, 0
	.set _ZN7rocprim17ROCPRIM_304000_NS6detail45device_block_merge_mergepath_partition_kernelINS1_37wrapped_merge_sort_block_merge_configINS0_14default_configEdN2at4cuda3cub6detail10OpaqueTypeILi8EEEEEPdjNS1_19radix_merge_compareILb0ELb0EdNS0_19identity_decomposerEEEEEvT0_T1_jPSH_T2_SH_.has_recursion, 0
	.set _ZN7rocprim17ROCPRIM_304000_NS6detail45device_block_merge_mergepath_partition_kernelINS1_37wrapped_merge_sort_block_merge_configINS0_14default_configEdN2at4cuda3cub6detail10OpaqueTypeILi8EEEEEPdjNS1_19radix_merge_compareILb0ELb0EdNS0_19identity_decomposerEEEEEvT0_T1_jPSH_T2_SH_.has_indirect_call, 0
	.section	.AMDGPU.csdata,"",@progbits
; Kernel info:
; codeLenInByte = 456
; TotalNumSgprs: 14
; NumVgprs: 20
; ScratchSize: 0
; MemoryBound: 0
; FloatMode: 240
; IeeeMode: 1
; LDSByteSize: 0 bytes/workgroup (compile time only)
; SGPRBlocks: 1
; VGPRBlocks: 4
; NumSGPRsForWavesPerEU: 14
; NumVGPRsForWavesPerEU: 20
; Occupancy: 10
; WaveLimiterHint : 0
; COMPUTE_PGM_RSRC2:SCRATCH_EN: 0
; COMPUTE_PGM_RSRC2:USER_SGPR: 6
; COMPUTE_PGM_RSRC2:TRAP_HANDLER: 0
; COMPUTE_PGM_RSRC2:TGID_X_EN: 1
; COMPUTE_PGM_RSRC2:TGID_Y_EN: 0
; COMPUTE_PGM_RSRC2:TGID_Z_EN: 0
; COMPUTE_PGM_RSRC2:TIDIG_COMP_CNT: 0
	.section	.text._ZN7rocprim17ROCPRIM_304000_NS6detail35device_block_merge_mergepath_kernelINS1_37wrapped_merge_sort_block_merge_configINS0_14default_configEdN2at4cuda3cub6detail10OpaqueTypeILi8EEEEEPdSC_PSA_SD_jNS1_19radix_merge_compareILb0ELb0EdNS0_19identity_decomposerEEEEEvT0_T1_T2_T3_T4_SL_jT5_PKSL_NS1_7vsmem_tE,"axG",@progbits,_ZN7rocprim17ROCPRIM_304000_NS6detail35device_block_merge_mergepath_kernelINS1_37wrapped_merge_sort_block_merge_configINS0_14default_configEdN2at4cuda3cub6detail10OpaqueTypeILi8EEEEEPdSC_PSA_SD_jNS1_19radix_merge_compareILb0ELb0EdNS0_19identity_decomposerEEEEEvT0_T1_T2_T3_T4_SL_jT5_PKSL_NS1_7vsmem_tE,comdat
	.protected	_ZN7rocprim17ROCPRIM_304000_NS6detail35device_block_merge_mergepath_kernelINS1_37wrapped_merge_sort_block_merge_configINS0_14default_configEdN2at4cuda3cub6detail10OpaqueTypeILi8EEEEEPdSC_PSA_SD_jNS1_19radix_merge_compareILb0ELb0EdNS0_19identity_decomposerEEEEEvT0_T1_T2_T3_T4_SL_jT5_PKSL_NS1_7vsmem_tE ; -- Begin function _ZN7rocprim17ROCPRIM_304000_NS6detail35device_block_merge_mergepath_kernelINS1_37wrapped_merge_sort_block_merge_configINS0_14default_configEdN2at4cuda3cub6detail10OpaqueTypeILi8EEEEEPdSC_PSA_SD_jNS1_19radix_merge_compareILb0ELb0EdNS0_19identity_decomposerEEEEEvT0_T1_T2_T3_T4_SL_jT5_PKSL_NS1_7vsmem_tE
	.globl	_ZN7rocprim17ROCPRIM_304000_NS6detail35device_block_merge_mergepath_kernelINS1_37wrapped_merge_sort_block_merge_configINS0_14default_configEdN2at4cuda3cub6detail10OpaqueTypeILi8EEEEEPdSC_PSA_SD_jNS1_19radix_merge_compareILb0ELb0EdNS0_19identity_decomposerEEEEEvT0_T1_T2_T3_T4_SL_jT5_PKSL_NS1_7vsmem_tE
	.p2align	8
	.type	_ZN7rocprim17ROCPRIM_304000_NS6detail35device_block_merge_mergepath_kernelINS1_37wrapped_merge_sort_block_merge_configINS0_14default_configEdN2at4cuda3cub6detail10OpaqueTypeILi8EEEEEPdSC_PSA_SD_jNS1_19radix_merge_compareILb0ELb0EdNS0_19identity_decomposerEEEEEvT0_T1_T2_T3_T4_SL_jT5_PKSL_NS1_7vsmem_tE,@function
_ZN7rocprim17ROCPRIM_304000_NS6detail35device_block_merge_mergepath_kernelINS1_37wrapped_merge_sort_block_merge_configINS0_14default_configEdN2at4cuda3cub6detail10OpaqueTypeILi8EEEEEPdSC_PSA_SD_jNS1_19radix_merge_compareILb0ELb0EdNS0_19identity_decomposerEEEEEvT0_T1_T2_T3_T4_SL_jT5_PKSL_NS1_7vsmem_tE: ; @_ZN7rocprim17ROCPRIM_304000_NS6detail35device_block_merge_mergepath_kernelINS1_37wrapped_merge_sort_block_merge_configINS0_14default_configEdN2at4cuda3cub6detail10OpaqueTypeILi8EEEEEPdSC_PSA_SD_jNS1_19radix_merge_compareILb0ELb0EdNS0_19identity_decomposerEEEEEvT0_T1_T2_T3_T4_SL_jT5_PKSL_NS1_7vsmem_tE
; %bb.0:
	s_load_dwordx2 s[28:29], s[4:5], 0x40
	s_load_dwordx4 s[16:19], s[4:5], 0x20
	s_add_u32 s26, s4, 64
	s_addc_u32 s27, s5, 0
	s_waitcnt lgkmcnt(0)
	s_mul_i32 s0, s29, s8
	s_add_i32 s0, s0, s7
	s_mul_i32 s0, s0, s28
	s_add_i32 s0, s0, s6
	s_cmp_ge_u32 s0, s18
	s_cbranch_scc1 .LBB153_133
; %bb.1:
	s_load_dwordx8 s[8:15], s[4:5], 0x0
	s_load_dwordx2 s[2:3], s[4:5], 0x30
	s_lshr_b32 s31, s16, 10
	s_cmp_lg_u32 s0, s31
	s_mov_b32 s1, 0
	s_cselect_b64 s[20:21], -1, 0
	s_lshl_b64 s[4:5], s[0:1], 2
	s_waitcnt lgkmcnt(0)
	s_add_u32 s2, s2, s4
	s_addc_u32 s3, s3, s5
	s_load_dwordx2 s[22:23], s[2:3], 0x0
	s_lshr_b32 s2, s17, 9
	s_and_b32 s2, s2, 0x7ffffe
	s_sub_i32 s2, 0, s2
	s_and_b32 s3, s0, s2
	s_lshl_b32 s4, s3, 10
	s_lshl_b32 s18, s0, 10
	;; [unrolled: 1-line block ×3, first 2 shown]
	s_sub_i32 s5, s18, s4
	s_add_i32 s3, s3, s17
	s_add_i32 s5, s3, s5
	s_waitcnt lgkmcnt(0)
	s_sub_i32 s7, s5, s22
	s_sub_i32 s5, s5, s23
	;; [unrolled: 1-line block ×3, first 2 shown]
	s_min_u32 s24, s16, s7
	s_addk_i32 s5, 0x400
	s_or_b32 s2, s0, s2
	s_min_u32 s4, s16, s3
	s_add_i32 s3, s3, s17
	s_cmp_eq_u32 s2, -1
	s_cselect_b32 s2, s3, s5
	s_cselect_b32 s3, s4, s23
	s_min_u32 s2, s2, s16
	s_mov_b32 s23, s1
	s_sub_i32 s19, s3, s22
	s_sub_i32 s33, s2, s24
	s_lshl_b64 s[2:3], s[22:23], 3
	s_add_u32 s29, s8, s2
	s_mov_b32 s25, s1
	s_addc_u32 s30, s9, s3
	s_lshl_b64 s[4:5], s[24:25], 3
	s_add_u32 s8, s8, s4
	v_mov_b32_e32 v19, 0
	global_load_dword v1, v19, s[26:27] offset:14
	s_addc_u32 s9, s9, s5
	s_cmp_lt_u32 s6, s28
	s_cselect_b32 s1, 12, 18
	s_add_u32 s6, s26, s1
	s_addc_u32 s7, s27, 0
	global_load_ushort v2, v19, s[6:7]
	s_cmp_eq_u32 s0, s31
	v_cmp_gt_u32_e32 vcc, s19, v0
	v_lshlrev_b32_e32 v33, 3, v0
	s_waitcnt vmcnt(1)
	v_lshrrev_b32_e32 v3, 16, v1
	v_and_b32_e32 v1, 0xffff, v1
	v_mul_lo_u32 v1, v1, v3
	s_waitcnt vmcnt(0)
	v_mul_lo_u32 v20, v1, v2
	v_add_u32_e32 v18, v20, v0
	s_cbranch_scc1 .LBB153_3
; %bb.2:
	v_mov_b32_e32 v1, s30
	v_add_co_u32_e64 v3, s[0:1], s29, v33
	v_subrev_u32_e32 v2, s19, v0
	v_addc_co_u32_e64 v1, s[0:1], 0, v1, s[0:1]
	v_lshlrev_b32_e32 v2, 3, v2
	v_mov_b32_e32 v4, s9
	v_add_co_u32_e64 v5, s[0:1], s8, v2
	v_addc_co_u32_e64 v2, s[0:1], 0, v4, s[0:1]
	v_cndmask_b32_e32 v2, v2, v1, vcc
	v_cndmask_b32_e32 v1, v5, v3, vcc
	v_lshlrev_b64 v[3:4], 3, v[18:19]
	v_mov_b32_e32 v5, s30
	v_add_co_u32_e32 v6, vcc, s29, v3
	v_addc_co_u32_e32 v5, vcc, v5, v4, vcc
	v_subrev_co_u32_e32 v3, vcc, s19, v18
	v_mov_b32_e32 v4, v19
	v_lshlrev_b64 v[3:4], 3, v[3:4]
	v_mov_b32_e32 v7, s9
	v_add_co_u32_e64 v3, s[0:1], s8, v3
	v_addc_co_u32_e64 v4, s[0:1], v7, v4, s[0:1]
	v_add_u32_e32 v7, v18, v20
	v_mov_b32_e32 v8, v19
	v_cndmask_b32_e32 v4, v4, v5, vcc
	v_cndmask_b32_e32 v3, v3, v6, vcc
	v_lshlrev_b64 v[5:6], 3, v[7:8]
	v_mov_b32_e32 v8, s30
	v_add_co_u32_e32 v9, vcc, s29, v5
	v_addc_co_u32_e32 v8, vcc, v8, v6, vcc
	v_subrev_co_u32_e32 v5, vcc, s19, v7
	v_mov_b32_e32 v6, v19
	v_lshlrev_b64 v[5:6], 3, v[5:6]
	v_mov_b32_e32 v10, s9
	v_add_co_u32_e64 v5, s[0:1], s8, v5
	v_addc_co_u32_e64 v6, s[0:1], v10, v6, s[0:1]
	v_cndmask_b32_e32 v5, v5, v9, vcc
	v_add_u32_e32 v9, v7, v20
	v_mov_b32_e32 v10, v19
	v_cndmask_b32_e32 v6, v6, v8, vcc
	v_lshlrev_b64 v[7:8], 3, v[9:10]
	v_mov_b32_e32 v10, s30
	v_add_co_u32_e32 v11, vcc, s29, v7
	v_addc_co_u32_e32 v10, vcc, v10, v8, vcc
	v_subrev_co_u32_e32 v7, vcc, s19, v9
	v_mov_b32_e32 v8, v19
	v_lshlrev_b64 v[7:8], 3, v[7:8]
	v_mov_b32_e32 v12, s9
	v_add_co_u32_e64 v7, s[0:1], s8, v7
	v_addc_co_u32_e64 v8, s[0:1], v12, v8, s[0:1]
	v_cndmask_b32_e32 v7, v7, v11, vcc
	v_add_u32_e32 v11, v9, v20
	v_mov_b32_e32 v12, v19
	;; [unrolled: 14-line block ×5, first 2 shown]
	v_cndmask_b32_e32 v13, v13, v17, vcc
	v_lshlrev_b64 v[16:17], 3, v[15:16]
	v_mov_b32_e32 v21, s30
	v_add_co_u32_e32 v22, vcc, s29, v16
	v_addc_co_u32_e32 v17, vcc, v21, v17, vcc
	v_subrev_co_u32_e32 v15, vcc, s19, v15
	v_mov_b32_e32 v16, v19
	v_lshlrev_b64 v[15:16], 3, v[15:16]
	v_mov_b32_e32 v19, s9
	v_add_co_u32_e64 v15, s[0:1], s8, v15
	v_addc_co_u32_e64 v16, s[0:1], v19, v16, s[0:1]
	v_cndmask_b32_e32 v16, v16, v17, vcc
	v_cndmask_b32_e32 v15, v15, v22, vcc
	global_load_dwordx2 v[1:2], v[1:2], off
	s_add_i32 s17, s33, s19
	global_load_dwordx2 v[3:4], v[3:4], off
	s_nop 0
	global_load_dwordx2 v[5:6], v[5:6], off
	s_nop 0
	;; [unrolled: 2-line block ×6, first 2 shown]
	global_load_dwordx2 v[15:16], v[15:16], off
	s_cbranch_execz .LBB153_4
	s_branch .LBB153_21
.LBB153_3:
                                        ; implicit-def: $vgpr1_vgpr2_vgpr3_vgpr4_vgpr5_vgpr6_vgpr7_vgpr8_vgpr9_vgpr10_vgpr11_vgpr12_vgpr13_vgpr14_vgpr15_vgpr16
                                        ; implicit-def: $sgpr17
.LBB153_4:
	s_add_i32 s17, s33, s19
	s_waitcnt vmcnt(7)
	v_mov_b32_e32 v1, 0
	v_cmp_gt_u32_e32 vcc, s17, v0
	v_mov_b32_e32 v2, v1
	s_waitcnt vmcnt(6)
	v_mov_b32_e32 v3, v1
	v_mov_b32_e32 v4, v1
	s_waitcnt vmcnt(5)
	v_mov_b32_e32 v5, v1
	v_mov_b32_e32 v6, v1
	s_waitcnt vmcnt(4)
	v_mov_b32_e32 v7, v1
	v_mov_b32_e32 v8, v1
	s_waitcnt vmcnt(3)
	v_mov_b32_e32 v9, v1
	v_mov_b32_e32 v10, v1
	s_waitcnt vmcnt(2)
	v_mov_b32_e32 v11, v1
	v_mov_b32_e32 v12, v1
	s_waitcnt vmcnt(1)
	v_mov_b32_e32 v13, v1
	v_mov_b32_e32 v14, v1
	s_waitcnt vmcnt(0)
	v_mov_b32_e32 v15, v1
	v_mov_b32_e32 v16, v1
	s_and_saveexec_b64 s[0:1], vcc
	s_cbranch_execz .LBB153_6
; %bb.5:
	v_mov_b32_e32 v2, s30
	v_add_co_u32_e32 v4, vcc, s29, v33
	v_subrev_u32_e32 v3, s19, v0
	v_addc_co_u32_e32 v2, vcc, 0, v2, vcc
	v_lshlrev_b32_e32 v3, 3, v3
	v_mov_b32_e32 v5, s9
	v_add_co_u32_e32 v6, vcc, s8, v3
	v_addc_co_u32_e32 v3, vcc, 0, v5, vcc
	v_cmp_gt_u32_e32 vcc, s19, v0
	v_cndmask_b32_e32 v3, v3, v2, vcc
	v_cndmask_b32_e32 v2, v6, v4, vcc
	global_load_dwordx2 v[2:3], v[2:3], off
	v_mov_b32_e32 v4, v1
	v_mov_b32_e32 v5, v1
	;; [unrolled: 1-line block ×14, first 2 shown]
	s_waitcnt vmcnt(0)
	v_mov_b32_e32 v1, v2
	v_mov_b32_e32 v2, v3
	;; [unrolled: 1-line block ×16, first 2 shown]
.LBB153_6:
	s_or_b64 exec, exec, s[0:1]
	v_cmp_gt_u32_e32 vcc, s17, v18
	s_and_saveexec_b64 s[6:7], vcc
	s_cbranch_execz .LBB153_8
; %bb.7:
	v_mov_b32_e32 v19, 0
	v_lshlrev_b64 v[3:4], 3, v[18:19]
	v_mov_b32_e32 v17, s30
	v_add_co_u32_e32 v21, vcc, s29, v3
	v_addc_co_u32_e32 v17, vcc, v17, v4, vcc
	v_subrev_co_u32_e32 v3, vcc, s19, v18
	v_mov_b32_e32 v4, v19
	v_lshlrev_b64 v[3:4], 3, v[3:4]
	v_mov_b32_e32 v19, s9
	v_add_co_u32_e64 v3, s[0:1], s8, v3
	v_addc_co_u32_e64 v4, s[0:1], v19, v4, s[0:1]
	v_cndmask_b32_e32 v4, v4, v17, vcc
	v_cndmask_b32_e32 v3, v3, v21, vcc
	global_load_dwordx2 v[3:4], v[3:4], off
.LBB153_8:
	s_or_b64 exec, exec, s[6:7]
	v_add_u32_e32 v17, v18, v20
	v_cmp_gt_u32_e32 vcc, s17, v17
	s_and_saveexec_b64 s[6:7], vcc
	s_cbranch_execz .LBB153_10
; %bb.9:
	v_mov_b32_e32 v18, 0
	v_lshlrev_b64 v[5:6], 3, v[17:18]
	v_mov_b32_e32 v19, s30
	v_add_co_u32_e32 v21, vcc, s29, v5
	v_addc_co_u32_e32 v19, vcc, v19, v6, vcc
	v_subrev_co_u32_e32 v5, vcc, s19, v17
	v_mov_b32_e32 v6, v18
	v_lshlrev_b64 v[5:6], 3, v[5:6]
	v_mov_b32_e32 v18, s9
	v_add_co_u32_e64 v5, s[0:1], s8, v5
	v_addc_co_u32_e64 v6, s[0:1], v18, v6, s[0:1]
	v_cndmask_b32_e32 v6, v6, v19, vcc
	v_cndmask_b32_e32 v5, v5, v21, vcc
	global_load_dwordx2 v[5:6], v[5:6], off
.LBB153_10:
	s_or_b64 exec, exec, s[6:7]
	v_add_u32_e32 v17, v17, v20
	;; [unrolled: 21-line block ×6, first 2 shown]
	v_cmp_gt_u32_e32 vcc, s17, v17
	s_and_saveexec_b64 s[6:7], vcc
	s_cbranch_execz .LBB153_20
; %bb.19:
	v_mov_b32_e32 v18, 0
	v_lshlrev_b64 v[15:16], 3, v[17:18]
	v_mov_b32_e32 v19, s30
	v_add_co_u32_e32 v20, vcc, s29, v15
	v_addc_co_u32_e32 v19, vcc, v19, v16, vcc
	v_subrev_co_u32_e32 v17, vcc, s19, v17
	v_lshlrev_b64 v[15:16], 3, v[17:18]
	v_mov_b32_e32 v17, s9
	v_add_co_u32_e64 v15, s[0:1], s8, v15
	v_addc_co_u32_e64 v16, s[0:1], v17, v16, s[0:1]
	v_cndmask_b32_e32 v16, v16, v19, vcc
	v_cndmask_b32_e32 v15, v15, v20, vcc
	global_load_dwordx2 v[15:16], v[15:16], off
.LBB153_20:
	s_or_b64 exec, exec, s[6:7]
.LBB153_21:
	v_min_u32_e32 v18, s17, v33
	v_sub_u32_e64 v17, v18, s33 clamp
	v_min_u32_e32 v19, s19, v18
	v_cmp_lt_u32_e32 vcc, v17, v19
	s_waitcnt vmcnt(0)
	ds_write2st64_b64 v33, v[1:2], v[3:4] offset1:2
	ds_write2st64_b64 v33, v[5:6], v[7:8] offset0:4 offset1:6
	ds_write2st64_b64 v33, v[9:10], v[11:12] offset0:8 offset1:10
	;; [unrolled: 1-line block ×3, first 2 shown]
	s_waitcnt lgkmcnt(0)
	s_barrier
	s_and_saveexec_b64 s[6:7], vcc
	s_cbranch_execz .LBB153_25
; %bb.22:
	v_lshlrev_b32_e32 v20, 3, v18
	s_mov_b32 s26, 0
	v_lshl_add_u32 v20, s19, 3, v20
	s_mov_b64 s[8:9], 0
	s_brev_b32 s27, 1
	v_bfrev_b32_e32 v21, 1
.LBB153_23:                             ; =>This Inner Loop Header: Depth=1
	v_add_u32_e32 v22, v19, v17
	v_lshrrev_b32_e32 v26, 1, v22
	v_lshlrev_b32_e32 v22, 3, v26
	v_not_b32_e32 v24, v26
	ds_read_b64 v[22:23], v22
	v_lshl_add_u32 v24, v24, 3, v20
	ds_read_b64 v[24:25], v24
	v_add_u32_e32 v27, 1, v26
	s_waitcnt lgkmcnt(1)
	v_cmp_ne_u64_e32 vcc, s[26:27], v[22:23]
	v_cndmask_b32_e32 v23, 0, v23, vcc
	s_waitcnt lgkmcnt(0)
	v_cmp_ne_u64_e64 s[0:1], s[26:27], v[24:25]
	v_cndmask_b32_e32 v22, 0, v22, vcc
	v_cmp_lt_i64_e32 vcc, -1, v[22:23]
	v_cndmask_b32_e64 v25, 0, v25, s[0:1]
	v_cndmask_b32_e64 v24, 0, v24, s[0:1]
	v_cndmask_b32_e32 v30, -1, v21, vcc
	v_cmp_lt_i64_e32 vcc, -1, v[24:25]
	v_ashrrev_i32_e32 v28, 31, v23
	v_ashrrev_i32_e32 v29, 31, v25
	v_xor_b32_e32 v22, v28, v22
	v_cndmask_b32_e32 v28, -1, v21, vcc
	v_xor_b32_e32 v23, v30, v23
	v_xor_b32_e32 v24, v29, v24
	;; [unrolled: 1-line block ×3, first 2 shown]
	v_cmp_gt_u64_e32 vcc, v[22:23], v[24:25]
	v_cndmask_b32_e32 v19, v19, v26, vcc
	v_cndmask_b32_e32 v17, v27, v17, vcc
	v_cmp_ge_u32_e32 vcc, v17, v19
	s_or_b64 s[8:9], vcc, s[8:9]
	s_andn2_b64 exec, exec, s[8:9]
	s_cbranch_execnz .LBB153_23
; %bb.24:
	s_or_b64 exec, exec, s[8:9]
.LBB153_25:
	s_or_b64 exec, exec, s[6:7]
	v_sub_u32_e32 v18, v18, v17
	v_add_u32_e32 v18, s19, v18
	v_cmp_ge_u32_e32 vcc, s19, v17
	v_cmp_ge_u32_e64 s[0:1], s17, v18
	s_or_b64 s[0:1], vcc, s[0:1]
	v_mov_b32_e32 v34, 0
	v_mov_b32_e32 v35, 0
	;; [unrolled: 1-line block ×8, first 2 shown]
	s_and_saveexec_b64 s[6:7], s[0:1]
	s_cbranch_execz .LBB153_61
; %bb.26:
	v_cmp_le_u32_e32 vcc, s19, v17
	v_cmp_gt_u32_e64 s[0:1], s19, v17
                                        ; implicit-def: $vgpr1_vgpr2
	s_and_saveexec_b64 s[8:9], s[0:1]
; %bb.27:
	v_lshlrev_b32_e32 v1, 3, v17
	ds_read_b64 v[1:2], v1
; %bb.28:
	s_or_b64 exec, exec, s[8:9]
	v_cmp_le_u32_e64 s[8:9], s17, v18
	v_cmp_gt_u32_e64 s[0:1], s17, v18
                                        ; implicit-def: $vgpr3_vgpr4
	s_and_saveexec_b64 s[26:27], s[0:1]
; %bb.29:
	v_lshlrev_b32_e32 v3, 3, v18
	ds_read_b64 v[3:4], v3
; %bb.30:
	s_or_b64 exec, exec, s[26:27]
	s_nor_b64 s[26:27], vcc, s[8:9]
	s_and_saveexec_b64 s[0:1], s[26:27]
	s_cbranch_execz .LBB153_32
; %bb.31:
	s_mov_b32 s26, 0
	s_brev_b32 s27, 1
	s_waitcnt lgkmcnt(0)
	v_cmp_ne_u64_e32 vcc, s[26:27], v[1:2]
	v_bfrev_b32_e32 v9, 1
	v_cndmask_b32_e32 v6, 0, v2, vcc
	v_cndmask_b32_e32 v5, 0, v1, vcc
	v_cmp_ne_u64_e32 vcc, s[26:27], v[3:4]
	v_ashrrev_i32_e32 v11, 31, v6
	v_cndmask_b32_e32 v8, 0, v4, vcc
	v_cndmask_b32_e32 v7, 0, v3, vcc
	v_cmp_lt_i64_e32 vcc, -1, v[5:6]
	v_xor_b32_e32 v5, v11, v5
	v_cndmask_b32_e32 v10, -1, v9, vcc
	v_cmp_lt_i64_e32 vcc, -1, v[7:8]
	v_xor_b32_e32 v6, v10, v6
	v_cndmask_b32_e32 v9, -1, v9, vcc
	v_ashrrev_i32_e32 v10, 31, v8
	v_xor_b32_e32 v8, v9, v8
	v_xor_b32_e32 v7, v10, v7
	v_cmp_le_u64_e32 vcc, v[5:6], v[7:8]
	s_andn2_b64 s[8:9], s[8:9], exec
	s_and_b64 s[26:27], vcc, exec
	s_or_b64 s[8:9], s[8:9], s[26:27]
.LBB153_32:
	s_or_b64 exec, exec, s[0:1]
	v_mov_b32_e32 v5, s17
	v_mov_b32_e32 v6, s19
	v_cndmask_b32_e64 v34, v18, v17, s[8:9]
	v_cndmask_b32_e64 v5, v5, v6, s[8:9]
	v_add_u32_e32 v9, 1, v34
	v_add_u32_e32 v5, -1, v5
	v_min_u32_e32 v5, v9, v5
	v_lshlrev_b32_e32 v5, 3, v5
	ds_read_b64 v[7:8], v5
	v_cndmask_b32_e64 v13, v9, v18, s[8:9]
	v_cndmask_b32_e64 v14, v17, v9, s[8:9]
	v_cmp_gt_u32_e32 vcc, s17, v13
	s_mov_b64 s[0:1], -1
	s_waitcnt lgkmcnt(0)
	v_cndmask_b32_e64 v6, v8, v4, s[8:9]
	v_cndmask_b32_e64 v5, v7, v3, s[8:9]
	v_cndmask_b32_e64 v8, v2, v8, s[8:9]
	v_cndmask_b32_e64 v7, v1, v7, s[8:9]
	s_mov_b64 s[26:27], -1
	s_and_saveexec_b64 s[28:29], vcc
	s_cbranch_execz .LBB153_36
; %bb.33:
	v_cmp_gt_u32_e32 vcc, s19, v14
	s_mov_b64 s[30:31], 0
	s_and_saveexec_b64 s[26:27], vcc
	s_cbranch_execz .LBB153_35
; %bb.34:
	s_mov_b32 s30, 0
	s_brev_b32 s31, 1
	v_cmp_ne_u64_e32 vcc, s[30:31], v[7:8]
	v_bfrev_b32_e32 v15, 1
	v_cndmask_b32_e32 v10, 0, v8, vcc
	v_cndmask_b32_e32 v9, 0, v7, vcc
	v_cmp_ne_u64_e32 vcc, s[30:31], v[5:6]
	v_ashrrev_i32_e32 v17, 31, v10
	v_cndmask_b32_e32 v12, 0, v6, vcc
	v_cndmask_b32_e32 v11, 0, v5, vcc
	v_cmp_lt_i64_e32 vcc, -1, v[9:10]
	v_xor_b32_e32 v9, v17, v9
	v_cndmask_b32_e32 v16, -1, v15, vcc
	v_cmp_lt_i64_e32 vcc, -1, v[11:12]
	v_xor_b32_e32 v10, v16, v10
	v_cndmask_b32_e32 v15, -1, v15, vcc
	v_ashrrev_i32_e32 v16, 31, v12
	v_xor_b32_e32 v12, v15, v12
	v_xor_b32_e32 v11, v16, v11
	v_cmp_le_u64_e32 vcc, v[9:10], v[11:12]
	s_and_b64 s[30:31], vcc, exec
.LBB153_35:
	s_or_b64 exec, exec, s[26:27]
	s_orn2_b64 s[26:27], s[30:31], exec
.LBB153_36:
	s_or_b64 exec, exec, s[28:29]
	v_mov_b32_e32 v9, s17
	v_mov_b32_e32 v10, s19
	v_cndmask_b32_e64 v35, v13, v14, s[26:27]
	v_cndmask_b32_e64 v9, v9, v10, s[26:27]
	v_add_u32_e32 v15, 1, v35
	v_add_u32_e32 v9, -1, v9
	v_min_u32_e32 v9, v15, v9
	v_lshlrev_b32_e32 v9, 3, v9
	ds_read_b64 v[11:12], v9
	v_cndmask_b32_e64 v17, v15, v13, s[26:27]
	v_cndmask_b32_e64 v18, v14, v15, s[26:27]
	v_cmp_gt_u32_e32 vcc, s17, v17
	s_waitcnt lgkmcnt(0)
	v_cndmask_b32_e64 v10, v12, v6, s[26:27]
	v_cndmask_b32_e64 v9, v11, v5, s[26:27]
	;; [unrolled: 1-line block ×4, first 2 shown]
	s_and_saveexec_b64 s[28:29], vcc
	s_cbranch_execz .LBB153_40
; %bb.37:
	v_cmp_gt_u32_e32 vcc, s19, v18
	s_mov_b64 s[30:31], 0
	s_and_saveexec_b64 s[0:1], vcc
	s_cbranch_execz .LBB153_39
; %bb.38:
	s_mov_b32 s30, 0
	s_brev_b32 s31, 1
	v_cmp_ne_u64_e32 vcc, s[30:31], v[11:12]
	v_bfrev_b32_e32 v19, 1
	v_cndmask_b32_e32 v14, 0, v12, vcc
	v_cndmask_b32_e32 v13, 0, v11, vcc
	v_cmp_ne_u64_e32 vcc, s[30:31], v[9:10]
	v_ashrrev_i32_e32 v21, 31, v14
	v_cndmask_b32_e32 v16, 0, v10, vcc
	v_cndmask_b32_e32 v15, 0, v9, vcc
	v_cmp_lt_i64_e32 vcc, -1, v[13:14]
	v_xor_b32_e32 v13, v21, v13
	v_cndmask_b32_e32 v20, -1, v19, vcc
	v_cmp_lt_i64_e32 vcc, -1, v[15:16]
	v_xor_b32_e32 v14, v20, v14
	v_cndmask_b32_e32 v19, -1, v19, vcc
	v_ashrrev_i32_e32 v20, 31, v16
	v_xor_b32_e32 v16, v19, v16
	v_xor_b32_e32 v15, v20, v15
	v_cmp_le_u64_e32 vcc, v[13:14], v[15:16]
	s_and_b64 s[30:31], vcc, exec
.LBB153_39:
	s_or_b64 exec, exec, s[0:1]
	s_orn2_b64 s[0:1], s[30:31], exec
.LBB153_40:
	s_or_b64 exec, exec, s[28:29]
	v_mov_b32_e32 v13, s17
	v_mov_b32_e32 v14, s19
	v_cndmask_b32_e64 v36, v17, v18, s[0:1]
	v_cndmask_b32_e64 v13, v13, v14, s[0:1]
	v_add_u32_e32 v19, 1, v36
	v_add_u32_e32 v13, -1, v13
	v_min_u32_e32 v13, v19, v13
	v_lshlrev_b32_e32 v13, 3, v13
	ds_read_b64 v[15:16], v13
	v_cndmask_b32_e64 v21, v19, v17, s[0:1]
	v_cndmask_b32_e64 v22, v18, v19, s[0:1]
	v_cmp_gt_u32_e32 vcc, s17, v21
	s_mov_b64 s[28:29], -1
	s_waitcnt lgkmcnt(0)
	v_cndmask_b32_e64 v14, v16, v10, s[0:1]
	v_cndmask_b32_e64 v13, v15, v9, s[0:1]
	;; [unrolled: 1-line block ×4, first 2 shown]
	s_mov_b64 s[30:31], -1
	s_and_saveexec_b64 s[34:35], vcc
	s_cbranch_execz .LBB153_44
; %bb.41:
	v_cmp_gt_u32_e32 vcc, s19, v22
	s_mov_b64 s[36:37], 0
	s_and_saveexec_b64 s[30:31], vcc
	s_cbranch_execz .LBB153_43
; %bb.42:
	s_mov_b32 s36, 0
	s_brev_b32 s37, 1
	v_cmp_ne_u64_e32 vcc, s[36:37], v[15:16]
	v_bfrev_b32_e32 v23, 1
	v_cndmask_b32_e32 v18, 0, v16, vcc
	v_cndmask_b32_e32 v17, 0, v15, vcc
	v_cmp_ne_u64_e32 vcc, s[36:37], v[13:14]
	v_ashrrev_i32_e32 v25, 31, v18
	v_cndmask_b32_e32 v20, 0, v14, vcc
	v_cndmask_b32_e32 v19, 0, v13, vcc
	v_cmp_lt_i64_e32 vcc, -1, v[17:18]
	v_xor_b32_e32 v17, v25, v17
	v_cndmask_b32_e32 v24, -1, v23, vcc
	v_cmp_lt_i64_e32 vcc, -1, v[19:20]
	v_xor_b32_e32 v18, v24, v18
	v_cndmask_b32_e32 v23, -1, v23, vcc
	v_ashrrev_i32_e32 v24, 31, v20
	v_xor_b32_e32 v20, v23, v20
	v_xor_b32_e32 v19, v24, v19
	v_cmp_le_u64_e32 vcc, v[17:18], v[19:20]
	s_and_b64 s[36:37], vcc, exec
.LBB153_43:
	s_or_b64 exec, exec, s[30:31]
	s_orn2_b64 s[30:31], s[36:37], exec
.LBB153_44:
	s_or_b64 exec, exec, s[34:35]
	v_mov_b32_e32 v17, s17
	v_mov_b32_e32 v18, s19
	v_cndmask_b32_e64 v37, v21, v22, s[30:31]
	v_cndmask_b32_e64 v17, v17, v18, s[30:31]
	v_add_u32_e32 v23, 1, v37
	v_add_u32_e32 v17, -1, v17
	v_min_u32_e32 v17, v23, v17
	v_lshlrev_b32_e32 v17, 3, v17
	ds_read_b64 v[19:20], v17
	v_cndmask_b32_e64 v25, v23, v21, s[30:31]
	v_cndmask_b32_e64 v26, v22, v23, s[30:31]
	v_cmp_gt_u32_e32 vcc, s17, v25
	s_waitcnt lgkmcnt(0)
	v_cndmask_b32_e64 v18, v20, v14, s[30:31]
	v_cndmask_b32_e64 v17, v19, v13, s[30:31]
	;; [unrolled: 1-line block ×4, first 2 shown]
	s_and_saveexec_b64 s[34:35], vcc
	s_cbranch_execz .LBB153_48
; %bb.45:
	v_cmp_gt_u32_e32 vcc, s19, v26
	s_mov_b64 s[36:37], 0
	s_and_saveexec_b64 s[28:29], vcc
	s_cbranch_execz .LBB153_47
; %bb.46:
	s_mov_b32 s36, 0
	s_brev_b32 s37, 1
	v_cmp_ne_u64_e32 vcc, s[36:37], v[19:20]
	v_bfrev_b32_e32 v27, 1
	v_cndmask_b32_e32 v22, 0, v20, vcc
	v_cndmask_b32_e32 v21, 0, v19, vcc
	v_cmp_ne_u64_e32 vcc, s[36:37], v[17:18]
	v_ashrrev_i32_e32 v29, 31, v22
	v_cndmask_b32_e32 v24, 0, v18, vcc
	v_cndmask_b32_e32 v23, 0, v17, vcc
	v_cmp_lt_i64_e32 vcc, -1, v[21:22]
	v_xor_b32_e32 v21, v29, v21
	v_cndmask_b32_e32 v28, -1, v27, vcc
	v_cmp_lt_i64_e32 vcc, -1, v[23:24]
	v_xor_b32_e32 v22, v28, v22
	v_cndmask_b32_e32 v27, -1, v27, vcc
	v_ashrrev_i32_e32 v28, 31, v24
	v_xor_b32_e32 v24, v27, v24
	v_xor_b32_e32 v23, v28, v23
	v_cmp_le_u64_e32 vcc, v[21:22], v[23:24]
	s_and_b64 s[36:37], vcc, exec
.LBB153_47:
	s_or_b64 exec, exec, s[28:29]
	s_orn2_b64 s[28:29], s[36:37], exec
.LBB153_48:
	s_or_b64 exec, exec, s[34:35]
	v_mov_b32_e32 v21, s17
	v_mov_b32_e32 v22, s19
	v_cndmask_b32_e64 v38, v25, v26, s[28:29]
	v_cndmask_b32_e64 v21, v21, v22, s[28:29]
	v_add_u32_e32 v27, 1, v38
	v_add_u32_e32 v21, -1, v21
	v_min_u32_e32 v21, v27, v21
	v_lshlrev_b32_e32 v21, 3, v21
	ds_read_b64 v[23:24], v21
	v_cndmask_b32_e64 v29, v27, v25, s[28:29]
	v_cndmask_b32_e64 v30, v26, v27, s[28:29]
	v_cmp_gt_u32_e32 vcc, s17, v29
	s_mov_b64 s[34:35], -1
	s_waitcnt lgkmcnt(0)
	v_cndmask_b32_e64 v22, v24, v18, s[28:29]
	v_cndmask_b32_e64 v21, v23, v17, s[28:29]
	;; [unrolled: 1-line block ×4, first 2 shown]
	s_mov_b64 s[36:37], -1
	s_and_saveexec_b64 s[38:39], vcc
	s_cbranch_execz .LBB153_52
; %bb.49:
	v_cmp_gt_u32_e32 vcc, s19, v30
	s_mov_b64 s[40:41], 0
	s_and_saveexec_b64 s[36:37], vcc
	s_cbranch_execz .LBB153_51
; %bb.50:
	s_mov_b32 s40, 0
	s_brev_b32 s41, 1
	v_cmp_ne_u64_e32 vcc, s[40:41], v[23:24]
	v_bfrev_b32_e32 v31, 1
	v_cndmask_b32_e32 v26, 0, v24, vcc
	v_cndmask_b32_e32 v25, 0, v23, vcc
	v_cmp_ne_u64_e32 vcc, s[40:41], v[21:22]
	v_ashrrev_i32_e32 v39, 31, v26
	v_cndmask_b32_e32 v28, 0, v22, vcc
	v_cndmask_b32_e32 v27, 0, v21, vcc
	v_cmp_lt_i64_e32 vcc, -1, v[25:26]
	v_xor_b32_e32 v25, v39, v25
	v_cndmask_b32_e32 v32, -1, v31, vcc
	v_cmp_lt_i64_e32 vcc, -1, v[27:28]
	v_xor_b32_e32 v26, v32, v26
	v_cndmask_b32_e32 v31, -1, v31, vcc
	v_ashrrev_i32_e32 v32, 31, v28
	v_xor_b32_e32 v28, v31, v28
	v_xor_b32_e32 v27, v32, v27
	v_cmp_le_u64_e32 vcc, v[25:26], v[27:28]
	s_and_b64 s[40:41], vcc, exec
.LBB153_51:
	s_or_b64 exec, exec, s[36:37]
	s_orn2_b64 s[36:37], s[40:41], exec
.LBB153_52:
	s_or_b64 exec, exec, s[38:39]
	v_mov_b32_e32 v25, s17
	v_mov_b32_e32 v26, s19
	v_cndmask_b32_e64 v39, v29, v30, s[36:37]
	v_cndmask_b32_e64 v25, v25, v26, s[36:37]
	v_add_u32_e32 v31, 1, v39
	v_add_u32_e32 v25, -1, v25
	v_min_u32_e32 v25, v31, v25
	v_lshlrev_b32_e32 v25, 3, v25
	ds_read_b64 v[27:28], v25
	v_cndmask_b32_e64 v41, v31, v29, s[36:37]
	v_cndmask_b32_e64 v42, v30, v31, s[36:37]
	v_cmp_gt_u32_e32 vcc, s17, v41
	s_waitcnt lgkmcnt(0)
	v_cndmask_b32_e64 v26, v28, v22, s[36:37]
	v_cndmask_b32_e64 v25, v27, v21, s[36:37]
	;; [unrolled: 1-line block ×4, first 2 shown]
	s_and_saveexec_b64 s[38:39], vcc
	s_cbranch_execz .LBB153_56
; %bb.53:
	v_cmp_gt_u32_e32 vcc, s19, v42
	s_mov_b64 s[40:41], 0
	s_and_saveexec_b64 s[34:35], vcc
	s_cbranch_execz .LBB153_55
; %bb.54:
	s_mov_b32 s40, 0
	s_brev_b32 s41, 1
	v_cmp_ne_u64_e32 vcc, s[40:41], v[27:28]
	v_bfrev_b32_e32 v40, 1
	v_cndmask_b32_e32 v30, 0, v28, vcc
	v_cndmask_b32_e32 v29, 0, v27, vcc
	v_cmp_ne_u64_e32 vcc, s[40:41], v[25:26]
	v_ashrrev_i32_e32 v44, 31, v30
	v_cndmask_b32_e32 v32, 0, v26, vcc
	v_cndmask_b32_e32 v31, 0, v25, vcc
	v_cmp_lt_i64_e32 vcc, -1, v[29:30]
	v_xor_b32_e32 v29, v44, v29
	v_cndmask_b32_e32 v43, -1, v40, vcc
	v_cmp_lt_i64_e32 vcc, -1, v[31:32]
	v_xor_b32_e32 v30, v43, v30
	v_cndmask_b32_e32 v40, -1, v40, vcc
	v_ashrrev_i32_e32 v43, 31, v32
	v_xor_b32_e32 v32, v40, v32
	v_xor_b32_e32 v31, v43, v31
	v_cmp_le_u64_e32 vcc, v[29:30], v[31:32]
	s_and_b64 s[40:41], vcc, exec
.LBB153_55:
	s_or_b64 exec, exec, s[34:35]
	s_orn2_b64 s[34:35], s[40:41], exec
.LBB153_56:
	s_or_b64 exec, exec, s[38:39]
	v_mov_b32_e32 v29, s17
	v_mov_b32_e32 v30, s19
	v_cndmask_b32_e64 v40, v41, v42, s[34:35]
	v_cndmask_b32_e64 v29, v29, v30, s[34:35]
	v_add_u32_e32 v43, 1, v40
	v_add_u32_e32 v29, -1, v29
	v_min_u32_e32 v29, v43, v29
	v_lshlrev_b32_e32 v29, 3, v29
	ds_read_b64 v[31:32], v29
	v_cndmask_b32_e64 v41, v43, v41, s[34:35]
	v_cndmask_b32_e64 v42, v42, v43, s[34:35]
	v_cmp_gt_u32_e32 vcc, s17, v41
	s_mov_b64 s[40:41], -1
	s_waitcnt lgkmcnt(0)
	v_cndmask_b32_e64 v30, v32, v26, s[34:35]
	v_cndmask_b32_e64 v29, v31, v25, s[34:35]
	v_cndmask_b32_e64 v32, v28, v32, s[34:35]
	v_cndmask_b32_e64 v31, v27, v31, s[34:35]
	s_and_saveexec_b64 s[38:39], vcc
	s_cbranch_execz .LBB153_60
; %bb.57:
	v_cmp_gt_u32_e32 vcc, s19, v42
	s_mov_b64 s[42:43], 0
	s_and_saveexec_b64 s[40:41], vcc
	s_cbranch_execz .LBB153_59
; %bb.58:
	s_mov_b32 s42, 0
	s_brev_b32 s43, 1
	v_cmp_ne_u64_e32 vcc, s[42:43], v[31:32]
	v_bfrev_b32_e32 v47, 1
	v_cndmask_b32_e32 v44, 0, v32, vcc
	v_cndmask_b32_e32 v43, 0, v31, vcc
	v_cmp_ne_u64_e32 vcc, s[42:43], v[29:30]
	v_ashrrev_i32_e32 v49, 31, v44
	v_cndmask_b32_e32 v46, 0, v30, vcc
	v_cndmask_b32_e32 v45, 0, v29, vcc
	v_cmp_lt_i64_e32 vcc, -1, v[43:44]
	v_xor_b32_e32 v43, v49, v43
	v_cndmask_b32_e32 v48, -1, v47, vcc
	v_cmp_lt_i64_e32 vcc, -1, v[45:46]
	v_xor_b32_e32 v44, v48, v44
	v_cndmask_b32_e32 v47, -1, v47, vcc
	v_ashrrev_i32_e32 v48, 31, v46
	v_xor_b32_e32 v46, v47, v46
	v_xor_b32_e32 v45, v48, v45
	v_cmp_le_u64_e32 vcc, v[43:44], v[45:46]
	s_and_b64 s[42:43], vcc, exec
.LBB153_59:
	s_or_b64 exec, exec, s[40:41]
	s_orn2_b64 s[40:41], s[42:43], exec
.LBB153_60:
	s_or_b64 exec, exec, s[38:39]
	v_cndmask_b32_e64 v2, v4, v2, s[8:9]
	v_cndmask_b32_e64 v1, v3, v1, s[8:9]
	v_cndmask_b32_e64 v4, v6, v8, s[26:27]
	v_cndmask_b32_e64 v3, v5, v7, s[26:27]
	v_cndmask_b32_e64 v6, v10, v12, s[0:1]
	v_cndmask_b32_e64 v5, v9, v11, s[0:1]
	v_cndmask_b32_e64 v8, v14, v16, s[30:31]
	v_cndmask_b32_e64 v7, v13, v15, s[30:31]
	v_cndmask_b32_e64 v10, v18, v20, s[28:29]
	v_cndmask_b32_e64 v9, v17, v19, s[28:29]
	v_cndmask_b32_e64 v12, v22, v24, s[36:37]
	v_cndmask_b32_e64 v11, v21, v23, s[36:37]
	v_cndmask_b32_e64 v14, v26, v28, s[34:35]
	v_cndmask_b32_e64 v13, v25, v27, s[34:35]
	v_cndmask_b32_e64 v21, v41, v42, s[40:41]
	v_cndmask_b32_e64 v16, v30, v32, s[40:41]
	v_cndmask_b32_e64 v15, v29, v31, s[40:41]
.LBB153_61:
	s_or_b64 exec, exec, s[6:7]
	s_add_u32 s8, s12, s2
	s_addc_u32 s9, s13, s3
	s_add_u32 s6, s12, s4
	v_cndmask_b32_e64 v17, 0, 1, s[20:21]
	s_addc_u32 s7, s13, s5
	v_cmp_gt_u32_e64 s[4:5], s19, v0
	v_cmp_ne_u32_e64 s[0:1], 1, v17
	s_andn2_b64 vcc, exec, s[20:21]
	v_cmp_le_u32_e64 s[2:3], s19, v0
	s_barrier
	s_cbranch_vccnz .LBB153_63
; %bb.62:
	v_subrev_u32_e32 v17, s19, v0
	v_lshlrev_b32_e32 v17, 3, v17
	v_mov_b32_e32 v18, s7
	v_add_co_u32_e32 v17, vcc, s6, v17
	v_addc_co_u32_e32 v18, vcc, 0, v18, vcc
	v_mov_b32_e32 v19, s9
	v_add_co_u32_e32 v20, vcc, s8, v33
	v_addc_co_u32_e32 v19, vcc, 0, v19, vcc
	v_cndmask_b32_e64 v18, v18, v19, s[4:5]
	v_or_b32_e32 v19, 0x80, v0
	v_cndmask_b32_e64 v17, v17, v20, s[4:5]
	v_subrev_u32_e32 v20, s19, v19
	v_min_u32_e32 v20, v19, v20
	v_cmp_gt_u32_e32 vcc, s19, v19
	v_mov_b32_e32 v42, s6
	v_mov_b32_e32 v43, s8
	;; [unrolled: 1-line block ×4, first 2 shown]
	v_cndmask_b32_e32 v19, v42, v43, vcc
	v_lshlrev_b32_e32 v20, 3, v20
	v_cndmask_b32_e32 v22, v32, v41, vcc
	v_add_co_u32_e32 v19, vcc, v19, v20
	v_addc_co_u32_e32 v20, vcc, 0, v22, vcc
	v_or_b32_e32 v22, 0x100, v0
	v_subrev_u32_e32 v23, s19, v22
	v_min_u32_e32 v23, v22, v23
	v_cmp_gt_u32_e32 vcc, s19, v22
	v_cndmask_b32_e32 v22, v42, v43, vcc
	v_lshlrev_b32_e32 v23, 3, v23
	v_cndmask_b32_e32 v24, v32, v41, vcc
	v_add_co_u32_e32 v22, vcc, v22, v23
	v_addc_co_u32_e32 v23, vcc, 0, v24, vcc
	v_or_b32_e32 v24, 0x180, v0
	v_subrev_u32_e32 v25, s19, v24
	v_min_u32_e32 v25, v24, v25
	v_cmp_gt_u32_e32 vcc, s19, v24
	;; [unrolled: 9-line block ×5, first 2 shown]
	global_load_dwordx2 v[17:18], v[17:18], off
	v_cndmask_b32_e32 v30, v42, v43, vcc
	global_load_dwordx2 v[19:20], v[19:20], off
	v_lshlrev_b32_e32 v31, 3, v31
	global_load_dwordx2 v[22:23], v[22:23], off
	v_cndmask_b32_e32 v44, v32, v41, vcc
	global_load_dwordx2 v[24:25], v[24:25], off
	v_add_co_u32_e32 v30, vcc, v30, v31
	global_load_dwordx2 v[26:27], v[26:27], off
	v_addc_co_u32_e32 v31, vcc, 0, v44, vcc
	global_load_dwordx2 v[28:29], v[28:29], off
	s_nop 0
	global_load_dwordx2 v[30:31], v[30:31], off
	s_mov_b64 s[4:5], -1
	s_waitcnt vmcnt(5)
	ds_write2st64_b64 v33, v[17:18], v[19:20] offset1:2
	s_waitcnt vmcnt(3)
	ds_write2st64_b64 v33, v[22:23], v[24:25] offset0:4 offset1:6
	s_waitcnt vmcnt(1)
	ds_write2st64_b64 v33, v[26:27], v[28:29] offset0:8 offset1:10
	s_waitcnt vmcnt(0)
	ds_write_b64 v33, v[30:31] offset:6144
	v_or_b32_e32 v22, 0x380, v0
	v_subrev_u32_e32 v17, s19, v22
	v_cmp_gt_u32_e32 vcc, s19, v22
	v_min_u32_e32 v19, v22, v17
	v_cndmask_b32_e32 v18, v32, v41, vcc
	v_cndmask_b32_e32 v17, v42, v43, vcc
	s_cbranch_execz .LBB153_64
	s_branch .LBB153_95
.LBB153_63:
	s_mov_b64 s[4:5], 0
                                        ; implicit-def: $vgpr22
                                        ; implicit-def: $vgpr17_vgpr18
                                        ; implicit-def: $vgpr19
.LBB153_64:
	s_mov_b64 s[4:5], 0
                                        ; implicit-def: $vgpr17_vgpr18
	s_and_saveexec_b64 s[26:27], s[2:3]
	s_xor_b64 s[2:3], exec, s[26:27]
	s_cbranch_execnz .LBB153_134
; %bb.65:
	s_andn2_saveexec_b64 s[2:3], s[2:3]
	s_cbranch_execnz .LBB153_137
.LBB153_66:
	s_or_b64 exec, exec, s[2:3]
	s_and_saveexec_b64 s[2:3], s[4:5]
	s_cbranch_execz .LBB153_68
.LBB153_67:
	global_load_dwordx2 v[17:18], v[17:18], off
	s_waitcnt vmcnt(0)
	ds_write_b64 v33, v[17:18]
.LBB153_68:
	s_or_b64 exec, exec, s[2:3]
	v_or_b32_e32 v19, 0x80, v0
	v_mov_b32_e32 v17, s22
	v_cmp_le_u32_e32 vcc, s19, v19
	s_mov_b64 s[2:3], -1
	v_mov_b32_e32 v18, s23
	s_and_saveexec_b64 s[4:5], vcc
; %bb.69:
	v_subrev_u32_e32 v19, s19, v19
	v_cmp_gt_u32_e32 vcc, s33, v19
	v_mov_b32_e32 v17, s24
	v_mov_b32_e32 v18, s25
	s_orn2_b64 s[2:3], vcc, exec
; %bb.70:
	s_or_b64 exec, exec, s[4:5]
	s_and_saveexec_b64 s[4:5], s[2:3]
	s_cbranch_execz .LBB153_72
; %bb.71:
	v_lshlrev_b64 v[17:18], 3, v[17:18]
	v_mov_b32_e32 v20, s13
	v_add_co_u32_e32 v17, vcc, s12, v17
	v_addc_co_u32_e32 v18, vcc, v20, v18, vcc
	v_lshlrev_b32_e32 v19, 3, v19
	v_add_co_u32_e32 v17, vcc, v17, v19
	v_addc_co_u32_e32 v18, vcc, 0, v18, vcc
	global_load_dwordx2 v[17:18], v[17:18], off
	s_waitcnt vmcnt(0)
	ds_write_b64 v33, v[17:18] offset:1024
.LBB153_72:
	s_or_b64 exec, exec, s[4:5]
	v_or_b32_e32 v19, 0x100, v0
	v_mov_b32_e32 v17, s22
	v_cmp_le_u32_e32 vcc, s19, v19
	s_mov_b64 s[2:3], -1
	v_mov_b32_e32 v18, s23
	s_and_saveexec_b64 s[4:5], vcc
; %bb.73:
	v_subrev_u32_e32 v19, s19, v19
	v_cmp_gt_u32_e32 vcc, s33, v19
	v_mov_b32_e32 v17, s24
	v_mov_b32_e32 v18, s25
	s_orn2_b64 s[2:3], vcc, exec
; %bb.74:
	s_or_b64 exec, exec, s[4:5]
	s_and_saveexec_b64 s[4:5], s[2:3]
	s_cbranch_execz .LBB153_76
; %bb.75:
	v_lshlrev_b64 v[17:18], 3, v[17:18]
	v_mov_b32_e32 v20, s13
	v_add_co_u32_e32 v17, vcc, s12, v17
	v_addc_co_u32_e32 v18, vcc, v20, v18, vcc
	v_lshlrev_b32_e32 v19, 3, v19
	v_add_co_u32_e32 v17, vcc, v17, v19
	v_addc_co_u32_e32 v18, vcc, 0, v18, vcc
	global_load_dwordx2 v[17:18], v[17:18], off
	s_waitcnt vmcnt(0)
	ds_write_b64 v33, v[17:18] offset:2048
.LBB153_76:
	;; [unrolled: 29-line block ×6, first 2 shown]
	s_or_b64 exec, exec, s[4:5]
	v_or_b32_e32 v22, 0x380, v0
	v_mov_b32_e32 v18, s9
	v_cmp_le_u32_e32 vcc, s19, v22
	s_mov_b64 s[4:5], -1
	v_mov_b32_e32 v17, s8
	v_mov_b32_e32 v19, v22
	s_and_saveexec_b64 s[2:3], vcc
; %bb.93:
	v_subrev_u32_e32 v19, s19, v22
	v_cmp_gt_u32_e32 vcc, s33, v19
	v_mov_b32_e32 v18, s7
	v_mov_b32_e32 v17, s6
	s_orn2_b64 s[4:5], vcc, exec
; %bb.94:
	s_or_b64 exec, exec, s[2:3]
.LBB153_95:
	s_and_saveexec_b64 s[2:3], s[4:5]
	s_cbranch_execz .LBB153_97
; %bb.96:
	v_mov_b32_e32 v20, 0
	v_lshlrev_b64 v[19:20], 3, v[19:20]
	v_add_co_u32_e32 v17, vcc, v17, v19
	v_addc_co_u32_e32 v18, vcc, v18, v20, vcc
	global_load_dwordx2 v[17:18], v[17:18], off
	v_lshlrev_b32_e32 v19, 3, v22
	s_waitcnt vmcnt(0)
	ds_write_b64 v19, v[17:18]
.LBB153_97:
	s_or_b64 exec, exec, s[2:3]
	s_and_b64 vcc, exec, s[0:1]
	v_add_u32_e32 v17, s18, v33
	s_waitcnt lgkmcnt(0)
	s_barrier
	s_cbranch_vccnz .LBB153_99
; %bb.98:
	v_lshlrev_b32_e32 v22, 3, v34
	v_lshlrev_b32_e32 v24, 3, v35
	;; [unrolled: 1-line block ×6, first 2 shown]
	v_mov_b32_e32 v18, 0
	ds_read_b64 v[22:23], v22
	ds_read_b64 v[24:25], v24
	;; [unrolled: 1-line block ×4, first 2 shown]
	v_lshlrev_b32_e32 v45, 3, v40
	ds_read_b64 v[41:42], v30
	ds_read_b64 v[43:44], v31
	ds_read_b64 v[30:31], v45
	v_lshlrev_b64 v[19:20], 3, v[17:18]
	v_mov_b32_e32 v32, s15
	v_add_co_u32_e32 v19, vcc, s14, v19
	v_addc_co_u32_e32 v20, vcc, v32, v20, vcc
	s_mov_b64 s[0:1], -1
	s_waitcnt lgkmcnt(5)
	global_store_dwordx4 v[19:20], v[22:25], off
	s_waitcnt lgkmcnt(3)
	global_store_dwordx4 v[19:20], v[26:29], off offset:16
	s_waitcnt lgkmcnt(1)
	global_store_dwordx4 v[19:20], v[41:44], off offset:32
	s_waitcnt lgkmcnt(0)
	global_store_dwordx2 v[19:20], v[30:31], off offset:48
	s_cbranch_execz .LBB153_100
	s_branch .LBB153_117
.LBB153_99:
	s_mov_b64 s[0:1], 0
.LBB153_100:
	v_cmp_gt_u32_e32 vcc, s17, v33
	s_and_saveexec_b64 s[2:3], vcc
	s_cbranch_execz .LBB153_102
; %bb.101:
	v_lshlrev_b32_e32 v22, 3, v34
	v_mov_b32_e32 v18, 0
	ds_read_b64 v[22:23], v22
	v_lshlrev_b64 v[18:19], 3, v[17:18]
	v_mov_b32_e32 v20, s15
	v_add_co_u32_e32 v18, vcc, s14, v18
	v_addc_co_u32_e32 v19, vcc, v20, v19, vcc
	s_waitcnt lgkmcnt(0)
	global_store_dwordx2 v[18:19], v[22:23], off
.LBB153_102:
	s_or_b64 exec, exec, s[2:3]
	v_or_b32_e32 v18, 1, v33
	v_cmp_gt_u32_e32 vcc, s17, v18
	s_and_saveexec_b64 s[2:3], vcc
	s_cbranch_execz .LBB153_104
; %bb.103:
	v_lshlrev_b32_e32 v22, 3, v35
	v_mov_b32_e32 v18, 0
	ds_read_b64 v[22:23], v22
	v_lshlrev_b64 v[18:19], 3, v[17:18]
	v_mov_b32_e32 v20, s15
	v_add_co_u32_e32 v18, vcc, s14, v18
	v_addc_co_u32_e32 v19, vcc, v20, v19, vcc
	s_waitcnt lgkmcnt(0)
	global_store_dwordx2 v[18:19], v[22:23], off offset:8
.LBB153_104:
	s_or_b64 exec, exec, s[2:3]
	v_or_b32_e32 v18, 2, v33
	v_cmp_gt_u32_e32 vcc, s17, v18
	s_and_saveexec_b64 s[2:3], vcc
	s_cbranch_execz .LBB153_106
; %bb.105:
	v_lshlrev_b32_e32 v22, 3, v36
	v_mov_b32_e32 v18, 0
	ds_read_b64 v[22:23], v22
	v_lshlrev_b64 v[18:19], 3, v[17:18]
	v_mov_b32_e32 v20, s15
	v_add_co_u32_e32 v18, vcc, s14, v18
	v_addc_co_u32_e32 v19, vcc, v20, v19, vcc
	s_waitcnt lgkmcnt(0)
	global_store_dwordx2 v[18:19], v[22:23], off offset:16
.LBB153_106:
	;; [unrolled: 16-line block ×6, first 2 shown]
	s_or_b64 exec, exec, s[2:3]
	v_or_b32_e32 v18, 7, v33
	v_cmp_gt_u32_e32 vcc, s17, v18
	s_and_saveexec_b64 s[2:3], vcc
; %bb.115:
	v_mov_b32_e32 v18, 0
	s_or_b64 s[0:1], s[0:1], exec
; %bb.116:
	s_or_b64 exec, exec, s[2:3]
.LBB153_117:
	s_and_saveexec_b64 s[2:3], s[0:1]
	s_cbranch_execz .LBB153_119
; %bb.118:
	v_lshlrev_b32_e32 v19, 3, v21
	ds_read_b64 v[19:20], v19
	v_lshlrev_b64 v[17:18], 3, v[17:18]
	v_mov_b32_e32 v21, s15
	v_add_co_u32_e32 v17, vcc, s14, v17
	v_addc_co_u32_e32 v18, vcc, v21, v18, vcc
	s_waitcnt lgkmcnt(0)
	global_store_dwordx2 v[17:18], v[19:20], off offset:56
.LBB153_119:
	s_or_b64 exec, exec, s[2:3]
	v_lshrrev_b32_e32 v17, 2, v0
	v_lshlrev_b32_e32 v18, 3, v33
	v_lshl_add_u32 v18, v17, 3, v18
	s_waitcnt vmcnt(0)
	s_barrier
	s_barrier
	ds_write2_b64 v18, v[1:2], v[3:4] offset1:1
	ds_write2_b64 v18, v[5:6], v[7:8] offset0:2 offset1:3
	ds_write2_b64 v18, v[9:10], v[11:12] offset0:4 offset1:5
	;; [unrolled: 1-line block ×3, first 2 shown]
	v_and_b32_e32 v1, 24, v17
	v_or_b32_e32 v23, 0x80, v0
	v_add_u32_e32 v24, v1, v33
	v_lshrrev_b32_e32 v1, 2, v23
	v_and_b32_e32 v1, 56, v1
	v_or_b32_e32 v22, 0x100, v0
	v_add_u32_e32 v5, v1, v33
	v_lshrrev_b32_e32 v1, 2, v22
	;; [unrolled: 4-line block ×5, first 2 shown]
	v_and_b32_e32 v1, 0xb8, v1
	v_or_b32_e32 v18, 0x300, v0
	s_mov_b32 s19, 0
	v_add_u32_e32 v25, v1, v33
	v_lshrrev_b32_e32 v1, 2, v18
	s_lshl_b64 s[0:1], s[18:19], 3
	v_and_b32_e32 v1, 0xd8, v1
	v_or_b32_e32 v17, 0x380, v0
	s_add_u32 s0, s10, s0
	v_add_u32_e32 v26, v1, v33
	v_lshrrev_b32_e32 v1, 2, v17
	s_addc_u32 s1, s11, s1
	v_and_b32_e32 v1, 0xf8, v1
	v_add_u32_e32 v27, v1, v33
	v_mov_b32_e32 v2, s1
	v_add_co_u32_e32 v1, vcc, s0, v33
	v_addc_co_u32_e32 v2, vcc, 0, v2, vcc
	s_and_b64 vcc, exec, s[20:21]
	s_waitcnt lgkmcnt(0)
	s_cbranch_vccz .LBB153_121
; %bb.120:
	s_barrier
	ds_read_b64 v[9:10], v24
	ds_read_b64 v[11:12], v5 offset:1024
	ds_read_b64 v[13:14], v6 offset:2048
	;; [unrolled: 1-line block ×7, first 2 shown]
	s_waitcnt lgkmcnt(7)
	global_store_dwordx2 v[1:2], v[9:10], off
	s_waitcnt lgkmcnt(6)
	global_store_dwordx2 v[1:2], v[11:12], off offset:1024
	s_waitcnt lgkmcnt(5)
	global_store_dwordx2 v[1:2], v[13:14], off offset:2048
	;; [unrolled: 2-line block ×3, first 2 shown]
	v_add_co_u32_e32 v9, vcc, 0x1000, v1
	v_addc_co_u32_e32 v10, vcc, 0, v2, vcc
	s_waitcnt lgkmcnt(3)
	global_store_dwordx2 v[9:10], v[28:29], off
	s_waitcnt lgkmcnt(2)
	global_store_dwordx2 v[9:10], v[30:31], off offset:1024
	s_waitcnt lgkmcnt(1)
	global_store_dwordx2 v[9:10], v[32:33], off offset:2048
	s_mov_b64 s[0:1], -1
	s_cbranch_execz .LBB153_122
	s_branch .LBB153_131
.LBB153_121:
	s_mov_b64 s[0:1], 0
                                        ; implicit-def: $vgpr3_vgpr4
.LBB153_122:
	s_waitcnt vmcnt(0) lgkmcnt(0)
	s_barrier
	ds_read_b64 v[15:16], v5 offset:1024
	ds_read_b64 v[13:14], v6 offset:2048
	;; [unrolled: 1-line block ×7, first 2 shown]
	s_sub_i32 s2, s16, s18
	v_cmp_gt_u32_e32 vcc, s2, v0
	s_and_saveexec_b64 s[0:1], vcc
	s_cbranch_execnz .LBB153_138
; %bb.123:
	s_or_b64 exec, exec, s[0:1]
	v_cmp_gt_u32_e32 vcc, s2, v23
	s_and_saveexec_b64 s[0:1], vcc
	s_cbranch_execnz .LBB153_139
.LBB153_124:
	s_or_b64 exec, exec, s[0:1]
	v_cmp_gt_u32_e32 vcc, s2, v22
	s_and_saveexec_b64 s[0:1], vcc
	s_cbranch_execnz .LBB153_140
.LBB153_125:
	s_or_b64 exec, exec, s[0:1]
	v_cmp_gt_u32_e32 vcc, s2, v21
	s_and_saveexec_b64 s[0:1], vcc
	s_cbranch_execnz .LBB153_141
.LBB153_126:
	s_or_b64 exec, exec, s[0:1]
	v_cmp_gt_u32_e32 vcc, s2, v20
	s_and_saveexec_b64 s[0:1], vcc
	s_cbranch_execnz .LBB153_142
.LBB153_127:
	s_or_b64 exec, exec, s[0:1]
	v_cmp_gt_u32_e32 vcc, s2, v19
	s_and_saveexec_b64 s[0:1], vcc
	s_cbranch_execnz .LBB153_143
.LBB153_128:
	s_or_b64 exec, exec, s[0:1]
	v_cmp_gt_u32_e32 vcc, s2, v18
	s_and_saveexec_b64 s[0:1], vcc
	s_cbranch_execz .LBB153_130
.LBB153_129:
	s_waitcnt lgkmcnt(2)
	v_add_co_u32_e32 v7, vcc, 0x1000, v1
	v_addc_co_u32_e32 v8, vcc, 0, v2, vcc
	s_waitcnt lgkmcnt(1)
	global_store_dwordx2 v[7:8], v[5:6], off offset:2048
.LBB153_130:
	s_or_b64 exec, exec, s[0:1]
	v_cmp_gt_u32_e64 s[0:1], s2, v17
.LBB153_131:
	s_and_saveexec_b64 s[2:3], s[0:1]
	s_cbranch_execz .LBB153_133
; %bb.132:
	v_add_co_u32_e32 v0, vcc, 0x1000, v1
	v_addc_co_u32_e32 v1, vcc, 0, v2, vcc
	s_waitcnt lgkmcnt(0)
	global_store_dwordx2 v[0:1], v[3:4], off offset:3072
.LBB153_133:
	s_endpgm
.LBB153_134:
	v_subrev_u32_e32 v19, s19, v0
	v_cmp_gt_u32_e32 vcc, s33, v19
                                        ; implicit-def: $vgpr17_vgpr18
	s_and_saveexec_b64 s[26:27], vcc
	s_xor_b64 s[26:27], exec, s[26:27]
; %bb.135:
	v_lshlrev_b32_e32 v17, 3, v19
	v_mov_b32_e32 v18, s7
	v_add_co_u32_e32 v17, vcc, s6, v17
	s_mov_b64 s[4:5], exec
	v_addc_co_u32_e32 v18, vcc, 0, v18, vcc
; %bb.136:
	s_or_b64 exec, exec, s[26:27]
	s_and_b64 s[4:5], s[4:5], exec
	s_andn2_saveexec_b64 s[2:3], s[2:3]
	s_cbranch_execz .LBB153_66
.LBB153_137:
	v_mov_b32_e32 v18, s9
	v_add_co_u32_e32 v17, vcc, s8, v33
	v_addc_co_u32_e32 v18, vcc, 0, v18, vcc
	s_or_b64 s[4:5], s[4:5], exec
	s_or_b64 exec, exec, s[2:3]
	s_and_saveexec_b64 s[2:3], s[4:5]
	s_cbranch_execnz .LBB153_67
	s_branch .LBB153_68
.LBB153_138:
	ds_read_b64 v[24:25], v24
	s_waitcnt lgkmcnt(0)
	global_store_dwordx2 v[1:2], v[24:25], off
	s_or_b64 exec, exec, s[0:1]
	v_cmp_gt_u32_e32 vcc, s2, v23
	s_and_saveexec_b64 s[0:1], vcc
	s_cbranch_execz .LBB153_124
.LBB153_139:
	s_waitcnt lgkmcnt(6)
	global_store_dwordx2 v[1:2], v[15:16], off offset:1024
	s_or_b64 exec, exec, s[0:1]
	v_cmp_gt_u32_e32 vcc, s2, v22
	s_and_saveexec_b64 s[0:1], vcc
	s_cbranch_execz .LBB153_125
.LBB153_140:
	s_waitcnt lgkmcnt(5)
	global_store_dwordx2 v[1:2], v[13:14], off offset:2048
	s_or_b64 exec, exec, s[0:1]
	v_cmp_gt_u32_e32 vcc, s2, v21
	s_and_saveexec_b64 s[0:1], vcc
	s_cbranch_execz .LBB153_126
.LBB153_141:
	s_waitcnt lgkmcnt(4)
	global_store_dwordx2 v[1:2], v[11:12], off offset:3072
	s_or_b64 exec, exec, s[0:1]
	v_cmp_gt_u32_e32 vcc, s2, v20
	s_and_saveexec_b64 s[0:1], vcc
	s_cbranch_execz .LBB153_127
.LBB153_142:
	s_waitcnt lgkmcnt(4)
	v_add_co_u32_e32 v11, vcc, 0x1000, v1
	v_addc_co_u32_e32 v12, vcc, 0, v2, vcc
	s_waitcnt lgkmcnt(3)
	global_store_dwordx2 v[11:12], v[9:10], off
	s_or_b64 exec, exec, s[0:1]
	v_cmp_gt_u32_e32 vcc, s2, v19
	s_and_saveexec_b64 s[0:1], vcc
	s_cbranch_execz .LBB153_128
.LBB153_143:
	s_waitcnt lgkmcnt(3)
	v_add_co_u32_e32 v9, vcc, 0x1000, v1
	v_addc_co_u32_e32 v10, vcc, 0, v2, vcc
	s_waitcnt lgkmcnt(2)
	global_store_dwordx2 v[9:10], v[7:8], off offset:1024
	s_or_b64 exec, exec, s[0:1]
	v_cmp_gt_u32_e32 vcc, s2, v18
	s_and_saveexec_b64 s[0:1], vcc
	s_cbranch_execnz .LBB153_129
	s_branch .LBB153_130
	.section	.rodata,"a",@progbits
	.p2align	6, 0x0
	.amdhsa_kernel _ZN7rocprim17ROCPRIM_304000_NS6detail35device_block_merge_mergepath_kernelINS1_37wrapped_merge_sort_block_merge_configINS0_14default_configEdN2at4cuda3cub6detail10OpaqueTypeILi8EEEEEPdSC_PSA_SD_jNS1_19radix_merge_compareILb0ELb0EdNS0_19identity_decomposerEEEEEvT0_T1_T2_T3_T4_SL_jT5_PKSL_NS1_7vsmem_tE
		.amdhsa_group_segment_fixed_size 8448
		.amdhsa_private_segment_fixed_size 0
		.amdhsa_kernarg_size 320
		.amdhsa_user_sgpr_count 6
		.amdhsa_user_sgpr_private_segment_buffer 1
		.amdhsa_user_sgpr_dispatch_ptr 0
		.amdhsa_user_sgpr_queue_ptr 0
		.amdhsa_user_sgpr_kernarg_segment_ptr 1
		.amdhsa_user_sgpr_dispatch_id 0
		.amdhsa_user_sgpr_flat_scratch_init 0
		.amdhsa_user_sgpr_private_segment_size 0
		.amdhsa_uses_dynamic_stack 0
		.amdhsa_system_sgpr_private_segment_wavefront_offset 0
		.amdhsa_system_sgpr_workgroup_id_x 1
		.amdhsa_system_sgpr_workgroup_id_y 1
		.amdhsa_system_sgpr_workgroup_id_z 1
		.amdhsa_system_sgpr_workgroup_info 0
		.amdhsa_system_vgpr_workitem_id 0
		.amdhsa_next_free_vgpr 50
		.amdhsa_next_free_sgpr 98
		.amdhsa_reserve_vcc 1
		.amdhsa_reserve_flat_scratch 0
		.amdhsa_float_round_mode_32 0
		.amdhsa_float_round_mode_16_64 0
		.amdhsa_float_denorm_mode_32 3
		.amdhsa_float_denorm_mode_16_64 3
		.amdhsa_dx10_clamp 1
		.amdhsa_ieee_mode 1
		.amdhsa_fp16_overflow 0
		.amdhsa_exception_fp_ieee_invalid_op 0
		.amdhsa_exception_fp_denorm_src 0
		.amdhsa_exception_fp_ieee_div_zero 0
		.amdhsa_exception_fp_ieee_overflow 0
		.amdhsa_exception_fp_ieee_underflow 0
		.amdhsa_exception_fp_ieee_inexact 0
		.amdhsa_exception_int_div_zero 0
	.end_amdhsa_kernel
	.section	.text._ZN7rocprim17ROCPRIM_304000_NS6detail35device_block_merge_mergepath_kernelINS1_37wrapped_merge_sort_block_merge_configINS0_14default_configEdN2at4cuda3cub6detail10OpaqueTypeILi8EEEEEPdSC_PSA_SD_jNS1_19radix_merge_compareILb0ELb0EdNS0_19identity_decomposerEEEEEvT0_T1_T2_T3_T4_SL_jT5_PKSL_NS1_7vsmem_tE,"axG",@progbits,_ZN7rocprim17ROCPRIM_304000_NS6detail35device_block_merge_mergepath_kernelINS1_37wrapped_merge_sort_block_merge_configINS0_14default_configEdN2at4cuda3cub6detail10OpaqueTypeILi8EEEEEPdSC_PSA_SD_jNS1_19radix_merge_compareILb0ELb0EdNS0_19identity_decomposerEEEEEvT0_T1_T2_T3_T4_SL_jT5_PKSL_NS1_7vsmem_tE,comdat
.Lfunc_end153:
	.size	_ZN7rocprim17ROCPRIM_304000_NS6detail35device_block_merge_mergepath_kernelINS1_37wrapped_merge_sort_block_merge_configINS0_14default_configEdN2at4cuda3cub6detail10OpaqueTypeILi8EEEEEPdSC_PSA_SD_jNS1_19radix_merge_compareILb0ELb0EdNS0_19identity_decomposerEEEEEvT0_T1_T2_T3_T4_SL_jT5_PKSL_NS1_7vsmem_tE, .Lfunc_end153-_ZN7rocprim17ROCPRIM_304000_NS6detail35device_block_merge_mergepath_kernelINS1_37wrapped_merge_sort_block_merge_configINS0_14default_configEdN2at4cuda3cub6detail10OpaqueTypeILi8EEEEEPdSC_PSA_SD_jNS1_19radix_merge_compareILb0ELb0EdNS0_19identity_decomposerEEEEEvT0_T1_T2_T3_T4_SL_jT5_PKSL_NS1_7vsmem_tE
                                        ; -- End function
	.set _ZN7rocprim17ROCPRIM_304000_NS6detail35device_block_merge_mergepath_kernelINS1_37wrapped_merge_sort_block_merge_configINS0_14default_configEdN2at4cuda3cub6detail10OpaqueTypeILi8EEEEEPdSC_PSA_SD_jNS1_19radix_merge_compareILb0ELb0EdNS0_19identity_decomposerEEEEEvT0_T1_T2_T3_T4_SL_jT5_PKSL_NS1_7vsmem_tE.num_vgpr, 50
	.set _ZN7rocprim17ROCPRIM_304000_NS6detail35device_block_merge_mergepath_kernelINS1_37wrapped_merge_sort_block_merge_configINS0_14default_configEdN2at4cuda3cub6detail10OpaqueTypeILi8EEEEEPdSC_PSA_SD_jNS1_19radix_merge_compareILb0ELb0EdNS0_19identity_decomposerEEEEEvT0_T1_T2_T3_T4_SL_jT5_PKSL_NS1_7vsmem_tE.num_agpr, 0
	.set _ZN7rocprim17ROCPRIM_304000_NS6detail35device_block_merge_mergepath_kernelINS1_37wrapped_merge_sort_block_merge_configINS0_14default_configEdN2at4cuda3cub6detail10OpaqueTypeILi8EEEEEPdSC_PSA_SD_jNS1_19radix_merge_compareILb0ELb0EdNS0_19identity_decomposerEEEEEvT0_T1_T2_T3_T4_SL_jT5_PKSL_NS1_7vsmem_tE.numbered_sgpr, 44
	.set _ZN7rocprim17ROCPRIM_304000_NS6detail35device_block_merge_mergepath_kernelINS1_37wrapped_merge_sort_block_merge_configINS0_14default_configEdN2at4cuda3cub6detail10OpaqueTypeILi8EEEEEPdSC_PSA_SD_jNS1_19radix_merge_compareILb0ELb0EdNS0_19identity_decomposerEEEEEvT0_T1_T2_T3_T4_SL_jT5_PKSL_NS1_7vsmem_tE.num_named_barrier, 0
	.set _ZN7rocprim17ROCPRIM_304000_NS6detail35device_block_merge_mergepath_kernelINS1_37wrapped_merge_sort_block_merge_configINS0_14default_configEdN2at4cuda3cub6detail10OpaqueTypeILi8EEEEEPdSC_PSA_SD_jNS1_19radix_merge_compareILb0ELb0EdNS0_19identity_decomposerEEEEEvT0_T1_T2_T3_T4_SL_jT5_PKSL_NS1_7vsmem_tE.private_seg_size, 0
	.set _ZN7rocprim17ROCPRIM_304000_NS6detail35device_block_merge_mergepath_kernelINS1_37wrapped_merge_sort_block_merge_configINS0_14default_configEdN2at4cuda3cub6detail10OpaqueTypeILi8EEEEEPdSC_PSA_SD_jNS1_19radix_merge_compareILb0ELb0EdNS0_19identity_decomposerEEEEEvT0_T1_T2_T3_T4_SL_jT5_PKSL_NS1_7vsmem_tE.uses_vcc, 1
	.set _ZN7rocprim17ROCPRIM_304000_NS6detail35device_block_merge_mergepath_kernelINS1_37wrapped_merge_sort_block_merge_configINS0_14default_configEdN2at4cuda3cub6detail10OpaqueTypeILi8EEEEEPdSC_PSA_SD_jNS1_19radix_merge_compareILb0ELb0EdNS0_19identity_decomposerEEEEEvT0_T1_T2_T3_T4_SL_jT5_PKSL_NS1_7vsmem_tE.uses_flat_scratch, 0
	.set _ZN7rocprim17ROCPRIM_304000_NS6detail35device_block_merge_mergepath_kernelINS1_37wrapped_merge_sort_block_merge_configINS0_14default_configEdN2at4cuda3cub6detail10OpaqueTypeILi8EEEEEPdSC_PSA_SD_jNS1_19radix_merge_compareILb0ELb0EdNS0_19identity_decomposerEEEEEvT0_T1_T2_T3_T4_SL_jT5_PKSL_NS1_7vsmem_tE.has_dyn_sized_stack, 0
	.set _ZN7rocprim17ROCPRIM_304000_NS6detail35device_block_merge_mergepath_kernelINS1_37wrapped_merge_sort_block_merge_configINS0_14default_configEdN2at4cuda3cub6detail10OpaqueTypeILi8EEEEEPdSC_PSA_SD_jNS1_19radix_merge_compareILb0ELb0EdNS0_19identity_decomposerEEEEEvT0_T1_T2_T3_T4_SL_jT5_PKSL_NS1_7vsmem_tE.has_recursion, 0
	.set _ZN7rocprim17ROCPRIM_304000_NS6detail35device_block_merge_mergepath_kernelINS1_37wrapped_merge_sort_block_merge_configINS0_14default_configEdN2at4cuda3cub6detail10OpaqueTypeILi8EEEEEPdSC_PSA_SD_jNS1_19radix_merge_compareILb0ELb0EdNS0_19identity_decomposerEEEEEvT0_T1_T2_T3_T4_SL_jT5_PKSL_NS1_7vsmem_tE.has_indirect_call, 0
	.section	.AMDGPU.csdata,"",@progbits
; Kernel info:
; codeLenInByte = 7316
; TotalNumSgprs: 48
; NumVgprs: 50
; ScratchSize: 0
; MemoryBound: 1
; FloatMode: 240
; IeeeMode: 1
; LDSByteSize: 8448 bytes/workgroup (compile time only)
; SGPRBlocks: 12
; VGPRBlocks: 12
; NumSGPRsForWavesPerEU: 102
; NumVGPRsForWavesPerEU: 50
; Occupancy: 4
; WaveLimiterHint : 1
; COMPUTE_PGM_RSRC2:SCRATCH_EN: 0
; COMPUTE_PGM_RSRC2:USER_SGPR: 6
; COMPUTE_PGM_RSRC2:TRAP_HANDLER: 0
; COMPUTE_PGM_RSRC2:TGID_X_EN: 1
; COMPUTE_PGM_RSRC2:TGID_Y_EN: 1
; COMPUTE_PGM_RSRC2:TGID_Z_EN: 1
; COMPUTE_PGM_RSRC2:TIDIG_COMP_CNT: 0
	.section	.text._ZN7rocprim17ROCPRIM_304000_NS6detail33device_block_merge_oddeven_kernelINS1_37wrapped_merge_sort_block_merge_configINS0_14default_configEdN2at4cuda3cub6detail10OpaqueTypeILi8EEEEEPdSC_PSA_SD_jNS1_19radix_merge_compareILb0ELb0EdNS0_19identity_decomposerEEEEEvT0_T1_T2_T3_T4_SL_T5_,"axG",@progbits,_ZN7rocprim17ROCPRIM_304000_NS6detail33device_block_merge_oddeven_kernelINS1_37wrapped_merge_sort_block_merge_configINS0_14default_configEdN2at4cuda3cub6detail10OpaqueTypeILi8EEEEEPdSC_PSA_SD_jNS1_19radix_merge_compareILb0ELb0EdNS0_19identity_decomposerEEEEEvT0_T1_T2_T3_T4_SL_T5_,comdat
	.protected	_ZN7rocprim17ROCPRIM_304000_NS6detail33device_block_merge_oddeven_kernelINS1_37wrapped_merge_sort_block_merge_configINS0_14default_configEdN2at4cuda3cub6detail10OpaqueTypeILi8EEEEEPdSC_PSA_SD_jNS1_19radix_merge_compareILb0ELb0EdNS0_19identity_decomposerEEEEEvT0_T1_T2_T3_T4_SL_T5_ ; -- Begin function _ZN7rocprim17ROCPRIM_304000_NS6detail33device_block_merge_oddeven_kernelINS1_37wrapped_merge_sort_block_merge_configINS0_14default_configEdN2at4cuda3cub6detail10OpaqueTypeILi8EEEEEPdSC_PSA_SD_jNS1_19radix_merge_compareILb0ELb0EdNS0_19identity_decomposerEEEEEvT0_T1_T2_T3_T4_SL_T5_
	.globl	_ZN7rocprim17ROCPRIM_304000_NS6detail33device_block_merge_oddeven_kernelINS1_37wrapped_merge_sort_block_merge_configINS0_14default_configEdN2at4cuda3cub6detail10OpaqueTypeILi8EEEEEPdSC_PSA_SD_jNS1_19radix_merge_compareILb0ELb0EdNS0_19identity_decomposerEEEEEvT0_T1_T2_T3_T4_SL_T5_
	.p2align	8
	.type	_ZN7rocprim17ROCPRIM_304000_NS6detail33device_block_merge_oddeven_kernelINS1_37wrapped_merge_sort_block_merge_configINS0_14default_configEdN2at4cuda3cub6detail10OpaqueTypeILi8EEEEEPdSC_PSA_SD_jNS1_19radix_merge_compareILb0ELb0EdNS0_19identity_decomposerEEEEEvT0_T1_T2_T3_T4_SL_T5_,@function
_ZN7rocprim17ROCPRIM_304000_NS6detail33device_block_merge_oddeven_kernelINS1_37wrapped_merge_sort_block_merge_configINS0_14default_configEdN2at4cuda3cub6detail10OpaqueTypeILi8EEEEEPdSC_PSA_SD_jNS1_19radix_merge_compareILb0ELb0EdNS0_19identity_decomposerEEEEEvT0_T1_T2_T3_T4_SL_T5_: ; @_ZN7rocprim17ROCPRIM_304000_NS6detail33device_block_merge_oddeven_kernelINS1_37wrapped_merge_sort_block_merge_configINS0_14default_configEdN2at4cuda3cub6detail10OpaqueTypeILi8EEEEEPdSC_PSA_SD_jNS1_19radix_merge_compareILb0ELb0EdNS0_19identity_decomposerEEEEEvT0_T1_T2_T3_T4_SL_T5_
; %bb.0:
	s_load_dwordx2 s[18:19], s[4:5], 0x20
	s_waitcnt lgkmcnt(0)
	s_lshr_b32 s0, s18, 8
	s_cmp_eq_u32 s6, s0
	s_cselect_b64 s[16:17], -1, 0
	s_cmp_lg_u32 s6, s0
	s_cselect_b64 s[0:1], -1, 0
	s_lshl_b32 s20, s6, 8
	s_sub_i32 s2, s18, s20
	v_cmp_gt_u32_e64 s[2:3], s2, v0
	s_or_b64 s[0:1], s[0:1], s[2:3]
	s_and_saveexec_b64 s[8:9], s[0:1]
	s_cbranch_execz .LBB154_24
; %bb.1:
	s_load_dwordx8 s[8:15], s[4:5], 0x0
	s_mov_b32 s21, 0
	s_lshl_b64 s[0:1], s[20:21], 3
	v_lshlrev_b32_e32 v5, 3, v0
	s_waitcnt lgkmcnt(0)
	s_add_u32 s4, s8, s0
	s_addc_u32 s5, s9, s1
	s_add_u32 s0, s12, s0
	s_addc_u32 s1, s13, s1
	global_load_dwordx2 v[1:2], v5, s[0:1]
	global_load_dwordx2 v[3:4], v5, s[4:5]
	s_lshr_b32 s0, s19, 8
	s_sub_i32 s1, 0, s0
	s_and_b32 s1, s6, s1
	s_and_b32 s0, s1, s0
	s_lshl_b32 s6, s1, 8
	s_sub_i32 s7, 0, s19
	s_cmp_eq_u32 s0, 0
	s_cselect_b64 s[0:1], -1, 0
	s_and_b64 s[4:5], s[0:1], exec
	s_cselect_b32 s12, s19, s7
	s_add_i32 s12, s12, s6
	s_mov_b64 s[4:5], -1
	s_cmp_gt_u32 s18, s12
	v_add_u32_e32 v5, s20, v0
	s_cbranch_scc1 .LBB154_9
; %bb.2:
	s_and_b64 vcc, exec, s[16:17]
	s_cbranch_vccz .LBB154_6
; %bb.3:
	v_cmp_gt_u32_e32 vcc, s18, v5
	s_and_saveexec_b64 s[4:5], vcc
	s_cbranch_execz .LBB154_5
; %bb.4:
	v_mov_b32_e32 v6, 0
	v_lshlrev_b64 v[6:7], 3, v[5:6]
	v_mov_b32_e32 v0, s15
	v_add_co_u32_e32 v8, vcc, s14, v6
	v_addc_co_u32_e32 v9, vcc, v0, v7, vcc
	v_mov_b32_e32 v0, s11
	v_add_co_u32_e32 v6, vcc, s10, v6
	v_addc_co_u32_e32 v7, vcc, v0, v7, vcc
	s_waitcnt vmcnt(0)
	global_store_dwordx2 v[6:7], v[3:4], off
	global_store_dwordx2 v[8:9], v[1:2], off
.LBB154_5:
	s_or_b64 exec, exec, s[4:5]
	s_mov_b64 s[4:5], 0
.LBB154_6:
	s_andn2_b64 vcc, exec, s[4:5]
	s_cbranch_vccnz .LBB154_8
; %bb.7:
	v_mov_b32_e32 v6, 0
	v_lshlrev_b64 v[6:7], 3, v[5:6]
	v_mov_b32_e32 v0, s11
	v_add_co_u32_e32 v8, vcc, s10, v6
	v_addc_co_u32_e32 v9, vcc, v0, v7, vcc
	v_mov_b32_e32 v0, s15
	v_add_co_u32_e32 v6, vcc, s14, v6
	v_addc_co_u32_e32 v7, vcc, v0, v7, vcc
	s_waitcnt vmcnt(0)
	global_store_dwordx2 v[8:9], v[3:4], off
	global_store_dwordx2 v[6:7], v[1:2], off
.LBB154_8:
	s_mov_b64 s[4:5], 0
.LBB154_9:
	s_andn2_b64 vcc, exec, s[4:5]
	s_cbranch_vccnz .LBB154_24
; %bb.10:
	s_min_u32 s13, s12, s18
	s_add_i32 s4, s13, s19
	s_min_u32 s18, s4, s18
	s_min_u32 s4, s6, s13
	s_add_i32 s6, s6, s13
	v_subrev_u32_e32 v0, s6, v5
	v_add_u32_e32 v0, s4, v0
	s_mov_b32 s4, 0
	s_brev_b32 s5, 1
	s_waitcnt vmcnt(0)
	v_cmp_ne_u64_e32 vcc, s[4:5], v[3:4]
	v_bfrev_b32_e32 v7, 1
	v_cndmask_b32_e32 v6, 0, v4, vcc
	v_cndmask_b32_e32 v5, 0, v3, vcc
	v_cmp_lt_i64_e32 vcc, -1, v[5:6]
	v_ashrrev_i32_e32 v8, 31, v6
	v_cndmask_b32_e32 v7, -1, v7, vcc
	s_mov_b64 s[4:5], -1
	v_xor_b32_e32 v6, v7, v6
	v_xor_b32_e32 v5, v8, v5
	s_and_b64 vcc, exec, s[16:17]
	s_cbranch_vccz .LBB154_18
; %bb.11:
	s_and_saveexec_b64 s[4:5], s[2:3]
	s_cbranch_execz .LBB154_17
; %bb.12:
	s_cmp_ge_u32 s12, s18
	v_mov_b32_e32 v9, s13
	s_cbranch_scc1 .LBB154_16
; %bb.13:
	s_mov_b32 s6, 0
	s_mov_b64 s[2:3], 0
	v_mov_b32_e32 v10, s18
	v_mov_b32_e32 v9, s13
	;; [unrolled: 1-line block ×4, first 2 shown]
	s_brev_b32 s7, 1
	v_bfrev_b32_e32 v12, 1
.LBB154_14:                             ; =>This Inner Loop Header: Depth=1
	v_add_u32_e32 v7, v9, v10
	v_lshrrev_b32_e32 v7, 1, v7
	v_lshlrev_b64 v[13:14], 3, v[7:8]
	v_add_u32_e32 v15, 1, v7
	v_add_co_u32_e32 v13, vcc, s8, v13
	v_addc_co_u32_e32 v14, vcc, v11, v14, vcc
	global_load_dwordx2 v[13:14], v[13:14], off
	s_waitcnt vmcnt(0)
	v_cmp_ne_u64_e32 vcc, s[6:7], v[13:14]
	v_cndmask_b32_e32 v14, 0, v14, vcc
	v_cndmask_b32_e32 v13, 0, v13, vcc
	v_cmp_lt_i64_e32 vcc, -1, v[13:14]
	v_ashrrev_i32_e32 v16, 31, v14
	v_cndmask_b32_e32 v17, -1, v12, vcc
	v_xor_b32_e32 v13, v16, v13
	v_xor_b32_e32 v14, v17, v14
	v_cmp_gt_u64_e32 vcc, v[5:6], v[13:14]
	v_cndmask_b32_e64 v16, 0, 1, vcc
	v_cmp_le_u64_e32 vcc, v[13:14], v[5:6]
	v_cndmask_b32_e64 v13, 0, 1, vcc
	v_cndmask_b32_e64 v13, v13, v16, s[0:1]
	v_and_b32_e32 v13, 1, v13
	v_cmp_eq_u32_e32 vcc, 1, v13
	v_cndmask_b32_e32 v10, v7, v10, vcc
	v_cndmask_b32_e32 v9, v9, v15, vcc
	v_cmp_ge_u32_e32 vcc, v9, v10
	s_or_b64 s[2:3], vcc, s[2:3]
	s_andn2_b64 exec, exec, s[2:3]
	s_cbranch_execnz .LBB154_14
; %bb.15:
	s_or_b64 exec, exec, s[2:3]
.LBB154_16:
	v_add_u32_e32 v7, v9, v0
	v_mov_b32_e32 v8, 0
	v_lshlrev_b64 v[7:8], 3, v[7:8]
	v_mov_b32_e32 v10, s11
	v_add_co_u32_e32 v9, vcc, s10, v7
	v_addc_co_u32_e32 v10, vcc, v10, v8, vcc
	global_store_dwordx2 v[9:10], v[3:4], off
	v_mov_b32_e32 v9, s15
	v_add_co_u32_e32 v7, vcc, s14, v7
	v_addc_co_u32_e32 v8, vcc, v9, v8, vcc
	global_store_dwordx2 v[7:8], v[1:2], off
.LBB154_17:
	s_or_b64 exec, exec, s[4:5]
	s_mov_b64 s[4:5], 0
.LBB154_18:
	s_andn2_b64 vcc, exec, s[4:5]
	s_cbranch_vccnz .LBB154_24
; %bb.19:
	s_cmp_ge_u32 s12, s18
	v_mov_b32_e32 v9, s13
	s_cbranch_scc1 .LBB154_23
; %bb.20:
	s_mov_b32 s4, 0
	s_mov_b64 s[2:3], 0
	v_mov_b32_e32 v10, s18
	v_mov_b32_e32 v9, s13
	;; [unrolled: 1-line block ×4, first 2 shown]
	s_brev_b32 s5, 1
	v_bfrev_b32_e32 v12, 1
.LBB154_21:                             ; =>This Inner Loop Header: Depth=1
	v_add_u32_e32 v7, v9, v10
	v_lshrrev_b32_e32 v7, 1, v7
	v_lshlrev_b64 v[13:14], 3, v[7:8]
	v_add_u32_e32 v15, 1, v7
	v_add_co_u32_e32 v13, vcc, s8, v13
	v_addc_co_u32_e32 v14, vcc, v11, v14, vcc
	global_load_dwordx2 v[13:14], v[13:14], off
	s_waitcnt vmcnt(0)
	v_cmp_ne_u64_e32 vcc, s[4:5], v[13:14]
	v_cndmask_b32_e32 v14, 0, v14, vcc
	v_cndmask_b32_e32 v13, 0, v13, vcc
	v_cmp_lt_i64_e32 vcc, -1, v[13:14]
	v_ashrrev_i32_e32 v16, 31, v14
	v_cndmask_b32_e32 v17, -1, v12, vcc
	v_xor_b32_e32 v13, v16, v13
	v_xor_b32_e32 v14, v17, v14
	v_cmp_gt_u64_e32 vcc, v[5:6], v[13:14]
	v_cndmask_b32_e64 v16, 0, 1, vcc
	v_cmp_le_u64_e32 vcc, v[13:14], v[5:6]
	v_cndmask_b32_e64 v13, 0, 1, vcc
	v_cndmask_b32_e64 v13, v13, v16, s[0:1]
	v_and_b32_e32 v13, 1, v13
	v_cmp_eq_u32_e32 vcc, 1, v13
	v_cndmask_b32_e32 v10, v7, v10, vcc
	v_cndmask_b32_e32 v9, v9, v15, vcc
	v_cmp_ge_u32_e32 vcc, v9, v10
	s_or_b64 s[2:3], vcc, s[2:3]
	s_andn2_b64 exec, exec, s[2:3]
	s_cbranch_execnz .LBB154_21
; %bb.22:
	s_or_b64 exec, exec, s[2:3]
.LBB154_23:
	v_add_u32_e32 v5, v9, v0
	v_mov_b32_e32 v6, 0
	v_lshlrev_b64 v[5:6], 3, v[5:6]
	v_mov_b32_e32 v0, s11
	v_add_co_u32_e32 v7, vcc, s10, v5
	v_addc_co_u32_e32 v8, vcc, v0, v6, vcc
	global_store_dwordx2 v[7:8], v[3:4], off
	v_mov_b32_e32 v0, s15
	v_add_co_u32_e32 v3, vcc, s14, v5
	v_addc_co_u32_e32 v4, vcc, v0, v6, vcc
	global_store_dwordx2 v[3:4], v[1:2], off
.LBB154_24:
	s_endpgm
	.section	.rodata,"a",@progbits
	.p2align	6, 0x0
	.amdhsa_kernel _ZN7rocprim17ROCPRIM_304000_NS6detail33device_block_merge_oddeven_kernelINS1_37wrapped_merge_sort_block_merge_configINS0_14default_configEdN2at4cuda3cub6detail10OpaqueTypeILi8EEEEEPdSC_PSA_SD_jNS1_19radix_merge_compareILb0ELb0EdNS0_19identity_decomposerEEEEEvT0_T1_T2_T3_T4_SL_T5_
		.amdhsa_group_segment_fixed_size 0
		.amdhsa_private_segment_fixed_size 0
		.amdhsa_kernarg_size 44
		.amdhsa_user_sgpr_count 6
		.amdhsa_user_sgpr_private_segment_buffer 1
		.amdhsa_user_sgpr_dispatch_ptr 0
		.amdhsa_user_sgpr_queue_ptr 0
		.amdhsa_user_sgpr_kernarg_segment_ptr 1
		.amdhsa_user_sgpr_dispatch_id 0
		.amdhsa_user_sgpr_flat_scratch_init 0
		.amdhsa_user_sgpr_private_segment_size 0
		.amdhsa_uses_dynamic_stack 0
		.amdhsa_system_sgpr_private_segment_wavefront_offset 0
		.amdhsa_system_sgpr_workgroup_id_x 1
		.amdhsa_system_sgpr_workgroup_id_y 0
		.amdhsa_system_sgpr_workgroup_id_z 0
		.amdhsa_system_sgpr_workgroup_info 0
		.amdhsa_system_vgpr_workitem_id 0
		.amdhsa_next_free_vgpr 18
		.amdhsa_next_free_sgpr 22
		.amdhsa_reserve_vcc 1
		.amdhsa_reserve_flat_scratch 0
		.amdhsa_float_round_mode_32 0
		.amdhsa_float_round_mode_16_64 0
		.amdhsa_float_denorm_mode_32 3
		.amdhsa_float_denorm_mode_16_64 3
		.amdhsa_dx10_clamp 1
		.amdhsa_ieee_mode 1
		.amdhsa_fp16_overflow 0
		.amdhsa_exception_fp_ieee_invalid_op 0
		.amdhsa_exception_fp_denorm_src 0
		.amdhsa_exception_fp_ieee_div_zero 0
		.amdhsa_exception_fp_ieee_overflow 0
		.amdhsa_exception_fp_ieee_underflow 0
		.amdhsa_exception_fp_ieee_inexact 0
		.amdhsa_exception_int_div_zero 0
	.end_amdhsa_kernel
	.section	.text._ZN7rocprim17ROCPRIM_304000_NS6detail33device_block_merge_oddeven_kernelINS1_37wrapped_merge_sort_block_merge_configINS0_14default_configEdN2at4cuda3cub6detail10OpaqueTypeILi8EEEEEPdSC_PSA_SD_jNS1_19radix_merge_compareILb0ELb0EdNS0_19identity_decomposerEEEEEvT0_T1_T2_T3_T4_SL_T5_,"axG",@progbits,_ZN7rocprim17ROCPRIM_304000_NS6detail33device_block_merge_oddeven_kernelINS1_37wrapped_merge_sort_block_merge_configINS0_14default_configEdN2at4cuda3cub6detail10OpaqueTypeILi8EEEEEPdSC_PSA_SD_jNS1_19radix_merge_compareILb0ELb0EdNS0_19identity_decomposerEEEEEvT0_T1_T2_T3_T4_SL_T5_,comdat
.Lfunc_end154:
	.size	_ZN7rocprim17ROCPRIM_304000_NS6detail33device_block_merge_oddeven_kernelINS1_37wrapped_merge_sort_block_merge_configINS0_14default_configEdN2at4cuda3cub6detail10OpaqueTypeILi8EEEEEPdSC_PSA_SD_jNS1_19radix_merge_compareILb0ELb0EdNS0_19identity_decomposerEEEEEvT0_T1_T2_T3_T4_SL_T5_, .Lfunc_end154-_ZN7rocprim17ROCPRIM_304000_NS6detail33device_block_merge_oddeven_kernelINS1_37wrapped_merge_sort_block_merge_configINS0_14default_configEdN2at4cuda3cub6detail10OpaqueTypeILi8EEEEEPdSC_PSA_SD_jNS1_19radix_merge_compareILb0ELb0EdNS0_19identity_decomposerEEEEEvT0_T1_T2_T3_T4_SL_T5_
                                        ; -- End function
	.set _ZN7rocprim17ROCPRIM_304000_NS6detail33device_block_merge_oddeven_kernelINS1_37wrapped_merge_sort_block_merge_configINS0_14default_configEdN2at4cuda3cub6detail10OpaqueTypeILi8EEEEEPdSC_PSA_SD_jNS1_19radix_merge_compareILb0ELb0EdNS0_19identity_decomposerEEEEEvT0_T1_T2_T3_T4_SL_T5_.num_vgpr, 18
	.set _ZN7rocprim17ROCPRIM_304000_NS6detail33device_block_merge_oddeven_kernelINS1_37wrapped_merge_sort_block_merge_configINS0_14default_configEdN2at4cuda3cub6detail10OpaqueTypeILi8EEEEEPdSC_PSA_SD_jNS1_19radix_merge_compareILb0ELb0EdNS0_19identity_decomposerEEEEEvT0_T1_T2_T3_T4_SL_T5_.num_agpr, 0
	.set _ZN7rocprim17ROCPRIM_304000_NS6detail33device_block_merge_oddeven_kernelINS1_37wrapped_merge_sort_block_merge_configINS0_14default_configEdN2at4cuda3cub6detail10OpaqueTypeILi8EEEEEPdSC_PSA_SD_jNS1_19radix_merge_compareILb0ELb0EdNS0_19identity_decomposerEEEEEvT0_T1_T2_T3_T4_SL_T5_.numbered_sgpr, 22
	.set _ZN7rocprim17ROCPRIM_304000_NS6detail33device_block_merge_oddeven_kernelINS1_37wrapped_merge_sort_block_merge_configINS0_14default_configEdN2at4cuda3cub6detail10OpaqueTypeILi8EEEEEPdSC_PSA_SD_jNS1_19radix_merge_compareILb0ELb0EdNS0_19identity_decomposerEEEEEvT0_T1_T2_T3_T4_SL_T5_.num_named_barrier, 0
	.set _ZN7rocprim17ROCPRIM_304000_NS6detail33device_block_merge_oddeven_kernelINS1_37wrapped_merge_sort_block_merge_configINS0_14default_configEdN2at4cuda3cub6detail10OpaqueTypeILi8EEEEEPdSC_PSA_SD_jNS1_19radix_merge_compareILb0ELb0EdNS0_19identity_decomposerEEEEEvT0_T1_T2_T3_T4_SL_T5_.private_seg_size, 0
	.set _ZN7rocprim17ROCPRIM_304000_NS6detail33device_block_merge_oddeven_kernelINS1_37wrapped_merge_sort_block_merge_configINS0_14default_configEdN2at4cuda3cub6detail10OpaqueTypeILi8EEEEEPdSC_PSA_SD_jNS1_19radix_merge_compareILb0ELb0EdNS0_19identity_decomposerEEEEEvT0_T1_T2_T3_T4_SL_T5_.uses_vcc, 1
	.set _ZN7rocprim17ROCPRIM_304000_NS6detail33device_block_merge_oddeven_kernelINS1_37wrapped_merge_sort_block_merge_configINS0_14default_configEdN2at4cuda3cub6detail10OpaqueTypeILi8EEEEEPdSC_PSA_SD_jNS1_19radix_merge_compareILb0ELb0EdNS0_19identity_decomposerEEEEEvT0_T1_T2_T3_T4_SL_T5_.uses_flat_scratch, 0
	.set _ZN7rocprim17ROCPRIM_304000_NS6detail33device_block_merge_oddeven_kernelINS1_37wrapped_merge_sort_block_merge_configINS0_14default_configEdN2at4cuda3cub6detail10OpaqueTypeILi8EEEEEPdSC_PSA_SD_jNS1_19radix_merge_compareILb0ELb0EdNS0_19identity_decomposerEEEEEvT0_T1_T2_T3_T4_SL_T5_.has_dyn_sized_stack, 0
	.set _ZN7rocprim17ROCPRIM_304000_NS6detail33device_block_merge_oddeven_kernelINS1_37wrapped_merge_sort_block_merge_configINS0_14default_configEdN2at4cuda3cub6detail10OpaqueTypeILi8EEEEEPdSC_PSA_SD_jNS1_19radix_merge_compareILb0ELb0EdNS0_19identity_decomposerEEEEEvT0_T1_T2_T3_T4_SL_T5_.has_recursion, 0
	.set _ZN7rocprim17ROCPRIM_304000_NS6detail33device_block_merge_oddeven_kernelINS1_37wrapped_merge_sort_block_merge_configINS0_14default_configEdN2at4cuda3cub6detail10OpaqueTypeILi8EEEEEPdSC_PSA_SD_jNS1_19radix_merge_compareILb0ELb0EdNS0_19identity_decomposerEEEEEvT0_T1_T2_T3_T4_SL_T5_.has_indirect_call, 0
	.section	.AMDGPU.csdata,"",@progbits
; Kernel info:
; codeLenInByte = 932
; TotalNumSgprs: 26
; NumVgprs: 18
; ScratchSize: 0
; MemoryBound: 0
; FloatMode: 240
; IeeeMode: 1
; LDSByteSize: 0 bytes/workgroup (compile time only)
; SGPRBlocks: 3
; VGPRBlocks: 4
; NumSGPRsForWavesPerEU: 26
; NumVGPRsForWavesPerEU: 18
; Occupancy: 10
; WaveLimiterHint : 0
; COMPUTE_PGM_RSRC2:SCRATCH_EN: 0
; COMPUTE_PGM_RSRC2:USER_SGPR: 6
; COMPUTE_PGM_RSRC2:TRAP_HANDLER: 0
; COMPUTE_PGM_RSRC2:TGID_X_EN: 1
; COMPUTE_PGM_RSRC2:TGID_Y_EN: 0
; COMPUTE_PGM_RSRC2:TGID_Z_EN: 0
; COMPUTE_PGM_RSRC2:TIDIG_COMP_CNT: 0
	.section	.text._ZN7rocprim17ROCPRIM_304000_NS6detail26onesweep_histograms_kernelINS1_34wrapped_radix_sort_onesweep_configINS0_14default_configEdN2at4cuda3cub6detail10OpaqueTypeILi8EEEEELb0EPKdmNS0_19identity_decomposerEEEvT1_PT2_SG_SG_T3_jj,"axG",@progbits,_ZN7rocprim17ROCPRIM_304000_NS6detail26onesweep_histograms_kernelINS1_34wrapped_radix_sort_onesweep_configINS0_14default_configEdN2at4cuda3cub6detail10OpaqueTypeILi8EEEEELb0EPKdmNS0_19identity_decomposerEEEvT1_PT2_SG_SG_T3_jj,comdat
	.protected	_ZN7rocprim17ROCPRIM_304000_NS6detail26onesweep_histograms_kernelINS1_34wrapped_radix_sort_onesweep_configINS0_14default_configEdN2at4cuda3cub6detail10OpaqueTypeILi8EEEEELb0EPKdmNS0_19identity_decomposerEEEvT1_PT2_SG_SG_T3_jj ; -- Begin function _ZN7rocprim17ROCPRIM_304000_NS6detail26onesweep_histograms_kernelINS1_34wrapped_radix_sort_onesweep_configINS0_14default_configEdN2at4cuda3cub6detail10OpaqueTypeILi8EEEEELb0EPKdmNS0_19identity_decomposerEEEvT1_PT2_SG_SG_T3_jj
	.globl	_ZN7rocprim17ROCPRIM_304000_NS6detail26onesweep_histograms_kernelINS1_34wrapped_radix_sort_onesweep_configINS0_14default_configEdN2at4cuda3cub6detail10OpaqueTypeILi8EEEEELb0EPKdmNS0_19identity_decomposerEEEvT1_PT2_SG_SG_T3_jj
	.p2align	8
	.type	_ZN7rocprim17ROCPRIM_304000_NS6detail26onesweep_histograms_kernelINS1_34wrapped_radix_sort_onesweep_configINS0_14default_configEdN2at4cuda3cub6detail10OpaqueTypeILi8EEEEELb0EPKdmNS0_19identity_decomposerEEEvT1_PT2_SG_SG_T3_jj,@function
_ZN7rocprim17ROCPRIM_304000_NS6detail26onesweep_histograms_kernelINS1_34wrapped_radix_sort_onesweep_configINS0_14default_configEdN2at4cuda3cub6detail10OpaqueTypeILi8EEEEELb0EPKdmNS0_19identity_decomposerEEEvT1_PT2_SG_SG_T3_jj: ; @_ZN7rocprim17ROCPRIM_304000_NS6detail26onesweep_histograms_kernelINS1_34wrapped_radix_sort_onesweep_configINS0_14default_configEdN2at4cuda3cub6detail10OpaqueTypeILi8EEEEELb0EPKdmNS0_19identity_decomposerEEEvT1_PT2_SG_SG_T3_jj
; %bb.0:
	s_load_dwordx8 s[24:31], s[4:5], 0x0
	s_load_dwordx2 s[34:35], s[4:5], 0x24
	v_mov_b32_e32 v1, s6
	v_mov_b32_e32 v2, 0
	s_mul_hi_u32 s0, s6, 0x6000
	s_waitcnt lgkmcnt(0)
	v_cmp_le_u64_e32 vcc, s[30:31], v[1:2]
	s_mulk_i32 s6, 0x6000
	s_add_u32 s24, s24, s6
	s_addc_u32 s25, s25, s0
	s_mov_b64 s[0:1], -1
	v_lshlrev_b32_e32 v27, 3, v0
	s_cbranch_vccz .LBB155_82
; %bb.1:
	s_mul_i32 s0, s30, 0xfffff400
	s_add_i32 s28, s0, s28
	v_mov_b32_e32 v1, s25
	v_add_co_u32_e32 v25, vcc, s24, v27
	v_addc_co_u32_e32 v26, vcc, 0, v1, vcc
	v_cmp_gt_u32_e64 s[22:23], s28, v0
                                        ; implicit-def: $vgpr23_vgpr24
	s_and_saveexec_b64 s[0:1], s[22:23]
	s_cbranch_execz .LBB155_3
; %bb.2:
	global_load_dwordx2 v[23:24], v[25:26], off
.LBB155_3:
	s_or_b64 exec, exec, s[0:1]
	v_or_b32_e32 v1, 0x100, v0
	v_cmp_gt_u32_e64 s[20:21], s28, v1
                                        ; implicit-def: $vgpr21_vgpr22
	s_and_saveexec_b64 s[0:1], s[20:21]
	s_cbranch_execz .LBB155_5
; %bb.4:
	global_load_dwordx2 v[21:22], v[25:26], off offset:2048
.LBB155_5:
	s_or_b64 exec, exec, s[0:1]
	v_or_b32_e32 v1, 0x200, v0
	v_cmp_gt_u32_e64 s[18:19], s28, v1
                                        ; implicit-def: $vgpr19_vgpr20
	s_and_saveexec_b64 s[0:1], s[18:19]
	s_cbranch_execz .LBB155_7
; %bb.6:
	v_add_co_u32_e32 v1, vcc, 0x1000, v25
	v_addc_co_u32_e32 v2, vcc, 0, v26, vcc
	global_load_dwordx2 v[19:20], v[1:2], off
.LBB155_7:
	s_or_b64 exec, exec, s[0:1]
	v_or_b32_e32 v1, 0x300, v0
	v_cmp_gt_u32_e64 s[16:17], s28, v1
                                        ; implicit-def: $vgpr17_vgpr18
	s_and_saveexec_b64 s[0:1], s[16:17]
	s_cbranch_execz .LBB155_9
; %bb.8:
	v_add_co_u32_e32 v1, vcc, 0x1000, v25
	v_addc_co_u32_e32 v2, vcc, 0, v26, vcc
	global_load_dwordx2 v[17:18], v[1:2], off offset:2048
.LBB155_9:
	s_or_b64 exec, exec, s[0:1]
	v_or_b32_e32 v1, 0x400, v0
	v_cmp_gt_u32_e64 s[14:15], s28, v1
                                        ; implicit-def: $vgpr15_vgpr16
	s_and_saveexec_b64 s[0:1], s[14:15]
	s_cbranch_execz .LBB155_11
; %bb.10:
	v_add_co_u32_e32 v1, vcc, 0x2000, v25
	v_addc_co_u32_e32 v2, vcc, 0, v26, vcc
	global_load_dwordx2 v[15:16], v[1:2], off
.LBB155_11:
	s_or_b64 exec, exec, s[0:1]
	v_or_b32_e32 v1, 0x500, v0
	v_cmp_gt_u32_e64 s[12:13], s28, v1
                                        ; implicit-def: $vgpr13_vgpr14
	s_and_saveexec_b64 s[0:1], s[12:13]
	s_cbranch_execz .LBB155_13
; %bb.12:
	v_add_co_u32_e32 v1, vcc, 0x2000, v25
	v_addc_co_u32_e32 v2, vcc, 0, v26, vcc
	global_load_dwordx2 v[13:14], v[1:2], off offset:2048
.LBB155_13:
	s_or_b64 exec, exec, s[0:1]
	v_or_b32_e32 v1, 0x600, v0
	v_cmp_gt_u32_e64 s[10:11], s28, v1
                                        ; implicit-def: $vgpr11_vgpr12
	s_and_saveexec_b64 s[0:1], s[10:11]
	s_cbranch_execz .LBB155_15
; %bb.14:
	v_add_co_u32_e32 v1, vcc, 0x3000, v25
	v_addc_co_u32_e32 v2, vcc, 0, v26, vcc
	global_load_dwordx2 v[11:12], v[1:2], off
.LBB155_15:
	s_or_b64 exec, exec, s[0:1]
	v_or_b32_e32 v1, 0x700, v0
	v_cmp_gt_u32_e64 s[8:9], s28, v1
                                        ; implicit-def: $vgpr9_vgpr10
	s_and_saveexec_b64 s[0:1], s[8:9]
	s_cbranch_execz .LBB155_17
; %bb.16:
	v_add_co_u32_e32 v1, vcc, 0x3000, v25
	v_addc_co_u32_e32 v2, vcc, 0, v26, vcc
	global_load_dwordx2 v[9:10], v[1:2], off offset:2048
.LBB155_17:
	s_or_b64 exec, exec, s[0:1]
	v_or_b32_e32 v1, 0x800, v0
	v_cmp_gt_u32_e64 s[6:7], s28, v1
                                        ; implicit-def: $vgpr7_vgpr8
	s_and_saveexec_b64 s[0:1], s[6:7]
	s_cbranch_execz .LBB155_19
; %bb.18:
	v_add_co_u32_e32 v1, vcc, 0x4000, v25
	v_addc_co_u32_e32 v2, vcc, 0, v26, vcc
	global_load_dwordx2 v[7:8], v[1:2], off
.LBB155_19:
	s_or_b64 exec, exec, s[0:1]
	v_or_b32_e32 v1, 0x900, v0
	v_cmp_gt_u32_e64 s[4:5], s28, v1
                                        ; implicit-def: $vgpr5_vgpr6
	s_and_saveexec_b64 s[0:1], s[4:5]
	s_cbranch_execz .LBB155_21
; %bb.20:
	v_add_co_u32_e32 v1, vcc, 0x4000, v25
	v_addc_co_u32_e32 v2, vcc, 0, v26, vcc
	global_load_dwordx2 v[5:6], v[1:2], off offset:2048
.LBB155_21:
	s_or_b64 exec, exec, s[0:1]
	v_or_b32_e32 v1, 0xa00, v0
	v_cmp_gt_u32_e64 s[2:3], s28, v1
                                        ; implicit-def: $vgpr3_vgpr4
	s_and_saveexec_b64 s[0:1], s[2:3]
	s_cbranch_execz .LBB155_23
; %bb.22:
	v_add_co_u32_e32 v1, vcc, 0x5000, v25
	v_addc_co_u32_e32 v2, vcc, 0, v26, vcc
	global_load_dwordx2 v[3:4], v[1:2], off
.LBB155_23:
	s_or_b64 exec, exec, s[0:1]
	v_or_b32_e32 v1, 0xb00, v0
	v_cmp_gt_u32_e64 s[0:1], s28, v1
                                        ; implicit-def: $vgpr1_vgpr2
	s_and_saveexec_b64 s[28:29], s[0:1]
	s_cbranch_execz .LBB155_25
; %bb.24:
	v_add_co_u32_e32 v1, vcc, 0x5000, v25
	v_addc_co_u32_e32 v2, vcc, 0, v26, vcc
	global_load_dwordx2 v[1:2], v[1:2], off offset:2048
.LBB155_25:
	s_or_b64 exec, exec, s[28:29]
	v_or_b32_e32 v25, 0xffffff00, v0
	v_lshlrev_b32_e32 v26, 2, v0
	s_mov_b64 s[28:29], 0
	v_mov_b32_e32 v28, 0
	s_movk_i32 s30, 0x1eff
.LBB155_26:                             ; =>This Inner Loop Header: Depth=1
	v_add_u32_e32 v25, 0x100, v25
	v_cmp_lt_u32_e32 vcc, s30, v25
	ds_write_b32 v26, v28
	s_or_b64 s[28:29], vcc, s[28:29]
	v_add_u32_e32 v26, 0x400, v26
	s_andn2_b64 exec, exec, s[28:29]
	s_cbranch_execnz .LBB155_26
; %bb.27:
	s_or_b64 exec, exec, s[28:29]
	s_cmp_gt_u32 s35, s34
	s_cselect_b64 s[28:29], -1, 0
	s_cmp_le_u32 s35, s34
	s_waitcnt vmcnt(0) lgkmcnt(0)
	s_barrier
	s_cbranch_scc1 .LBB155_76
; %bb.28:
	v_cmp_lt_i64_e32 vcc, -1, v[23:24]
	v_bfrev_b32_e32 v26, 1
	s_mov_b32 s30, -1
	v_cndmask_b32_e32 v28, -1, v26, vcc
	v_ashrrev_i32_e32 v29, 31, v24
	s_brev_b32 s31, -2
	v_xor_b32_e32 v24, v28, v24
	v_xor_b32_e32 v23, v29, v23
	v_and_b32_e32 v25, 3, v0
	v_cmp_ne_u64_e32 vcc, s[30:31], v[23:24]
	v_lshlrev_b32_e32 v25, 2, v25
	s_sub_i32 s33, s35, s34
	v_cndmask_b32_e32 v24, v26, v24, vcc
	v_cndmask_b32_e32 v23, 0, v23, vcc
	v_mov_b32_e32 v26, 1
	s_mov_b32 s36, s33
	v_mov_b32_e32 v28, v25
	s_mov_b32 s37, s34
	s_branch .LBB155_30
.LBB155_29:                             ;   in Loop: Header=BB155_30 Depth=1
	s_or_b64 exec, exec, s[30:31]
	s_add_i32 s37, s37, 8
	s_add_i32 s36, s36, -8
	s_cmp_ge_u32 s37, s35
	v_add_u32_e32 v28, 0x1000, v28
	s_cbranch_scc1 .LBB155_32
.LBB155_30:                             ; =>This Inner Loop Header: Depth=1
	s_and_saveexec_b64 s[30:31], s[22:23]
	s_cbranch_execz .LBB155_29
; %bb.31:                               ;   in Loop: Header=BB155_30 Depth=1
	v_lshrrev_b64 v[29:30], s37, v[23:24]
	s_min_u32 s38, s36, 8
	v_bfe_u32 v29, v29, 0, s38
	v_lshl_add_u32 v29, v29, 4, v28
	ds_add_u32 v29, v26
	s_branch .LBB155_29
.LBB155_32:
	v_cmp_lt_i64_e32 vcc, -1, v[21:22]
	v_bfrev_b32_e32 v23, 1
	s_mov_b32 s22, -1
	v_cndmask_b32_e32 v24, -1, v23, vcc
	v_ashrrev_i32_e32 v26, 31, v22
	s_brev_b32 s23, -2
	v_xor_b32_e32 v22, v24, v22
	v_xor_b32_e32 v21, v26, v21
	v_cmp_ne_u64_e32 vcc, s[22:23], v[21:22]
	s_mov_b32 s30, s33
	v_cndmask_b32_e32 v22, v23, v22, vcc
	v_cndmask_b32_e32 v21, 0, v21, vcc
	v_mov_b32_e32 v23, 1
	v_mov_b32_e32 v24, v25
	s_mov_b32 s31, s34
	s_branch .LBB155_34
.LBB155_33:                             ;   in Loop: Header=BB155_34 Depth=1
	s_or_b64 exec, exec, s[22:23]
	s_add_i32 s31, s31, 8
	s_add_i32 s30, s30, -8
	s_cmp_lt_u32 s31, s35
	v_add_u32_e32 v24, 0x1000, v24
	s_cbranch_scc0 .LBB155_36
.LBB155_34:                             ; =>This Inner Loop Header: Depth=1
	s_and_saveexec_b64 s[22:23], s[20:21]
	s_cbranch_execz .LBB155_33
; %bb.35:                               ;   in Loop: Header=BB155_34 Depth=1
	v_lshrrev_b64 v[28:29], s31, v[21:22]
	s_min_u32 s36, s30, 8
	v_bfe_u32 v26, v28, 0, s36
	v_lshl_add_u32 v26, v26, 4, v24
	ds_add_u32 v26, v23
	s_branch .LBB155_33
.LBB155_36:
	v_cmp_lt_i64_e32 vcc, -1, v[19:20]
	v_bfrev_b32_e32 v21, 1
	s_mov_b32 s20, -1
	v_cndmask_b32_e32 v22, -1, v21, vcc
	v_ashrrev_i32_e32 v23, 31, v20
	s_brev_b32 s21, -2
	v_xor_b32_e32 v20, v22, v20
	v_xor_b32_e32 v19, v23, v19
	v_cmp_ne_u64_e32 vcc, s[20:21], v[19:20]
	s_mov_b32 s22, s33
	v_cndmask_b32_e32 v20, v21, v20, vcc
	v_cndmask_b32_e32 v19, 0, v19, vcc
	v_mov_b32_e32 v21, 1
	v_mov_b32_e32 v22, v25
	s_mov_b32 s23, s34
	s_branch .LBB155_38
.LBB155_37:                             ;   in Loop: Header=BB155_38 Depth=1
	s_or_b64 exec, exec, s[20:21]
	s_add_i32 s23, s23, 8
	s_add_i32 s22, s22, -8
	s_cmp_lt_u32 s23, s35
	v_add_u32_e32 v22, 0x1000, v22
	s_cbranch_scc0 .LBB155_40
.LBB155_38:                             ; =>This Inner Loop Header: Depth=1
	s_and_saveexec_b64 s[20:21], s[18:19]
	s_cbranch_execz .LBB155_37
; %bb.39:                               ;   in Loop: Header=BB155_38 Depth=1
	v_lshrrev_b64 v[23:24], s23, v[19:20]
	s_min_u32 s30, s22, 8
	v_bfe_u32 v23, v23, 0, s30
	v_lshl_add_u32 v23, v23, 4, v22
	ds_add_u32 v23, v21
	s_branch .LBB155_37
.LBB155_40:
	v_cmp_lt_i64_e32 vcc, -1, v[17:18]
	v_bfrev_b32_e32 v19, 1
	s_mov_b32 s18, -1
	v_cndmask_b32_e32 v20, -1, v19, vcc
	v_ashrrev_i32_e32 v21, 31, v18
	s_brev_b32 s19, -2
	v_xor_b32_e32 v18, v20, v18
	v_xor_b32_e32 v17, v21, v17
	v_cmp_ne_u64_e32 vcc, s[18:19], v[17:18]
	s_mov_b32 s20, s33
	v_cndmask_b32_e32 v18, v19, v18, vcc
	v_cndmask_b32_e32 v17, 0, v17, vcc
	v_mov_b32_e32 v19, 1
	v_mov_b32_e32 v20, v25
	s_mov_b32 s21, s34
	s_branch .LBB155_42
.LBB155_41:                             ;   in Loop: Header=BB155_42 Depth=1
	s_or_b64 exec, exec, s[18:19]
	s_add_i32 s21, s21, 8
	s_add_i32 s20, s20, -8
	s_cmp_lt_u32 s21, s35
	v_add_u32_e32 v20, 0x1000, v20
	s_cbranch_scc0 .LBB155_44
.LBB155_42:                             ; =>This Inner Loop Header: Depth=1
	s_and_saveexec_b64 s[18:19], s[16:17]
	s_cbranch_execz .LBB155_41
; %bb.43:                               ;   in Loop: Header=BB155_42 Depth=1
	v_lshrrev_b64 v[21:22], s21, v[17:18]
	s_min_u32 s22, s20, 8
	v_bfe_u32 v21, v21, 0, s22
	v_lshl_add_u32 v21, v21, 4, v20
	ds_add_u32 v21, v19
	s_branch .LBB155_41
.LBB155_44:
	v_cmp_lt_i64_e32 vcc, -1, v[15:16]
	v_bfrev_b32_e32 v17, 1
	s_mov_b32 s16, -1
	v_cndmask_b32_e32 v18, -1, v17, vcc
	v_ashrrev_i32_e32 v19, 31, v16
	s_brev_b32 s17, -2
	v_xor_b32_e32 v16, v18, v16
	v_xor_b32_e32 v15, v19, v15
	v_cmp_ne_u64_e32 vcc, s[16:17], v[15:16]
	s_mov_b32 s18, s33
	v_cndmask_b32_e32 v16, v17, v16, vcc
	v_cndmask_b32_e32 v15, 0, v15, vcc
	v_mov_b32_e32 v17, 1
	v_mov_b32_e32 v18, v25
	s_mov_b32 s19, s34
	s_branch .LBB155_46
.LBB155_45:                             ;   in Loop: Header=BB155_46 Depth=1
	s_or_b64 exec, exec, s[16:17]
	s_add_i32 s19, s19, 8
	s_add_i32 s18, s18, -8
	s_cmp_lt_u32 s19, s35
	v_add_u32_e32 v18, 0x1000, v18
	s_cbranch_scc0 .LBB155_48
.LBB155_46:                             ; =>This Inner Loop Header: Depth=1
	s_and_saveexec_b64 s[16:17], s[14:15]
	s_cbranch_execz .LBB155_45
; %bb.47:                               ;   in Loop: Header=BB155_46 Depth=1
	v_lshrrev_b64 v[19:20], s19, v[15:16]
	s_min_u32 s20, s18, 8
	v_bfe_u32 v19, v19, 0, s20
	v_lshl_add_u32 v19, v19, 4, v18
	ds_add_u32 v19, v17
	s_branch .LBB155_45
.LBB155_48:
	v_cmp_lt_i64_e32 vcc, -1, v[13:14]
	v_bfrev_b32_e32 v15, 1
	s_mov_b32 s14, -1
	v_cndmask_b32_e32 v16, -1, v15, vcc
	v_ashrrev_i32_e32 v17, 31, v14
	s_brev_b32 s15, -2
	v_xor_b32_e32 v14, v16, v14
	v_xor_b32_e32 v13, v17, v13
	v_cmp_ne_u64_e32 vcc, s[14:15], v[13:14]
	s_mov_b32 s16, s33
	v_cndmask_b32_e32 v14, v15, v14, vcc
	v_cndmask_b32_e32 v13, 0, v13, vcc
	v_mov_b32_e32 v15, 1
	v_mov_b32_e32 v16, v25
	s_mov_b32 s17, s34
	s_branch .LBB155_50
.LBB155_49:                             ;   in Loop: Header=BB155_50 Depth=1
	s_or_b64 exec, exec, s[14:15]
	s_add_i32 s17, s17, 8
	s_add_i32 s16, s16, -8
	s_cmp_lt_u32 s17, s35
	v_add_u32_e32 v16, 0x1000, v16
	s_cbranch_scc0 .LBB155_52
.LBB155_50:                             ; =>This Inner Loop Header: Depth=1
	s_and_saveexec_b64 s[14:15], s[12:13]
	s_cbranch_execz .LBB155_49
; %bb.51:                               ;   in Loop: Header=BB155_50 Depth=1
	v_lshrrev_b64 v[17:18], s17, v[13:14]
	s_min_u32 s18, s16, 8
	v_bfe_u32 v17, v17, 0, s18
	v_lshl_add_u32 v17, v17, 4, v16
	ds_add_u32 v17, v15
	s_branch .LBB155_49
.LBB155_52:
	v_cmp_lt_i64_e32 vcc, -1, v[11:12]
	v_bfrev_b32_e32 v13, 1
	s_mov_b32 s12, -1
	v_cndmask_b32_e32 v14, -1, v13, vcc
	v_ashrrev_i32_e32 v15, 31, v12
	s_brev_b32 s13, -2
	v_xor_b32_e32 v12, v14, v12
	v_xor_b32_e32 v11, v15, v11
	v_cmp_ne_u64_e32 vcc, s[12:13], v[11:12]
	s_mov_b32 s14, s33
	v_cndmask_b32_e32 v12, v13, v12, vcc
	v_cndmask_b32_e32 v11, 0, v11, vcc
	v_mov_b32_e32 v13, 1
	v_mov_b32_e32 v14, v25
	s_mov_b32 s15, s34
	s_branch .LBB155_54
.LBB155_53:                             ;   in Loop: Header=BB155_54 Depth=1
	s_or_b64 exec, exec, s[12:13]
	s_add_i32 s15, s15, 8
	s_add_i32 s14, s14, -8
	s_cmp_lt_u32 s15, s35
	v_add_u32_e32 v14, 0x1000, v14
	s_cbranch_scc0 .LBB155_56
.LBB155_54:                             ; =>This Inner Loop Header: Depth=1
	s_and_saveexec_b64 s[12:13], s[10:11]
	s_cbranch_execz .LBB155_53
; %bb.55:                               ;   in Loop: Header=BB155_54 Depth=1
	v_lshrrev_b64 v[15:16], s15, v[11:12]
	s_min_u32 s16, s14, 8
	v_bfe_u32 v15, v15, 0, s16
	v_lshl_add_u32 v15, v15, 4, v14
	ds_add_u32 v15, v13
	s_branch .LBB155_53
.LBB155_56:
	v_cmp_lt_i64_e32 vcc, -1, v[9:10]
	v_bfrev_b32_e32 v11, 1
	s_mov_b32 s10, -1
	v_cndmask_b32_e32 v12, -1, v11, vcc
	v_ashrrev_i32_e32 v13, 31, v10
	s_brev_b32 s11, -2
	v_xor_b32_e32 v10, v12, v10
	v_xor_b32_e32 v9, v13, v9
	v_cmp_ne_u64_e32 vcc, s[10:11], v[9:10]
	s_mov_b32 s12, s33
	v_cndmask_b32_e32 v10, v11, v10, vcc
	v_cndmask_b32_e32 v9, 0, v9, vcc
	v_mov_b32_e32 v11, 1
	v_mov_b32_e32 v12, v25
	s_mov_b32 s13, s34
	s_branch .LBB155_58
.LBB155_57:                             ;   in Loop: Header=BB155_58 Depth=1
	s_or_b64 exec, exec, s[10:11]
	s_add_i32 s13, s13, 8
	s_add_i32 s12, s12, -8
	s_cmp_lt_u32 s13, s35
	v_add_u32_e32 v12, 0x1000, v12
	s_cbranch_scc0 .LBB155_60
.LBB155_58:                             ; =>This Inner Loop Header: Depth=1
	s_and_saveexec_b64 s[10:11], s[8:9]
	s_cbranch_execz .LBB155_57
; %bb.59:                               ;   in Loop: Header=BB155_58 Depth=1
	v_lshrrev_b64 v[13:14], s13, v[9:10]
	s_min_u32 s14, s12, 8
	v_bfe_u32 v13, v13, 0, s14
	v_lshl_add_u32 v13, v13, 4, v12
	ds_add_u32 v13, v11
	s_branch .LBB155_57
.LBB155_60:
	v_cmp_lt_i64_e32 vcc, -1, v[7:8]
	v_bfrev_b32_e32 v9, 1
	s_mov_b32 s8, -1
	v_cndmask_b32_e32 v10, -1, v9, vcc
	v_ashrrev_i32_e32 v11, 31, v8
	s_brev_b32 s9, -2
	v_xor_b32_e32 v8, v10, v8
	v_xor_b32_e32 v7, v11, v7
	v_cmp_ne_u64_e32 vcc, s[8:9], v[7:8]
	s_mov_b32 s10, s33
	v_cndmask_b32_e32 v8, v9, v8, vcc
	v_cndmask_b32_e32 v7, 0, v7, vcc
	v_mov_b32_e32 v9, 1
	v_mov_b32_e32 v10, v25
	s_mov_b32 s11, s34
	s_branch .LBB155_62
.LBB155_61:                             ;   in Loop: Header=BB155_62 Depth=1
	s_or_b64 exec, exec, s[8:9]
	s_add_i32 s11, s11, 8
	s_add_i32 s10, s10, -8
	s_cmp_lt_u32 s11, s35
	v_add_u32_e32 v10, 0x1000, v10
	s_cbranch_scc0 .LBB155_64
.LBB155_62:                             ; =>This Inner Loop Header: Depth=1
	s_and_saveexec_b64 s[8:9], s[6:7]
	s_cbranch_execz .LBB155_61
; %bb.63:                               ;   in Loop: Header=BB155_62 Depth=1
	v_lshrrev_b64 v[11:12], s11, v[7:8]
	s_min_u32 s12, s10, 8
	v_bfe_u32 v11, v11, 0, s12
	v_lshl_add_u32 v11, v11, 4, v10
	ds_add_u32 v11, v9
	s_branch .LBB155_61
.LBB155_64:
	v_cmp_lt_i64_e32 vcc, -1, v[5:6]
	v_bfrev_b32_e32 v7, 1
	s_mov_b32 s6, -1
	v_cndmask_b32_e32 v8, -1, v7, vcc
	v_ashrrev_i32_e32 v9, 31, v6
	s_brev_b32 s7, -2
	v_xor_b32_e32 v6, v8, v6
	v_xor_b32_e32 v5, v9, v5
	v_cmp_ne_u64_e32 vcc, s[6:7], v[5:6]
	s_mov_b32 s8, s33
	v_cndmask_b32_e32 v6, v7, v6, vcc
	v_cndmask_b32_e32 v5, 0, v5, vcc
	v_mov_b32_e32 v7, 1
	v_mov_b32_e32 v8, v25
	s_mov_b32 s9, s34
	s_branch .LBB155_66
.LBB155_65:                             ;   in Loop: Header=BB155_66 Depth=1
	s_or_b64 exec, exec, s[6:7]
	s_add_i32 s9, s9, 8
	s_add_i32 s8, s8, -8
	s_cmp_lt_u32 s9, s35
	v_add_u32_e32 v8, 0x1000, v8
	s_cbranch_scc0 .LBB155_68
.LBB155_66:                             ; =>This Inner Loop Header: Depth=1
	s_and_saveexec_b64 s[6:7], s[4:5]
	s_cbranch_execz .LBB155_65
; %bb.67:                               ;   in Loop: Header=BB155_66 Depth=1
	v_lshrrev_b64 v[9:10], s9, v[5:6]
	s_min_u32 s10, s8, 8
	v_bfe_u32 v9, v9, 0, s10
	v_lshl_add_u32 v9, v9, 4, v8
	ds_add_u32 v9, v7
	s_branch .LBB155_65
.LBB155_68:
	v_cmp_lt_i64_e32 vcc, -1, v[3:4]
	v_bfrev_b32_e32 v5, 1
	s_mov_b32 s4, -1
	v_cndmask_b32_e32 v6, -1, v5, vcc
	v_ashrrev_i32_e32 v7, 31, v4
	s_brev_b32 s5, -2
	v_xor_b32_e32 v4, v6, v4
	v_xor_b32_e32 v3, v7, v3
	v_cmp_ne_u64_e32 vcc, s[4:5], v[3:4]
	s_mov_b32 s6, s33
	v_cndmask_b32_e32 v4, v5, v4, vcc
	v_cndmask_b32_e32 v3, 0, v3, vcc
	v_mov_b32_e32 v5, 1
	v_mov_b32_e32 v6, v25
	s_mov_b32 s7, s34
	s_branch .LBB155_70
.LBB155_69:                             ;   in Loop: Header=BB155_70 Depth=1
	s_or_b64 exec, exec, s[4:5]
	s_add_i32 s7, s7, 8
	s_add_i32 s6, s6, -8
	s_cmp_lt_u32 s7, s35
	v_add_u32_e32 v6, 0x1000, v6
	s_cbranch_scc0 .LBB155_72
.LBB155_70:                             ; =>This Inner Loop Header: Depth=1
	s_and_saveexec_b64 s[4:5], s[2:3]
	s_cbranch_execz .LBB155_69
; %bb.71:                               ;   in Loop: Header=BB155_70 Depth=1
	v_lshrrev_b64 v[7:8], s7, v[3:4]
	s_min_u32 s8, s6, 8
	v_bfe_u32 v7, v7, 0, s8
	v_lshl_add_u32 v7, v7, 4, v6
	ds_add_u32 v7, v5
	s_branch .LBB155_69
.LBB155_72:
	v_cmp_lt_i64_e32 vcc, -1, v[1:2]
	v_bfrev_b32_e32 v3, 1
	s_mov_b32 s2, -1
	v_cndmask_b32_e32 v4, -1, v3, vcc
	v_ashrrev_i32_e32 v5, 31, v2
	s_brev_b32 s3, -2
	v_xor_b32_e32 v2, v4, v2
	v_xor_b32_e32 v1, v5, v1
	v_cmp_ne_u64_e32 vcc, s[2:3], v[1:2]
	s_mov_b32 s4, s34
	v_cndmask_b32_e32 v2, v3, v2, vcc
	v_cndmask_b32_e32 v1, 0, v1, vcc
	v_mov_b32_e32 v3, 1
	s_branch .LBB155_74
.LBB155_73:                             ;   in Loop: Header=BB155_74 Depth=1
	s_or_b64 exec, exec, s[2:3]
	s_add_i32 s4, s4, 8
	s_add_i32 s33, s33, -8
	s_cmp_lt_u32 s4, s35
	v_add_u32_e32 v25, 0x1000, v25
	s_cbranch_scc0 .LBB155_76
.LBB155_74:                             ; =>This Inner Loop Header: Depth=1
	s_and_saveexec_b64 s[2:3], s[0:1]
	s_cbranch_execz .LBB155_73
; %bb.75:                               ;   in Loop: Header=BB155_74 Depth=1
	v_lshrrev_b64 v[4:5], s4, v[1:2]
	s_min_u32 s5, s33, 8
	v_bfe_u32 v4, v4, 0, s5
	v_lshl_add_u32 v4, v4, 4, v25
	ds_add_u32 v4, v3
	s_branch .LBB155_73
.LBB155_76:
	s_and_b64 vcc, exec, s[28:29]
	s_waitcnt lgkmcnt(0)
	s_barrier
	s_cbranch_vccz .LBB155_81
; %bb.77:
	s_movk_i32 s0, 0x100
	v_cmp_gt_u32_e32 vcc, s0, v0
	v_lshlrev_b32_e32 v3, 4, v0
	v_mov_b32_e32 v2, 0
	v_mov_b32_e32 v1, v0
	s_mov_b32 s4, s34
	s_branch .LBB155_79
.LBB155_78:                             ;   in Loop: Header=BB155_79 Depth=1
	s_or_b64 exec, exec, s[2:3]
	s_add_i32 s4, s4, 8
	v_add_u32_e32 v1, 0x100, v1
	s_cmp_lt_u32 s4, s35
	v_add_u32_e32 v3, 0x1000, v3
	s_cbranch_scc0 .LBB155_81
.LBB155_79:                             ; =>This Inner Loop Header: Depth=1
	s_and_saveexec_b64 s[2:3], vcc
	s_cbranch_execz .LBB155_78
; %bb.80:                               ;   in Loop: Header=BB155_79 Depth=1
	ds_read2_b32 v[4:5], v3 offset1:1
	ds_read2_b32 v[6:7], v3 offset0:2 offset1:3
	v_lshlrev_b64 v[8:9], 3, v[1:2]
	v_mov_b32_e32 v10, s27
	s_waitcnt lgkmcnt(1)
	v_add_u32_e32 v4, v5, v4
	s_waitcnt lgkmcnt(0)
	v_add3_u32 v4, v4, v6, v7
	v_add_co_u32_e64 v6, s[0:1], s26, v8
	v_addc_co_u32_e64 v7, s[0:1], v10, v9, s[0:1]
	v_mov_b32_e32 v5, v2
	global_atomic_add_x2 v[6:7], v[4:5], off
	s_branch .LBB155_78
.LBB155_81:
	s_mov_b64 s[0:1], 0
.LBB155_82:
	s_and_b64 vcc, exec, s[0:1]
	s_cbranch_vccz .LBB155_122
; %bb.83:
	v_mov_b32_e32 v1, s25
	v_add_co_u32_e32 v21, vcc, s24, v27
	v_addc_co_u32_e32 v22, vcc, 0, v1, vcc
	v_add_co_u32_e32 v1, vcc, 0x1000, v21
	v_addc_co_u32_e32 v2, vcc, 0, v22, vcc
	;; [unrolled: 2-line block ×3, first 2 shown]
	global_load_dwordx2 v[19:20], v[1:2], off
	global_load_dwordx2 v[17:18], v[1:2], off offset:2048
	global_load_dwordx2 v[13:14], v[3:4], off
	global_load_dwordx2 v[9:10], v[3:4], off offset:2048
	v_add_co_u32_e32 v1, vcc, 0x3000, v21
	v_addc_co_u32_e32 v2, vcc, 0, v22, vcc
	v_add_co_u32_e32 v5, vcc, 0x4000, v21
	v_addc_co_u32_e32 v6, vcc, 0, v22, vcc
	v_add_co_u32_e32 v25, vcc, 0x5000, v21
	global_load_dwordx2 v[15:16], v[1:2], off
	global_load_dwordx2 v[11:12], v[1:2], off offset:2048
	global_load_dwordx2 v[7:8], v[5:6], off
	global_load_dwordx2 v[3:4], v[5:6], off offset:2048
	v_addc_co_u32_e32 v26, vcc, 0, v22, vcc
	global_load_dwordx2 v[23:24], v27, s[24:25]
	global_load_dwordx2 v[21:22], v27, s[24:25] offset:2048
	global_load_dwordx2 v[5:6], v[25:26], off
	global_load_dwordx2 v[1:2], v[25:26], off offset:2048
	s_cmp_eq_u32 s34, 0
	s_cselect_b64 s[0:1], -1, 0
	s_cmp_eq_u32 s35, 64
	s_cselect_b64 s[2:3], -1, 0
	s_and_b64 s[2:3], s[0:1], s[2:3]
	v_mov_b32_e32 v25, 0
	s_mov_b64 s[0:1], -1
	s_and_b64 vcc, exec, s[2:3]
	v_lshlrev_b32_e32 v28, 2, v0
	s_cbranch_vccnz .LBB155_117
; %bb.84:
	v_or_b32_e32 v26, 0xffffff00, v0
	v_lshlrev_b32_e32 v29, 2, v0
	s_mov_b64 s[0:1], 0
	s_movk_i32 s2, 0x1eff
.LBB155_85:                             ; =>This Inner Loop Header: Depth=1
	v_add_u32_e32 v26, 0x100, v26
	v_cmp_lt_u32_e32 vcc, s2, v26
	ds_write_b32 v29, v25
	s_or_b64 s[0:1], vcc, s[0:1]
	v_add_u32_e32 v29, 0x400, v29
	s_andn2_b64 exec, exec, s[0:1]
	s_cbranch_execnz .LBB155_85
; %bb.86:
	s_or_b64 exec, exec, s[0:1]
	s_cmp_gt_u32 s35, s34
	s_cselect_b64 s[0:1], -1, 0
	s_cmp_le_u32 s35, s34
	s_waitcnt vmcnt(0) lgkmcnt(0)
	s_barrier
	s_cbranch_scc1 .LBB155_111
; %bb.87:
	v_cmp_lt_i64_e32 vcc, -1, v[23:24]
	v_bfrev_b32_e32 v30, 1
	s_mov_b32 s2, -1
	v_cndmask_b32_e32 v25, -1, v30, vcc
	v_ashrrev_i32_e32 v31, 31, v24
	s_brev_b32 s3, -2
	v_xor_b32_e32 v26, v25, v24
	v_xor_b32_e32 v25, v31, v23
	v_and_b32_e32 v29, 3, v0
	v_cmp_ne_u64_e32 vcc, s[2:3], v[25:26]
	v_lshlrev_b32_e32 v29, 2, v29
	s_sub_i32 s2, s35, s34
	v_cndmask_b32_e32 v26, v30, v26, vcc
	v_cndmask_b32_e32 v25, 0, v25, vcc
	v_mov_b32_e32 v30, 1
	s_mov_b32 s3, s2
	v_mov_b32_e32 v31, v29
	s_mov_b32 s4, s34
.LBB155_88:                             ; =>This Inner Loop Header: Depth=1
	v_lshrrev_b64 v[32:33], s4, v[25:26]
	s_min_u32 s5, s3, 8
	v_bfe_u32 v32, v32, 0, s5
	v_lshl_add_u32 v32, v32, 4, v31
	ds_add_u32 v32, v30
	s_add_i32 s4, s4, 8
	s_add_i32 s3, s3, -8
	s_cmp_ge_u32 s4, s35
	v_add_u32_e32 v31, 0x1000, v31
	s_cbranch_scc0 .LBB155_88
; %bb.89:
	v_cmp_lt_i64_e32 vcc, -1, v[21:22]
	v_bfrev_b32_e32 v30, 1
	s_mov_b32 s4, -1
	v_cndmask_b32_e32 v25, -1, v30, vcc
	v_ashrrev_i32_e32 v31, 31, v22
	s_brev_b32 s5, -2
	v_xor_b32_e32 v26, v25, v22
	v_xor_b32_e32 v25, v31, v21
	v_cmp_ne_u64_e32 vcc, s[4:5], v[25:26]
	s_mov_b32 s3, s2
	v_cndmask_b32_e32 v26, v30, v26, vcc
	v_cndmask_b32_e32 v25, 0, v25, vcc
	v_mov_b32_e32 v30, 1
	v_mov_b32_e32 v31, v29
	s_mov_b32 s4, s34
.LBB155_90:                             ; =>This Inner Loop Header: Depth=1
	v_lshrrev_b64 v[32:33], s4, v[25:26]
	s_min_u32 s5, s3, 8
	v_bfe_u32 v32, v32, 0, s5
	v_lshl_add_u32 v32, v32, 4, v31
	ds_add_u32 v32, v30
	s_add_i32 s4, s4, 8
	s_add_i32 s3, s3, -8
	s_cmp_lt_u32 s4, s35
	v_add_u32_e32 v31, 0x1000, v31
	s_cbranch_scc1 .LBB155_90
; %bb.91:
	v_cmp_lt_i64_e32 vcc, -1, v[19:20]
	v_bfrev_b32_e32 v30, 1
	s_mov_b32 s4, -1
	v_cndmask_b32_e32 v25, -1, v30, vcc
	v_ashrrev_i32_e32 v31, 31, v20
	s_brev_b32 s5, -2
	v_xor_b32_e32 v26, v25, v20
	v_xor_b32_e32 v25, v31, v19
	v_cmp_ne_u64_e32 vcc, s[4:5], v[25:26]
	s_mov_b32 s3, s2
	v_cndmask_b32_e32 v26, v30, v26, vcc
	v_cndmask_b32_e32 v25, 0, v25, vcc
	v_mov_b32_e32 v30, 1
	v_mov_b32_e32 v31, v29
	s_mov_b32 s4, s34
.LBB155_92:                             ; =>This Inner Loop Header: Depth=1
	v_lshrrev_b64 v[32:33], s4, v[25:26]
	s_min_u32 s5, s3, 8
	v_bfe_u32 v32, v32, 0, s5
	v_lshl_add_u32 v32, v32, 4, v31
	ds_add_u32 v32, v30
	s_add_i32 s4, s4, 8
	s_add_i32 s3, s3, -8
	s_cmp_lt_u32 s4, s35
	v_add_u32_e32 v31, 0x1000, v31
	s_cbranch_scc1 .LBB155_92
	;; [unrolled: 27-line block ×5, first 2 shown]
; %bb.99:
	v_cmp_lt_i64_e32 vcc, -1, v[15:16]
	v_bfrev_b32_e32 v30, 1
	s_mov_b32 s4, -1
	v_cndmask_b32_e32 v25, -1, v30, vcc
	v_ashrrev_i32_e32 v31, 31, v16
	s_brev_b32 s5, -2
	v_xor_b32_e32 v26, v25, v16
	v_xor_b32_e32 v25, v31, v15
	v_cmp_ne_u64_e32 vcc, s[4:5], v[25:26]
	s_mov_b32 s3, s2
	v_cndmask_b32_e32 v26, v30, v26, vcc
	v_cndmask_b32_e32 v25, 0, v25, vcc
	v_mov_b32_e32 v30, 1
	v_mov_b32_e32 v31, v29
	s_mov_b32 s4, s34
.LBB155_100:                            ; =>This Inner Loop Header: Depth=1
	v_lshrrev_b64 v[32:33], s4, v[25:26]
	s_min_u32 s5, s3, 8
	v_bfe_u32 v32, v32, 0, s5
	v_lshl_add_u32 v32, v32, 4, v31
	ds_add_u32 v32, v30
	s_add_i32 s4, s4, 8
	s_add_i32 s3, s3, -8
	s_cmp_lt_u32 s4, s35
	v_add_u32_e32 v31, 0x1000, v31
	s_cbranch_scc1 .LBB155_100
; %bb.101:
	v_cmp_lt_i64_e32 vcc, -1, v[11:12]
	v_bfrev_b32_e32 v30, 1
	s_mov_b32 s4, -1
	v_cndmask_b32_e32 v25, -1, v30, vcc
	v_ashrrev_i32_e32 v31, 31, v12
	s_brev_b32 s5, -2
	v_xor_b32_e32 v26, v25, v12
	v_xor_b32_e32 v25, v31, v11
	v_cmp_ne_u64_e32 vcc, s[4:5], v[25:26]
	s_mov_b32 s3, s2
	v_cndmask_b32_e32 v26, v30, v26, vcc
	v_cndmask_b32_e32 v25, 0, v25, vcc
	v_mov_b32_e32 v30, 1
	v_mov_b32_e32 v31, v29
	s_mov_b32 s4, s34
.LBB155_102:                            ; =>This Inner Loop Header: Depth=1
	v_lshrrev_b64 v[32:33], s4, v[25:26]
	s_min_u32 s5, s3, 8
	v_bfe_u32 v32, v32, 0, s5
	v_lshl_add_u32 v32, v32, 4, v31
	ds_add_u32 v32, v30
	s_add_i32 s4, s4, 8
	s_add_i32 s3, s3, -8
	s_cmp_lt_u32 s4, s35
	v_add_u32_e32 v31, 0x1000, v31
	s_cbranch_scc1 .LBB155_102
	;; [unrolled: 27-line block ×5, first 2 shown]
; %bb.109:
	v_cmp_lt_i64_e32 vcc, -1, v[1:2]
	v_bfrev_b32_e32 v30, 1
	s_mov_b32 s4, -1
	v_cndmask_b32_e32 v25, -1, v30, vcc
	v_ashrrev_i32_e32 v31, 31, v2
	s_brev_b32 s5, -2
	v_xor_b32_e32 v26, v25, v2
	v_xor_b32_e32 v25, v31, v1
	v_cmp_ne_u64_e32 vcc, s[4:5], v[25:26]
	s_mov_b32 s3, s34
	v_cndmask_b32_e32 v26, v30, v26, vcc
	v_cndmask_b32_e32 v25, 0, v25, vcc
	v_mov_b32_e32 v30, 1
.LBB155_110:                            ; =>This Inner Loop Header: Depth=1
	v_lshrrev_b64 v[31:32], s3, v[25:26]
	s_min_u32 s4, s2, 8
	v_bfe_u32 v31, v31, 0, s4
	v_lshl_add_u32 v31, v31, 4, v29
	ds_add_u32 v31, v30
	s_add_i32 s3, s3, 8
	s_add_i32 s2, s2, -8
	s_cmp_lt_u32 s3, s35
	v_add_u32_e32 v29, 0x1000, v29
	s_cbranch_scc1 .LBB155_110
.LBB155_111:
	s_and_b64 vcc, exec, s[0:1]
	s_waitcnt lgkmcnt(0)
	s_barrier
	s_cbranch_vccz .LBB155_116
; %bb.112:
	s_movk_i32 s0, 0x100
	v_cmp_gt_u32_e32 vcc, s0, v0
	v_lshlrev_b32_e32 v29, 4, v0
	v_mov_b32_e32 v26, 0
	v_mov_b32_e32 v25, v0
	s_branch .LBB155_114
.LBB155_113:                            ;   in Loop: Header=BB155_114 Depth=1
	s_or_b64 exec, exec, s[2:3]
	s_add_i32 s34, s34, 8
	v_add_u32_e32 v25, 0x100, v25
	s_cmp_ge_u32 s34, s35
	v_add_u32_e32 v29, 0x1000, v29
	s_cbranch_scc1 .LBB155_116
.LBB155_114:                            ; =>This Inner Loop Header: Depth=1
	s_and_saveexec_b64 s[2:3], vcc
	s_cbranch_execz .LBB155_113
; %bb.115:                              ;   in Loop: Header=BB155_114 Depth=1
	ds_read2_b32 v[30:31], v29 offset1:1
	ds_read2_b32 v[32:33], v29 offset0:2 offset1:3
	v_lshlrev_b64 v[34:35], 3, v[25:26]
	v_mov_b32_e32 v36, s27
	s_waitcnt lgkmcnt(1)
	v_add_u32_e32 v30, v31, v30
	s_waitcnt lgkmcnt(0)
	v_add3_u32 v30, v30, v32, v33
	v_add_co_u32_e64 v32, s[0:1], s26, v34
	v_addc_co_u32_e64 v33, s[0:1], v36, v35, s[0:1]
	v_mov_b32_e32 v31, v26
	global_atomic_add_x2 v[32:33], v[30:31], off
	s_branch .LBB155_113
.LBB155_116:
	s_mov_b64 s[0:1], 0
.LBB155_117:
	s_and_b64 vcc, exec, s[0:1]
	s_cbranch_vccz .LBB155_122
; %bb.118:
	v_or_b32_e32 v25, 0xffffff00, v0
	s_mov_b64 s[0:1], 0
	v_mov_b32_e32 v26, 0
	s_movk_i32 s2, 0x1eff
.LBB155_119:                            ; =>This Inner Loop Header: Depth=1
	v_add_u32_e32 v25, 0x100, v25
	v_cmp_lt_u32_e32 vcc, s2, v25
	ds_write_b32 v28, v26
	s_or_b64 s[0:1], vcc, s[0:1]
	v_add_u32_e32 v28, 0x400, v28
	s_andn2_b64 exec, exec, s[0:1]
	s_cbranch_execnz .LBB155_119
; %bb.120:
	s_or_b64 exec, exec, s[0:1]
	s_waitcnt vmcnt(3)
	v_cmp_lt_i64_e32 vcc, -1, v[23:24]
	v_bfrev_b32_e32 v25, 1
	v_cndmask_b32_e32 v26, -1, v25, vcc
	s_waitcnt vmcnt(2)
	v_cmp_lt_i64_e32 vcc, -1, v[21:22]
	v_ashrrev_i32_e32 v28, 31, v24
	v_xor_b32_e32 v24, v26, v24
	v_cndmask_b32_e32 v26, -1, v25, vcc
	v_cmp_lt_i64_e32 vcc, -1, v[19:20]
	v_xor_b32_e32 v23, v28, v23
	v_ashrrev_i32_e32 v28, 31, v22
	v_xor_b32_e32 v22, v26, v22
	v_cndmask_b32_e32 v26, -1, v25, vcc
	v_cmp_lt_i64_e32 vcc, -1, v[17:18]
	v_xor_b32_e32 v21, v28, v21
	;; [unrolled: 5-line block ×8, first 2 shown]
	v_ashrrev_i32_e32 v28, 31, v8
	v_xor_b32_e32 v8, v26, v8
	v_cndmask_b32_e32 v26, -1, v25, vcc
	s_waitcnt vmcnt(1)
	v_cmp_lt_i64_e32 vcc, -1, v[5:6]
	s_mov_b32 s0, -1
	v_xor_b32_e32 v7, v28, v7
	v_ashrrev_i32_e32 v28, 31, v4
	v_xor_b32_e32 v4, v26, v4
	v_cndmask_b32_e32 v26, -1, v25, vcc
	s_waitcnt vmcnt(0)
	v_cmp_lt_i64_e32 vcc, -1, v[1:2]
	s_brev_b32 s1, -2
	v_xor_b32_e32 v3, v28, v3
	v_ashrrev_i32_e32 v28, 31, v6
	v_xor_b32_e32 v6, v26, v6
	v_cndmask_b32_e32 v26, -1, v25, vcc
	v_cmp_ne_u64_e32 vcc, s[0:1], v[23:24]
	v_xor_b32_e32 v5, v28, v5
	v_ashrrev_i32_e32 v28, 31, v2
	v_xor_b32_e32 v2, v26, v2
	v_and_b32_e32 v26, 3, v0
	v_cndmask_b32_e32 v23, 0, v23, vcc
	v_xor_b32_e32 v1, v28, v1
	v_lshlrev_b32_e32 v28, 4, v23
	v_lshlrev_b32_e32 v26, 2, v26
	s_movk_i32 s2, 0xff0
	v_and_or_b32 v28, v28, s2, v26
	v_mov_b32_e32 v29, 1
	s_waitcnt lgkmcnt(0)
	s_barrier
	ds_add_u32 v28, v29
	v_bfe_u32 v28, v23, 8, 8
	v_lshl_or_b32 v28, v28, 4, v26
	ds_add_u32 v28, v29 offset:4096
	v_bfe_u32 v28, v23, 16, 8
	v_cndmask_b32_e32 v24, v25, v24, vcc
	v_lshl_or_b32 v28, v28, 4, v26
	ds_add_u32 v28, v29 offset:8192
	v_lshrrev_b32_e32 v28, 24, v23
	v_alignbit_b32 v23, v24, v23, 30
	v_lshl_or_b32 v28, v28, 4, v26
	v_and_b32_e32 v23, 0x3fc, v23
	ds_add_u32 v28, v29 offset:12288
	v_lshl_or_b32 v23, v23, 2, v26
	ds_add_u32 v23, v29 offset:16384
	v_bfe_u32 v23, v24, 8, 8
	v_lshl_or_b32 v23, v23, 4, v26
	ds_add_u32 v23, v29 offset:20480
	v_bfe_u32 v23, v24, 16, 8
	v_lshl_or_b32 v23, v23, 4, v26
	v_cmp_ne_u64_e32 vcc, s[0:1], v[21:22]
	ds_add_u32 v23, v29 offset:24576
	v_lshrrev_b32_e32 v23, 24, v24
	v_lshl_or_b32 v23, v23, 4, v26
	v_cndmask_b32_e32 v21, 0, v21, vcc
	ds_add_u32 v23, v29 offset:28672
	v_lshlrev_b32_e32 v23, 4, v21
	v_and_or_b32 v23, v23, s2, v26
	ds_add_u32 v23, v29
	v_bfe_u32 v23, v21, 8, 8
	v_lshl_or_b32 v23, v23, 4, v26
	ds_add_u32 v23, v29 offset:4096
	v_bfe_u32 v23, v21, 16, 8
	v_cndmask_b32_e32 v22, v25, v22, vcc
	v_lshl_or_b32 v23, v23, 4, v26
	ds_add_u32 v23, v29 offset:8192
	v_lshrrev_b32_e32 v23, 24, v21
	v_alignbit_b32 v21, v22, v21, 30
	v_lshl_or_b32 v23, v23, 4, v26
	v_and_b32_e32 v21, 0x3fc, v21
	ds_add_u32 v23, v29 offset:12288
	v_lshl_or_b32 v21, v21, 2, v26
	ds_add_u32 v21, v29 offset:16384
	v_bfe_u32 v21, v22, 8, 8
	v_lshl_or_b32 v21, v21, 4, v26
	ds_add_u32 v21, v29 offset:20480
	v_bfe_u32 v21, v22, 16, 8
	v_lshl_or_b32 v21, v21, 4, v26
	v_cmp_ne_u64_e32 vcc, s[0:1], v[19:20]
	ds_add_u32 v21, v29 offset:24576
	v_lshrrev_b32_e32 v21, 24, v22
	v_lshl_or_b32 v21, v21, 4, v26
	v_cndmask_b32_e32 v19, 0, v19, vcc
	ds_add_u32 v21, v29 offset:28672
	v_lshlrev_b32_e32 v21, 4, v19
	v_and_or_b32 v21, v21, s2, v26
	;; [unrolled: 28-line block ×5, first 2 shown]
	ds_add_u32 v13, v29
	v_bfe_u32 v13, v9, 8, 8
	v_lshl_or_b32 v13, v13, 4, v26
	ds_add_u32 v13, v29 offset:4096
	v_bfe_u32 v13, v9, 16, 8
	v_cndmask_b32_e32 v10, v25, v10, vcc
	v_lshl_or_b32 v13, v13, 4, v26
	ds_add_u32 v13, v29 offset:8192
	v_lshrrev_b32_e32 v13, 24, v9
	v_alignbit_b32 v9, v10, v9, 30
	v_lshl_or_b32 v13, v13, 4, v26
	v_and_b32_e32 v9, 0x3fc, v9
	ds_add_u32 v13, v29 offset:12288
	v_lshl_or_b32 v9, v9, 2, v26
	ds_add_u32 v9, v29 offset:16384
	v_bfe_u32 v9, v10, 8, 8
	v_lshl_or_b32 v9, v9, 4, v26
	ds_add_u32 v9, v29 offset:20480
	v_bfe_u32 v9, v10, 16, 8
	v_cmp_ne_u64_e32 vcc, s[0:1], v[15:16]
	v_lshl_or_b32 v9, v9, 4, v26
	ds_add_u32 v9, v29 offset:24576
	v_lshrrev_b32_e32 v9, 24, v10
	v_cndmask_b32_e32 v10, 0, v15, vcc
	v_lshl_or_b32 v9, v9, 4, v26
	v_lshlrev_b32_e32 v13, 4, v10
	ds_add_u32 v9, v29 offset:28672
	v_and_or_b32 v13, v13, s2, v26
	ds_add_u32 v13, v29
	v_bfe_u32 v13, v10, 8, 8
	v_lshl_or_b32 v13, v13, 4, v26
	ds_add_u32 v13, v29 offset:4096
	v_bfe_u32 v13, v10, 16, 8
	v_cndmask_b32_e32 v9, v25, v16, vcc
	v_lshl_or_b32 v13, v13, 4, v26
	ds_add_u32 v13, v29 offset:8192
	v_lshrrev_b32_e32 v13, 24, v10
	v_alignbit_b32 v10, v9, v10, 30
	v_lshl_or_b32 v13, v13, 4, v26
	v_and_b32_e32 v10, 0x3fc, v10
	ds_add_u32 v13, v29 offset:12288
	v_lshl_or_b32 v10, v10, 2, v26
	ds_add_u32 v10, v29 offset:16384
	v_bfe_u32 v10, v9, 8, 8
	v_lshl_or_b32 v10, v10, 4, v26
	ds_add_u32 v10, v29 offset:20480
	v_bfe_u32 v10, v9, 16, 8
	v_cmp_ne_u64_e32 vcc, s[0:1], v[11:12]
	v_lshl_or_b32 v10, v10, 4, v26
	ds_add_u32 v10, v29 offset:24576
	v_lshrrev_b32_e32 v9, 24, v9
	v_cndmask_b32_e32 v10, 0, v11, vcc
	v_lshl_or_b32 v9, v9, 4, v26
	v_lshlrev_b32_e32 v11, 4, v10
	ds_add_u32 v9, v29 offset:28672
	v_and_or_b32 v11, v11, s2, v26
	ds_add_u32 v11, v29
	v_bfe_u32 v11, v10, 8, 8
	v_lshl_or_b32 v11, v11, 4, v26
	ds_add_u32 v11, v29 offset:4096
	v_bfe_u32 v11, v10, 16, 8
	v_cndmask_b32_e32 v9, v25, v12, vcc
	v_lshl_or_b32 v11, v11, 4, v26
	ds_add_u32 v11, v29 offset:8192
	v_lshrrev_b32_e32 v11, 24, v10
	v_alignbit_b32 v10, v9, v10, 30
	v_lshl_or_b32 v11, v11, 4, v26
	v_and_b32_e32 v10, 0x3fc, v10
	ds_add_u32 v11, v29 offset:12288
	v_lshl_or_b32 v10, v10, 2, v26
	ds_add_u32 v10, v29 offset:16384
	v_bfe_u32 v10, v9, 8, 8
	v_lshl_or_b32 v10, v10, 4, v26
	ds_add_u32 v10, v29 offset:20480
	v_bfe_u32 v10, v9, 16, 8
	v_cmp_ne_u64_e32 vcc, s[0:1], v[7:8]
	v_lshl_or_b32 v10, v10, 4, v26
	v_lshrrev_b32_e32 v9, 24, v9
	ds_add_u32 v10, v29 offset:24576
	v_lshl_or_b32 v9, v9, 4, v26
	v_cndmask_b32_e32 v7, 0, v7, vcc
	ds_add_u32 v9, v29 offset:28672
	v_lshlrev_b32_e32 v9, 4, v7
	v_and_or_b32 v9, v9, s2, v26
	ds_add_u32 v9, v29
	v_bfe_u32 v9, v7, 8, 8
	v_lshl_or_b32 v9, v9, 4, v26
	ds_add_u32 v9, v29 offset:4096
	v_bfe_u32 v9, v7, 16, 8
	v_cndmask_b32_e32 v8, v25, v8, vcc
	v_lshl_or_b32 v9, v9, 4, v26
	ds_add_u32 v9, v29 offset:8192
	v_lshrrev_b32_e32 v9, 24, v7
	v_alignbit_b32 v7, v8, v7, 30
	v_lshl_or_b32 v9, v9, 4, v26
	v_and_b32_e32 v7, 0x3fc, v7
	ds_add_u32 v9, v29 offset:12288
	v_lshl_or_b32 v7, v7, 2, v26
	ds_add_u32 v7, v29 offset:16384
	v_bfe_u32 v7, v8, 8, 8
	v_lshl_or_b32 v7, v7, 4, v26
	ds_add_u32 v7, v29 offset:20480
	v_bfe_u32 v7, v8, 16, 8
	v_lshl_or_b32 v7, v7, 4, v26
	v_cmp_ne_u64_e32 vcc, s[0:1], v[3:4]
	ds_add_u32 v7, v29 offset:24576
	v_lshrrev_b32_e32 v7, 24, v8
	v_lshl_or_b32 v7, v7, 4, v26
	v_cndmask_b32_e32 v3, 0, v3, vcc
	ds_add_u32 v7, v29 offset:28672
	v_lshlrev_b32_e32 v7, 4, v3
	v_and_or_b32 v7, v7, s2, v26
	ds_add_u32 v7, v29
	v_bfe_u32 v7, v3, 8, 8
	v_lshl_or_b32 v7, v7, 4, v26
	ds_add_u32 v7, v29 offset:4096
	v_bfe_u32 v7, v3, 16, 8
	v_cndmask_b32_e32 v4, v25, v4, vcc
	v_lshl_or_b32 v7, v7, 4, v26
	ds_add_u32 v7, v29 offset:8192
	v_lshrrev_b32_e32 v7, 24, v3
	v_alignbit_b32 v3, v4, v3, 30
	v_lshl_or_b32 v7, v7, 4, v26
	v_and_b32_e32 v3, 0x3fc, v3
	ds_add_u32 v7, v29 offset:12288
	v_lshl_or_b32 v3, v3, 2, v26
	ds_add_u32 v3, v29 offset:16384
	v_bfe_u32 v3, v4, 8, 8
	v_lshl_or_b32 v3, v3, 4, v26
	ds_add_u32 v3, v29 offset:20480
	v_bfe_u32 v3, v4, 16, 8
	v_cmp_ne_u64_e32 vcc, s[0:1], v[5:6]
	v_lshl_or_b32 v3, v3, 4, v26
	ds_add_u32 v3, v29 offset:24576
	v_lshrrev_b32_e32 v3, 24, v4
	v_cndmask_b32_e32 v4, 0, v5, vcc
	v_lshl_or_b32 v3, v3, 4, v26
	v_lshlrev_b32_e32 v5, 4, v4
	ds_add_u32 v3, v29 offset:28672
	v_and_or_b32 v5, v5, s2, v26
	ds_add_u32 v5, v29
	v_bfe_u32 v5, v4, 8, 8
	v_lshl_or_b32 v5, v5, 4, v26
	ds_add_u32 v5, v29 offset:4096
	v_bfe_u32 v5, v4, 16, 8
	v_cndmask_b32_e32 v3, v25, v6, vcc
	v_lshl_or_b32 v5, v5, 4, v26
	ds_add_u32 v5, v29 offset:8192
	v_lshrrev_b32_e32 v5, 24, v4
	v_alignbit_b32 v4, v3, v4, 30
	v_lshl_or_b32 v5, v5, 4, v26
	v_and_b32_e32 v4, 0x3fc, v4
	ds_add_u32 v5, v29 offset:12288
	v_lshl_or_b32 v4, v4, 2, v26
	ds_add_u32 v4, v29 offset:16384
	v_bfe_u32 v4, v3, 8, 8
	v_lshl_or_b32 v4, v4, 4, v26
	ds_add_u32 v4, v29 offset:20480
	v_bfe_u32 v4, v3, 16, 8
	v_cmp_ne_u64_e32 vcc, s[0:1], v[1:2]
	v_lshl_or_b32 v4, v4, 4, v26
	v_lshrrev_b32_e32 v3, 24, v3
	ds_add_u32 v4, v29 offset:24576
	v_lshl_or_b32 v3, v3, 4, v26
	v_cndmask_b32_e32 v1, 0, v1, vcc
	ds_add_u32 v3, v29 offset:28672
	v_lshlrev_b32_e32 v3, 4, v1
	v_and_or_b32 v3, v3, s2, v26
	ds_add_u32 v3, v29
	v_bfe_u32 v3, v1, 8, 8
	v_lshl_or_b32 v3, v3, 4, v26
	ds_add_u32 v3, v29 offset:4096
	v_bfe_u32 v3, v1, 16, 8
	v_cndmask_b32_e32 v2, v25, v2, vcc
	v_lshl_or_b32 v3, v3, 4, v26
	ds_add_u32 v3, v29 offset:8192
	v_lshrrev_b32_e32 v3, 24, v1
	v_alignbit_b32 v1, v2, v1, 30
	v_lshl_or_b32 v3, v3, 4, v26
	v_and_b32_e32 v1, 0x3fc, v1
	ds_add_u32 v3, v29 offset:12288
	v_lshl_or_b32 v1, v1, 2, v26
	ds_add_u32 v1, v29 offset:16384
	v_bfe_u32 v1, v2, 8, 8
	v_lshl_or_b32 v1, v1, 4, v26
	ds_add_u32 v1, v29 offset:20480
	v_bfe_u32 v1, v2, 16, 8
	v_lshl_or_b32 v1, v1, 4, v26
	ds_add_u32 v1, v29 offset:24576
	v_lshrrev_b32_e32 v1, 24, v2
	v_lshl_or_b32 v1, v1, 4, v26
	ds_add_u32 v1, v29 offset:28672
	s_movk_i32 s0, 0x100
	v_cmp_gt_u32_e32 vcc, s0, v0
	s_waitcnt lgkmcnt(0)
	s_barrier
	s_and_saveexec_b64 s[0:1], vcc
	s_cbranch_execz .LBB155_122
; %bb.121:
	v_lshlrev_b32_e32 v9, 4, v0
	ds_read2_b32 v[0:1], v9 offset1:1
	ds_read2_b32 v[2:3], v9 offset0:2 offset1:3
	v_mov_b32_e32 v4, 0
	v_or_b32_e32 v5, 0x1000, v9
	v_or_b32_e32 v6, 0x1008, v9
	s_waitcnt lgkmcnt(1)
	v_add_u32_e32 v0, v1, v0
	s_waitcnt lgkmcnt(0)
	v_add3_u32 v3, v0, v2, v3
	global_atomic_add_x2 v27, v[3:4], s[26:27]
	ds_read2_b32 v[0:1], v5 offset1:1
	ds_read2_b32 v[2:3], v6 offset1:1
	v_or_b32_e32 v6, 0x2000, v9
	v_or_b32_e32 v7, 0x2008, v9
	v_mov_b32_e32 v5, s27
	s_waitcnt lgkmcnt(1)
	v_add_u32_e32 v0, v1, v0
	s_waitcnt lgkmcnt(0)
	v_add3_u32 v3, v0, v2, v3
	global_atomic_add_x2 v27, v[3:4], s[26:27] offset:2048
	ds_read2_b32 v[0:1], v6 offset1:1
	ds_read2_b32 v[2:3], v7 offset1:1
	v_add_co_u32_e32 v10, vcc, s26, v27
	v_addc_co_u32_e32 v11, vcc, 0, v5, vcc
	s_movk_i32 s1, 0x2000
	s_waitcnt lgkmcnt(1)
	v_add_u32_e32 v0, v1, v0
	s_waitcnt lgkmcnt(0)
	v_add3_u32 v3, v0, v2, v3
	v_add_co_u32_e32 v0, vcc, s1, v10
	v_addc_co_u32_e32 v1, vcc, 0, v11, vcc
	global_atomic_add_x2 v[0:1], v[3:4], off offset:-4096
	v_or_b32_e32 v2, 0x3000, v9
	v_or_b32_e32 v5, 0x3008, v9
	ds_read2_b32 v[2:3], v2 offset1:1
	ds_read2_b32 v[5:6], v5 offset1:1
	s_movk_i32 s0, 0x1000
	v_add_co_u32_e32 v7, vcc, s0, v10
	s_waitcnt lgkmcnt(1)
	v_add_u32_e32 v2, v3, v2
	v_addc_co_u32_e32 v8, vcc, 0, v11, vcc
	s_waitcnt lgkmcnt(0)
	v_add3_u32 v3, v2, v5, v6
	global_atomic_add_x2 v[7:8], v[3:4], off offset:2048
	v_or_b32_e32 v2, 0x4000, v9
	v_or_b32_e32 v5, 0x4008, v9
	ds_read2_b32 v[2:3], v2 offset1:1
	ds_read2_b32 v[5:6], v5 offset1:1
	s_movk_i32 s0, 0x3000
	s_waitcnt lgkmcnt(1)
	v_add_u32_e32 v2, v3, v2
	s_waitcnt lgkmcnt(0)
	v_add3_u32 v3, v2, v5, v6
	global_atomic_add_x2 v[0:1], v[3:4], off
	v_or_b32_e32 v2, 0x5000, v9
	v_or_b32_e32 v5, 0x5008, v9
	ds_read2_b32 v[2:3], v2 offset1:1
	ds_read2_b32 v[5:6], v5 offset1:1
	s_waitcnt lgkmcnt(1)
	v_add_u32_e32 v2, v3, v2
	s_waitcnt lgkmcnt(0)
	v_add3_u32 v3, v2, v5, v6
	global_atomic_add_x2 v[0:1], v[3:4], off offset:2048
	v_or_b32_e32 v0, 0x6000, v9
	v_or_b32_e32 v2, 0x6008, v9
	ds_read2_b32 v[0:1], v0 offset1:1
	ds_read2_b32 v[2:3], v2 offset1:1
	v_or_b32_e32 v5, 0x7008, v9
	s_waitcnt lgkmcnt(1)
	v_add_u32_e32 v0, v1, v0
	s_waitcnt lgkmcnt(0)
	v_add3_u32 v3, v0, v2, v3
	v_add_co_u32_e32 v0, vcc, s0, v10
	v_addc_co_u32_e32 v1, vcc, 0, v11, vcc
	global_atomic_add_x2 v[0:1], v[3:4], off
	v_or_b32_e32 v2, 0x7000, v9
	ds_read2_b32 v[2:3], v2 offset1:1
	ds_read2_b32 v[5:6], v5 offset1:1
	s_waitcnt lgkmcnt(1)
	v_add_u32_e32 v2, v3, v2
	s_waitcnt lgkmcnt(0)
	v_add3_u32 v3, v2, v5, v6
	global_atomic_add_x2 v[0:1], v[3:4], off offset:2048
.LBB155_122:
	s_endpgm
	.section	.rodata,"a",@progbits
	.p2align	6, 0x0
	.amdhsa_kernel _ZN7rocprim17ROCPRIM_304000_NS6detail26onesweep_histograms_kernelINS1_34wrapped_radix_sort_onesweep_configINS0_14default_configEdN2at4cuda3cub6detail10OpaqueTypeILi8EEEEELb0EPKdmNS0_19identity_decomposerEEEvT1_PT2_SG_SG_T3_jj
		.amdhsa_group_segment_fixed_size 32768
		.amdhsa_private_segment_fixed_size 0
		.amdhsa_kernarg_size 44
		.amdhsa_user_sgpr_count 6
		.amdhsa_user_sgpr_private_segment_buffer 1
		.amdhsa_user_sgpr_dispatch_ptr 0
		.amdhsa_user_sgpr_queue_ptr 0
		.amdhsa_user_sgpr_kernarg_segment_ptr 1
		.amdhsa_user_sgpr_dispatch_id 0
		.amdhsa_user_sgpr_flat_scratch_init 0
		.amdhsa_user_sgpr_private_segment_size 0
		.amdhsa_uses_dynamic_stack 0
		.amdhsa_system_sgpr_private_segment_wavefront_offset 0
		.amdhsa_system_sgpr_workgroup_id_x 1
		.amdhsa_system_sgpr_workgroup_id_y 0
		.amdhsa_system_sgpr_workgroup_id_z 0
		.amdhsa_system_sgpr_workgroup_info 0
		.amdhsa_system_vgpr_workitem_id 0
		.amdhsa_next_free_vgpr 85
		.amdhsa_next_free_sgpr 98
		.amdhsa_reserve_vcc 1
		.amdhsa_reserve_flat_scratch 0
		.amdhsa_float_round_mode_32 0
		.amdhsa_float_round_mode_16_64 0
		.amdhsa_float_denorm_mode_32 3
		.amdhsa_float_denorm_mode_16_64 3
		.amdhsa_dx10_clamp 1
		.amdhsa_ieee_mode 1
		.amdhsa_fp16_overflow 0
		.amdhsa_exception_fp_ieee_invalid_op 0
		.amdhsa_exception_fp_denorm_src 0
		.amdhsa_exception_fp_ieee_div_zero 0
		.amdhsa_exception_fp_ieee_overflow 0
		.amdhsa_exception_fp_ieee_underflow 0
		.amdhsa_exception_fp_ieee_inexact 0
		.amdhsa_exception_int_div_zero 0
	.end_amdhsa_kernel
	.section	.text._ZN7rocprim17ROCPRIM_304000_NS6detail26onesweep_histograms_kernelINS1_34wrapped_radix_sort_onesweep_configINS0_14default_configEdN2at4cuda3cub6detail10OpaqueTypeILi8EEEEELb0EPKdmNS0_19identity_decomposerEEEvT1_PT2_SG_SG_T3_jj,"axG",@progbits,_ZN7rocprim17ROCPRIM_304000_NS6detail26onesweep_histograms_kernelINS1_34wrapped_radix_sort_onesweep_configINS0_14default_configEdN2at4cuda3cub6detail10OpaqueTypeILi8EEEEELb0EPKdmNS0_19identity_decomposerEEEvT1_PT2_SG_SG_T3_jj,comdat
.Lfunc_end155:
	.size	_ZN7rocprim17ROCPRIM_304000_NS6detail26onesweep_histograms_kernelINS1_34wrapped_radix_sort_onesweep_configINS0_14default_configEdN2at4cuda3cub6detail10OpaqueTypeILi8EEEEELb0EPKdmNS0_19identity_decomposerEEEvT1_PT2_SG_SG_T3_jj, .Lfunc_end155-_ZN7rocprim17ROCPRIM_304000_NS6detail26onesweep_histograms_kernelINS1_34wrapped_radix_sort_onesweep_configINS0_14default_configEdN2at4cuda3cub6detail10OpaqueTypeILi8EEEEELb0EPKdmNS0_19identity_decomposerEEEvT1_PT2_SG_SG_T3_jj
                                        ; -- End function
	.set _ZN7rocprim17ROCPRIM_304000_NS6detail26onesweep_histograms_kernelINS1_34wrapped_radix_sort_onesweep_configINS0_14default_configEdN2at4cuda3cub6detail10OpaqueTypeILi8EEEEELb0EPKdmNS0_19identity_decomposerEEEvT1_PT2_SG_SG_T3_jj.num_vgpr, 37
	.set _ZN7rocprim17ROCPRIM_304000_NS6detail26onesweep_histograms_kernelINS1_34wrapped_radix_sort_onesweep_configINS0_14default_configEdN2at4cuda3cub6detail10OpaqueTypeILi8EEEEELb0EPKdmNS0_19identity_decomposerEEEvT1_PT2_SG_SG_T3_jj.num_agpr, 0
	.set _ZN7rocprim17ROCPRIM_304000_NS6detail26onesweep_histograms_kernelINS1_34wrapped_radix_sort_onesweep_configINS0_14default_configEdN2at4cuda3cub6detail10OpaqueTypeILi8EEEEELb0EPKdmNS0_19identity_decomposerEEEvT1_PT2_SG_SG_T3_jj.numbered_sgpr, 39
	.set _ZN7rocprim17ROCPRIM_304000_NS6detail26onesweep_histograms_kernelINS1_34wrapped_radix_sort_onesweep_configINS0_14default_configEdN2at4cuda3cub6detail10OpaqueTypeILi8EEEEELb0EPKdmNS0_19identity_decomposerEEEvT1_PT2_SG_SG_T3_jj.num_named_barrier, 0
	.set _ZN7rocprim17ROCPRIM_304000_NS6detail26onesweep_histograms_kernelINS1_34wrapped_radix_sort_onesweep_configINS0_14default_configEdN2at4cuda3cub6detail10OpaqueTypeILi8EEEEELb0EPKdmNS0_19identity_decomposerEEEvT1_PT2_SG_SG_T3_jj.private_seg_size, 0
	.set _ZN7rocprim17ROCPRIM_304000_NS6detail26onesweep_histograms_kernelINS1_34wrapped_radix_sort_onesweep_configINS0_14default_configEdN2at4cuda3cub6detail10OpaqueTypeILi8EEEEELb0EPKdmNS0_19identity_decomposerEEEvT1_PT2_SG_SG_T3_jj.uses_vcc, 1
	.set _ZN7rocprim17ROCPRIM_304000_NS6detail26onesweep_histograms_kernelINS1_34wrapped_radix_sort_onesweep_configINS0_14default_configEdN2at4cuda3cub6detail10OpaqueTypeILi8EEEEELb0EPKdmNS0_19identity_decomposerEEEvT1_PT2_SG_SG_T3_jj.uses_flat_scratch, 0
	.set _ZN7rocprim17ROCPRIM_304000_NS6detail26onesweep_histograms_kernelINS1_34wrapped_radix_sort_onesweep_configINS0_14default_configEdN2at4cuda3cub6detail10OpaqueTypeILi8EEEEELb0EPKdmNS0_19identity_decomposerEEEvT1_PT2_SG_SG_T3_jj.has_dyn_sized_stack, 0
	.set _ZN7rocprim17ROCPRIM_304000_NS6detail26onesweep_histograms_kernelINS1_34wrapped_radix_sort_onesweep_configINS0_14default_configEdN2at4cuda3cub6detail10OpaqueTypeILi8EEEEELb0EPKdmNS0_19identity_decomposerEEEvT1_PT2_SG_SG_T3_jj.has_recursion, 0
	.set _ZN7rocprim17ROCPRIM_304000_NS6detail26onesweep_histograms_kernelINS1_34wrapped_radix_sort_onesweep_configINS0_14default_configEdN2at4cuda3cub6detail10OpaqueTypeILi8EEEEELb0EPKdmNS0_19identity_decomposerEEEvT1_PT2_SG_SG_T3_jj.has_indirect_call, 0
	.section	.AMDGPU.csdata,"",@progbits
; Kernel info:
; codeLenInByte = 7800
; TotalNumSgprs: 43
; NumVgprs: 37
; ScratchSize: 0
; MemoryBound: 0
; FloatMode: 240
; IeeeMode: 1
; LDSByteSize: 32768 bytes/workgroup (compile time only)
; SGPRBlocks: 12
; VGPRBlocks: 21
; NumSGPRsForWavesPerEU: 102
; NumVGPRsForWavesPerEU: 85
; Occupancy: 2
; WaveLimiterHint : 1
; COMPUTE_PGM_RSRC2:SCRATCH_EN: 0
; COMPUTE_PGM_RSRC2:USER_SGPR: 6
; COMPUTE_PGM_RSRC2:TRAP_HANDLER: 0
; COMPUTE_PGM_RSRC2:TGID_X_EN: 1
; COMPUTE_PGM_RSRC2:TGID_Y_EN: 0
; COMPUTE_PGM_RSRC2:TGID_Z_EN: 0
; COMPUTE_PGM_RSRC2:TIDIG_COMP_CNT: 0
	.section	.text._ZN7rocprim17ROCPRIM_304000_NS6detail25onesweep_iteration_kernelINS1_34wrapped_radix_sort_onesweep_configINS0_14default_configEdN2at4cuda3cub6detail10OpaqueTypeILi8EEEEELb0EPKdPdPKSA_PSA_mNS0_19identity_decomposerEEEvT1_T2_T3_T4_jPT5_SO_PNS1_23onesweep_lookback_stateET6_jjj,"axG",@progbits,_ZN7rocprim17ROCPRIM_304000_NS6detail25onesweep_iteration_kernelINS1_34wrapped_radix_sort_onesweep_configINS0_14default_configEdN2at4cuda3cub6detail10OpaqueTypeILi8EEEEELb0EPKdPdPKSA_PSA_mNS0_19identity_decomposerEEEvT1_T2_T3_T4_jPT5_SO_PNS1_23onesweep_lookback_stateET6_jjj,comdat
	.protected	_ZN7rocprim17ROCPRIM_304000_NS6detail25onesweep_iteration_kernelINS1_34wrapped_radix_sort_onesweep_configINS0_14default_configEdN2at4cuda3cub6detail10OpaqueTypeILi8EEEEELb0EPKdPdPKSA_PSA_mNS0_19identity_decomposerEEEvT1_T2_T3_T4_jPT5_SO_PNS1_23onesweep_lookback_stateET6_jjj ; -- Begin function _ZN7rocprim17ROCPRIM_304000_NS6detail25onesweep_iteration_kernelINS1_34wrapped_radix_sort_onesweep_configINS0_14default_configEdN2at4cuda3cub6detail10OpaqueTypeILi8EEEEELb0EPKdPdPKSA_PSA_mNS0_19identity_decomposerEEEvT1_T2_T3_T4_jPT5_SO_PNS1_23onesweep_lookback_stateET6_jjj
	.globl	_ZN7rocprim17ROCPRIM_304000_NS6detail25onesweep_iteration_kernelINS1_34wrapped_radix_sort_onesweep_configINS0_14default_configEdN2at4cuda3cub6detail10OpaqueTypeILi8EEEEELb0EPKdPdPKSA_PSA_mNS0_19identity_decomposerEEEvT1_T2_T3_T4_jPT5_SO_PNS1_23onesweep_lookback_stateET6_jjj
	.p2align	8
	.type	_ZN7rocprim17ROCPRIM_304000_NS6detail25onesweep_iteration_kernelINS1_34wrapped_radix_sort_onesweep_configINS0_14default_configEdN2at4cuda3cub6detail10OpaqueTypeILi8EEEEELb0EPKdPdPKSA_PSA_mNS0_19identity_decomposerEEEvT1_T2_T3_T4_jPT5_SO_PNS1_23onesweep_lookback_stateET6_jjj,@function
_ZN7rocprim17ROCPRIM_304000_NS6detail25onesweep_iteration_kernelINS1_34wrapped_radix_sort_onesweep_configINS0_14default_configEdN2at4cuda3cub6detail10OpaqueTypeILi8EEEEELb0EPKdPdPKSA_PSA_mNS0_19identity_decomposerEEEvT1_T2_T3_T4_jPT5_SO_PNS1_23onesweep_lookback_stateET6_jjj: ; @_ZN7rocprim17ROCPRIM_304000_NS6detail25onesweep_iteration_kernelINS1_34wrapped_radix_sort_onesweep_configINS0_14default_configEdN2at4cuda3cub6detail10OpaqueTypeILi8EEEEELb0EPKdPdPKSA_PSA_mNS0_19identity_decomposerEEEvT1_T2_T3_T4_jPT5_SO_PNS1_23onesweep_lookback_stateET6_jjj
; %bb.0:
	s_load_dwordx8 s[56:63], s[4:5], 0x0
	s_load_dwordx4 s[68:71], s[4:5], 0x44
	s_load_dwordx4 s[64:67], s[4:5], 0x28
	s_load_dwordx2 s[54:55], s[4:5], 0x38
	s_mov_b32 s7, s6
	s_mov_b64 s[0:1], -1
	s_waitcnt lgkmcnt(0)
	s_cmp_ge_u32 s6, s70
	s_mul_i32 s72, s6, 0xc00
	v_mbcnt_lo_u32_b32 v31, -1, 0
	s_cbranch_scc0 .LBB156_152
; %bb.1:
	s_load_dword s0, s[4:5], 0x20
	s_mul_i32 s74, s70, 0xfffff400
	s_mov_b32 s73, 0
	s_lshl_b64 s[70:71], s[72:73], 3
	v_mbcnt_hi_u32_b32 v34, -1, v31
	s_waitcnt lgkmcnt(0)
	s_add_i32 s74, s74, s0
	s_add_u32 s0, s56, s70
	s_addc_u32 s1, s57, s71
	v_and_b32_e32 v35, 0xc0, v0
	v_lshlrev_b32_e32 v32, 3, v34
	v_mul_u32_u24_e32 v3, 12, v35
	v_mov_b32_e32 v4, s1
	v_add_co_u32_e32 v5, vcc, s0, v32
	v_addc_co_u32_e32 v4, vcc, 0, v4, vcc
	v_lshlrev_b32_e32 v33, 3, v3
	v_add_co_u32_e32 v27, vcc, v5, v33
	v_mov_b32_e32 v5, -1
	v_addc_co_u32_e32 v28, vcc, 0, v4, vcc
	v_or_b32_e32 v29, v34, v3
	v_bfrev_b32_e32 v6, -2
	v_mov_b32_e32 v3, v5
	v_cmp_gt_u32_e64 s[0:1], s74, v29
	v_mov_b32_e32 v4, v6
	s_and_saveexec_b64 s[2:3], s[0:1]
	s_cbranch_execz .LBB156_3
; %bb.2:
	global_load_dwordx2 v[3:4], v[27:28], off
.LBB156_3:
	s_or_b64 exec, exec, s[2:3]
	v_add_u32_e32 v7, 64, v29
	v_cmp_gt_u32_e64 s[2:3], s74, v7
	s_and_saveexec_b64 s[8:9], s[2:3]
	s_cbranch_execz .LBB156_5
; %bb.4:
	global_load_dwordx2 v[5:6], v[27:28], off offset:512
.LBB156_5:
	s_or_b64 exec, exec, s[8:9]
	v_mov_b32_e32 v13, -1
	v_add_u32_e32 v7, 0x80, v29
	v_bfrev_b32_e32 v14, -2
	v_mov_b32_e32 v9, v13
	v_cmp_gt_u32_e64 s[52:53], s74, v7
	v_mov_b32_e32 v10, v14
	s_and_saveexec_b64 s[8:9], s[52:53]
	s_cbranch_execz .LBB156_7
; %bb.6:
	global_load_dwordx2 v[9:10], v[27:28], off offset:1024
.LBB156_7:
	s_or_b64 exec, exec, s[8:9]
	v_add_u32_e32 v7, 0xc0, v29
	v_cmp_gt_u32_e64 s[8:9], s74, v7
	s_and_saveexec_b64 s[10:11], s[8:9]
	s_cbranch_execz .LBB156_9
; %bb.8:
	global_load_dwordx2 v[13:14], v[27:28], off offset:1536
.LBB156_9:
	s_or_b64 exec, exec, s[10:11]
	v_mov_b32_e32 v23, -1
	v_add_u32_e32 v7, 0x100, v29
	v_bfrev_b32_e32 v24, -2
	v_mov_b32_e32 v17, v23
	v_cmp_gt_u32_e64 s[10:11], s74, v7
	v_mov_b32_e32 v18, v24
	s_and_saveexec_b64 s[12:13], s[10:11]
	s_cbranch_execz .LBB156_11
; %bb.10:
	global_load_dwordx2 v[17:18], v[27:28], off offset:2048
.LBB156_11:
	s_or_b64 exec, exec, s[12:13]
	v_add_u32_e32 v7, 0x140, v29
	v_cmp_gt_u32_e64 s[12:13], s74, v7
	s_and_saveexec_b64 s[14:15], s[12:13]
	s_cbranch_execz .LBB156_13
; %bb.12:
	global_load_dwordx2 v[23:24], v[27:28], off offset:2560
.LBB156_13:
	s_or_b64 exec, exec, s[14:15]
	v_bfrev_b32_e32 v22, -2
	v_add_u32_e32 v7, 0x180, v29
	v_mov_b32_e32 v21, -1
	v_mov_b32_e32 v26, v22
	v_cmp_gt_u32_e64 s[14:15], s74, v7
	v_mov_b32_e32 v25, v21
	s_and_saveexec_b64 s[16:17], s[14:15]
	s_cbranch_execz .LBB156_15
; %bb.14:
	global_load_dwordx2 v[25:26], v[27:28], off offset:3072
.LBB156_15:
	s_or_b64 exec, exec, s[16:17]
	v_add_u32_e32 v7, 0x1c0, v29
	v_cmp_gt_u32_e64 s[16:17], s74, v7
	s_and_saveexec_b64 s[18:19], s[16:17]
	s_cbranch_execz .LBB156_17
; %bb.16:
	global_load_dwordx2 v[21:22], v[27:28], off offset:3584
.LBB156_17:
	s_or_b64 exec, exec, s[18:19]
	v_bfrev_b32_e32 v16, -2
	v_add_u32_e32 v7, 0x200, v29
	v_mov_b32_e32 v15, -1
	v_mov_b32_e32 v20, v16
	v_cmp_gt_u32_e64 s[18:19], s74, v7
	v_mov_b32_e32 v19, v15
	s_and_saveexec_b64 s[20:21], s[18:19]
	s_cbranch_execz .LBB156_19
; %bb.18:
	v_add_co_u32_e32 v7, vcc, 0x1000, v27
	v_addc_co_u32_e32 v8, vcc, 0, v28, vcc
	global_load_dwordx2 v[19:20], v[7:8], off
.LBB156_19:
	s_or_b64 exec, exec, s[20:21]
	v_add_u32_e32 v7, 0x240, v29
	v_cmp_gt_u32_e64 s[20:21], s74, v7
	s_and_saveexec_b64 s[22:23], s[20:21]
	s_cbranch_execz .LBB156_21
; %bb.20:
	v_add_co_u32_e32 v7, vcc, 0x1000, v27
	v_addc_co_u32_e32 v8, vcc, 0, v28, vcc
	global_load_dwordx2 v[15:16], v[7:8], off offset:512
.LBB156_21:
	s_or_b64 exec, exec, s[22:23]
	v_add_u32_e32 v7, 0x280, v29
	v_bfrev_b32_e32 v8, -2
	v_cmp_gt_u32_e64 s[22:23], s74, v7
	v_mov_b32_e32 v7, -1
	v_mov_b32_e32 v12, v8
	v_mov_b32_e32 v11, v7
	s_and_saveexec_b64 s[24:25], s[22:23]
	s_cbranch_execz .LBB156_23
; %bb.22:
	v_add_co_u32_e32 v11, vcc, 0x1000, v27
	v_addc_co_u32_e32 v12, vcc, 0, v28, vcc
	global_load_dwordx2 v[11:12], v[11:12], off offset:1024
.LBB156_23:
	s_or_b64 exec, exec, s[24:25]
	v_add_u32_e32 v29, 0x2c0, v29
	s_mov_b32 s26, -1
	v_cmp_gt_u32_e64 s[24:25], s74, v29
	s_brev_b32 s27, -2
	s_and_saveexec_b64 s[28:29], s[24:25]
	s_cbranch_execz .LBB156_25
; %bb.24:
	v_add_co_u32_e32 v7, vcc, 0x1000, v27
	v_addc_co_u32_e32 v8, vcc, 0, v28, vcc
	global_load_dwordx2 v[7:8], v[7:8], off offset:1536
.LBB156_25:
	s_or_b64 exec, exec, s[28:29]
	s_load_dword s28, s[4:5], 0x5c
	s_load_dword s33, s[4:5], 0x50
	s_add_u32 s29, s4, 0x50
	s_addc_u32 s30, s5, 0
	v_mov_b32_e32 v27, 0
	s_waitcnt lgkmcnt(0)
	s_lshr_b32 s31, s28, 16
	s_cmp_lt_u32 s6, s33
	s_cselect_b32 s28, 12, 18
	s_add_u32 s28, s29, s28
	s_addc_u32 s29, s30, 0
	global_load_ushort v30, v27, s[28:29]
	s_waitcnt vmcnt(1)
	v_cmp_lt_i64_e32 vcc, -1, v[3:4]
	v_bfrev_b32_e32 v39, 1
	v_ashrrev_i32_e32 v28, 31, v4
	v_cndmask_b32_e32 v29, -1, v39, vcc
	v_xor_b32_e32 v3, v28, v3
	v_xor_b32_e32 v4, v29, v4
	v_cmp_ne_u64_e32 vcc, s[26:27], v[3:4]
	s_lshl_b32 s26, -1, s69
	v_cndmask_b32_e32 v29, v39, v4, vcc
	v_cndmask_b32_e32 v28, 0, v3, vcc
	v_lshrrev_b64 v[28:29], s68, v[28:29]
	s_not_b32 s73, s26
	v_and_b32_e32 v29, s73, v28
	v_and_b32_e32 v40, 1, v29
	v_add_co_u32_e32 v41, vcc, -1, v40
	v_lshlrev_b32_e32 v28, 30, v29
	v_addc_co_u32_e64 v42, s[26:27], 0, -1, vcc
	v_cmp_ne_u32_e32 vcc, 0, v40
	v_cmp_gt_i64_e64 s[26:27], 0, v[27:28]
	v_not_b32_e32 v40, v28
	v_lshlrev_b32_e32 v28, 29, v29
	v_xor_b32_e32 v42, vcc_hi, v42
	v_xor_b32_e32 v41, vcc_lo, v41
	v_ashrrev_i32_e32 v40, 31, v40
	v_cmp_gt_i64_e32 vcc, 0, v[27:28]
	v_not_b32_e32 v43, v28
	v_lshlrev_b32_e32 v28, 28, v29
	v_and_b32_e32 v42, exec_hi, v42
	v_and_b32_e32 v41, exec_lo, v41
	v_xor_b32_e32 v44, s27, v40
	v_xor_b32_e32 v40, s26, v40
	v_ashrrev_i32_e32 v43, 31, v43
	v_cmp_gt_i64_e64 s[26:27], 0, v[27:28]
	v_not_b32_e32 v45, v28
	v_lshlrev_b32_e32 v28, 27, v29
	v_and_b32_e32 v42, v42, v44
	v_and_b32_e32 v40, v41, v40
	v_xor_b32_e32 v41, vcc_hi, v43
	v_xor_b32_e32 v43, vcc_lo, v43
	v_ashrrev_i32_e32 v44, 31, v45
	v_cmp_gt_i64_e32 vcc, 0, v[27:28]
	v_not_b32_e32 v45, v28
	v_lshlrev_b32_e32 v28, 26, v29
	v_and_b32_e32 v41, v42, v41
	v_and_b32_e32 v40, v40, v43
	v_xor_b32_e32 v42, s27, v44
	v_xor_b32_e32 v43, s26, v44
	v_ashrrev_i32_e32 v44, 31, v45
	v_cmp_gt_i64_e64 s[26:27], 0, v[27:28]
	v_not_b32_e32 v45, v28
	v_lshlrev_b32_e32 v28, 25, v29
	v_and_b32_e32 v41, v41, v42
	v_and_b32_e32 v40, v40, v43
	v_xor_b32_e32 v42, vcc_hi, v44
	v_xor_b32_e32 v43, vcc_lo, v44
	v_ashrrev_i32_e32 v44, 31, v45
	v_mad_u32_u24 v37, v2, s31, v1
	v_mul_lo_u32 v38, v29, 20
	v_cmp_gt_i64_e32 vcc, 0, v[27:28]
	v_not_b32_e32 v45, v28
	v_lshlrev_b32_e32 v28, 24, v29
	v_and_b32_e32 v29, v41, v42
	v_xor_b32_e32 v41, s27, v44
	v_xor_b32_e32 v42, s26, v44
	v_and_b32_e32 v41, v29, v41
	v_and_b32_e32 v40, v40, v43
	v_ashrrev_i32_e32 v43, 31, v45
	v_and_b32_e32 v40, v40, v42
	v_xor_b32_e32 v42, vcc_hi, v43
	v_mul_u32_u24_e32 v36, 20, v0
	ds_write2_b32 v36, v27, v27 offset0:4 offset1:5
	ds_write2_b32 v36, v27, v27 offset0:6 offset1:7
	ds_write_b32 v36, v27 offset:32
	s_waitcnt vmcnt(0) lgkmcnt(0)
	s_barrier
	; wave barrier
	v_mad_u64_u32 v[29:30], s[26:27], v37, v30, v[0:1]
	v_xor_b32_e32 v30, vcc_lo, v43
	v_cmp_gt_i64_e32 vcc, 0, v[27:28]
	v_not_b32_e32 v28, v28
	v_ashrrev_i32_e32 v28, 31, v28
	v_and_b32_e32 v40, v40, v30
	v_lshrrev_b32_e32 v30, 6, v29
	v_xor_b32_e32 v29, vcc_hi, v28
	v_xor_b32_e32 v28, vcc_lo, v28
	v_and_b32_e32 v37, v41, v42
	v_and_b32_e32 v28, v40, v28
	;; [unrolled: 1-line block ×3, first 2 shown]
	v_mbcnt_lo_u32_b32 v37, v28, 0
	v_mbcnt_hi_u32_b32 v37, v29, v37
	v_cmp_ne_u64_e32 vcc, 0, v[28:29]
	v_cmp_eq_u32_e64 s[26:27], 0, v37
	v_lshl_add_u32 v38, v30, 2, v38
	s_and_b64 s[28:29], vcc, s[26:27]
	s_and_saveexec_b64 s[26:27], s[28:29]
; %bb.26:
	v_bcnt_u32_b32 v28, v28, 0
	v_bcnt_u32_b32 v28, v29, v28
	ds_write_b32 v38, v28 offset:16
; %bb.27:
	s_or_b64 exec, exec, s[26:27]
	v_cmp_lt_i64_e32 vcc, -1, v[5:6]
	s_mov_b32 s28, -1
	v_cndmask_b32_e32 v28, -1, v39, vcc
	v_ashrrev_i32_e32 v29, 31, v6
	s_brev_b32 s29, -2
	v_xor_b32_e32 v6, v28, v6
	v_xor_b32_e32 v5, v29, v5
	v_cmp_ne_u64_e32 vcc, s[28:29], v[5:6]
	v_cndmask_b32_e32 v29, v39, v6, vcc
	v_cndmask_b32_e32 v28, 0, v5, vcc
	v_lshrrev_b64 v[28:29], s68, v[28:29]
	; wave barrier
	v_and_b32_e32 v29, s73, v28
	v_mul_lo_u32 v28, v29, 20
	v_lshl_add_u32 v40, v30, 2, v28
	v_and_b32_e32 v28, 1, v29
	v_add_co_u32_e32 v41, vcc, -1, v28
	v_addc_co_u32_e64 v42, s[26:27], 0, -1, vcc
	v_cmp_ne_u32_e32 vcc, 0, v28
	v_xor_b32_e32 v28, vcc_hi, v42
	v_and_b32_e32 v42, exec_hi, v28
	v_lshlrev_b32_e32 v28, 30, v29
	v_xor_b32_e32 v41, vcc_lo, v41
	v_cmp_gt_i64_e32 vcc, 0, v[27:28]
	v_not_b32_e32 v28, v28
	v_ashrrev_i32_e32 v28, 31, v28
	v_and_b32_e32 v41, exec_lo, v41
	v_xor_b32_e32 v43, vcc_hi, v28
	v_xor_b32_e32 v28, vcc_lo, v28
	v_and_b32_e32 v41, v41, v28
	v_lshlrev_b32_e32 v28, 29, v29
	v_cmp_gt_i64_e32 vcc, 0, v[27:28]
	v_not_b32_e32 v28, v28
	v_ashrrev_i32_e32 v28, 31, v28
	v_and_b32_e32 v42, v42, v43
	v_xor_b32_e32 v43, vcc_hi, v28
	v_xor_b32_e32 v28, vcc_lo, v28
	v_and_b32_e32 v41, v41, v28
	v_lshlrev_b32_e32 v28, 28, v29
	v_cmp_gt_i64_e32 vcc, 0, v[27:28]
	v_not_b32_e32 v28, v28
	v_ashrrev_i32_e32 v28, 31, v28
	v_and_b32_e32 v42, v42, v43
	;; [unrolled: 8-line block ×5, first 2 shown]
	v_xor_b32_e32 v43, vcc_hi, v28
	v_xor_b32_e32 v28, vcc_lo, v28
	v_and_b32_e32 v41, v41, v28
	v_lshlrev_b32_e32 v28, 24, v29
	v_cmp_gt_i64_e32 vcc, 0, v[27:28]
	v_not_b32_e32 v27, v28
	v_ashrrev_i32_e32 v27, 31, v27
	v_xor_b32_e32 v28, vcc_hi, v27
	v_xor_b32_e32 v27, vcc_lo, v27
	ds_read_b32 v39, v40 offset:16
	v_and_b32_e32 v42, v42, v43
	v_and_b32_e32 v27, v41, v27
	;; [unrolled: 1-line block ×3, first 2 shown]
	v_mbcnt_lo_u32_b32 v29, v27, 0
	v_mbcnt_hi_u32_b32 v41, v28, v29
	v_cmp_ne_u64_e32 vcc, 0, v[27:28]
	v_cmp_eq_u32_e64 s[26:27], 0, v41
	s_and_b64 s[30:31], vcc, s[26:27]
	; wave barrier
	s_and_saveexec_b64 s[26:27], s[30:31]
	s_cbranch_execz .LBB156_29
; %bb.28:
	v_bcnt_u32_b32 v27, v27, 0
	v_bcnt_u32_b32 v27, v28, v27
	s_waitcnt lgkmcnt(0)
	v_add_u32_e32 v27, v39, v27
	ds_write_b32 v40, v27 offset:16
.LBB156_29:
	s_or_b64 exec, exec, s[26:27]
	v_cmp_lt_i64_e32 vcc, -1, v[9:10]
	v_bfrev_b32_e32 v45, 1
	v_cndmask_b32_e32 v27, -1, v45, vcc
	v_ashrrev_i32_e32 v28, 31, v10
	v_xor_b32_e32 v10, v27, v10
	v_xor_b32_e32 v9, v28, v9
	v_cmp_ne_u64_e32 vcc, s[28:29], v[9:10]
	v_cndmask_b32_e32 v28, v45, v10, vcc
	v_cndmask_b32_e32 v27, 0, v9, vcc
	v_lshrrev_b64 v[27:28], s68, v[27:28]
	; wave barrier
	v_and_b32_e32 v29, s73, v27
	v_mul_lo_u32 v27, v29, 20
	v_and_b32_e32 v28, 1, v29
	v_add_co_u32_e32 v44, vcc, -1, v28
	v_addc_co_u32_e64 v46, s[26:27], 0, -1, vcc
	v_cmp_ne_u32_e32 vcc, 0, v28
	v_xor_b32_e32 v28, vcc_hi, v46
	v_lshl_add_u32 v43, v30, 2, v27
	v_mov_b32_e32 v27, 0
	v_and_b32_e32 v46, exec_hi, v28
	v_lshlrev_b32_e32 v28, 30, v29
	v_xor_b32_e32 v44, vcc_lo, v44
	v_cmp_gt_i64_e32 vcc, 0, v[27:28]
	v_not_b32_e32 v28, v28
	v_ashrrev_i32_e32 v28, 31, v28
	v_and_b32_e32 v44, exec_lo, v44
	v_xor_b32_e32 v47, vcc_hi, v28
	v_xor_b32_e32 v28, vcc_lo, v28
	v_and_b32_e32 v44, v44, v28
	v_lshlrev_b32_e32 v28, 29, v29
	v_cmp_gt_i64_e32 vcc, 0, v[27:28]
	v_not_b32_e32 v28, v28
	v_ashrrev_i32_e32 v28, 31, v28
	v_and_b32_e32 v46, v46, v47
	v_xor_b32_e32 v47, vcc_hi, v28
	v_xor_b32_e32 v28, vcc_lo, v28
	v_and_b32_e32 v44, v44, v28
	v_lshlrev_b32_e32 v28, 28, v29
	v_cmp_gt_i64_e32 vcc, 0, v[27:28]
	v_not_b32_e32 v28, v28
	v_ashrrev_i32_e32 v28, 31, v28
	v_and_b32_e32 v46, v46, v47
	v_xor_b32_e32 v47, vcc_hi, v28
	v_xor_b32_e32 v28, vcc_lo, v28
	v_and_b32_e32 v44, v44, v28
	v_lshlrev_b32_e32 v28, 27, v29
	v_cmp_gt_i64_e32 vcc, 0, v[27:28]
	v_not_b32_e32 v28, v28
	v_ashrrev_i32_e32 v28, 31, v28
	v_and_b32_e32 v46, v46, v47
	v_xor_b32_e32 v47, vcc_hi, v28
	v_xor_b32_e32 v28, vcc_lo, v28
	v_and_b32_e32 v44, v44, v28
	v_lshlrev_b32_e32 v28, 26, v29
	v_cmp_gt_i64_e32 vcc, 0, v[27:28]
	v_not_b32_e32 v28, v28
	v_ashrrev_i32_e32 v28, 31, v28
	v_and_b32_e32 v46, v46, v47
	v_xor_b32_e32 v47, vcc_hi, v28
	v_xor_b32_e32 v28, vcc_lo, v28
	v_and_b32_e32 v44, v44, v28
	v_lshlrev_b32_e32 v28, 25, v29
	v_cmp_gt_i64_e32 vcc, 0, v[27:28]
	v_not_b32_e32 v28, v28
	v_ashrrev_i32_e32 v28, 31, v28
	v_and_b32_e32 v46, v46, v47
	v_xor_b32_e32 v47, vcc_hi, v28
	v_xor_b32_e32 v28, vcc_lo, v28
	v_and_b32_e32 v44, v44, v28
	v_lshlrev_b32_e32 v28, 24, v29
	v_cmp_gt_i64_e32 vcc, 0, v[27:28]
	v_not_b32_e32 v28, v28
	v_ashrrev_i32_e32 v28, 31, v28
	v_xor_b32_e32 v29, vcc_hi, v28
	v_xor_b32_e32 v28, vcc_lo, v28
	ds_read_b32 v42, v43 offset:16
	v_and_b32_e32 v46, v46, v47
	v_and_b32_e32 v28, v44, v28
	;; [unrolled: 1-line block ×3, first 2 shown]
	v_mbcnt_lo_u32_b32 v44, v28, 0
	v_mbcnt_hi_u32_b32 v44, v29, v44
	v_cmp_ne_u64_e32 vcc, 0, v[28:29]
	v_cmp_eq_u32_e64 s[26:27], 0, v44
	s_and_b64 s[28:29], vcc, s[26:27]
	; wave barrier
	s_and_saveexec_b64 s[26:27], s[28:29]
	s_cbranch_execz .LBB156_31
; %bb.30:
	v_bcnt_u32_b32 v28, v28, 0
	v_bcnt_u32_b32 v28, v29, v28
	s_waitcnt lgkmcnt(0)
	v_add_u32_e32 v28, v42, v28
	ds_write_b32 v43, v28 offset:16
.LBB156_31:
	s_or_b64 exec, exec, s[26:27]
	v_cmp_lt_i64_e32 vcc, -1, v[13:14]
	s_mov_b32 s28, -1
	v_cndmask_b32_e32 v28, -1, v45, vcc
	v_ashrrev_i32_e32 v29, 31, v14
	s_brev_b32 s29, -2
	v_xor_b32_e32 v14, v28, v14
	v_xor_b32_e32 v13, v29, v13
	v_cmp_ne_u64_e32 vcc, s[28:29], v[13:14]
	v_cndmask_b32_e32 v29, v45, v14, vcc
	v_cndmask_b32_e32 v28, 0, v13, vcc
	v_lshrrev_b64 v[28:29], s68, v[28:29]
	; wave barrier
	v_and_b32_e32 v29, s73, v28
	v_mul_lo_u32 v28, v29, 20
	v_lshl_add_u32 v46, v30, 2, v28
	v_and_b32_e32 v28, 1, v29
	v_add_co_u32_e32 v47, vcc, -1, v28
	v_addc_co_u32_e64 v48, s[26:27], 0, -1, vcc
	v_cmp_ne_u32_e32 vcc, 0, v28
	v_xor_b32_e32 v28, vcc_hi, v48
	v_and_b32_e32 v48, exec_hi, v28
	v_lshlrev_b32_e32 v28, 30, v29
	v_xor_b32_e32 v47, vcc_lo, v47
	v_cmp_gt_i64_e32 vcc, 0, v[27:28]
	v_not_b32_e32 v28, v28
	v_ashrrev_i32_e32 v28, 31, v28
	v_and_b32_e32 v47, exec_lo, v47
	v_xor_b32_e32 v49, vcc_hi, v28
	v_xor_b32_e32 v28, vcc_lo, v28
	v_and_b32_e32 v47, v47, v28
	v_lshlrev_b32_e32 v28, 29, v29
	v_cmp_gt_i64_e32 vcc, 0, v[27:28]
	v_not_b32_e32 v28, v28
	v_ashrrev_i32_e32 v28, 31, v28
	v_and_b32_e32 v48, v48, v49
	v_xor_b32_e32 v49, vcc_hi, v28
	v_xor_b32_e32 v28, vcc_lo, v28
	v_and_b32_e32 v47, v47, v28
	v_lshlrev_b32_e32 v28, 28, v29
	v_cmp_gt_i64_e32 vcc, 0, v[27:28]
	v_not_b32_e32 v28, v28
	v_ashrrev_i32_e32 v28, 31, v28
	v_and_b32_e32 v48, v48, v49
	;; [unrolled: 8-line block ×5, first 2 shown]
	v_xor_b32_e32 v49, vcc_hi, v28
	v_xor_b32_e32 v28, vcc_lo, v28
	v_and_b32_e32 v47, v47, v28
	v_lshlrev_b32_e32 v28, 24, v29
	v_cmp_gt_i64_e32 vcc, 0, v[27:28]
	v_not_b32_e32 v27, v28
	v_ashrrev_i32_e32 v27, 31, v27
	v_xor_b32_e32 v28, vcc_hi, v27
	v_xor_b32_e32 v27, vcc_lo, v27
	ds_read_b32 v45, v46 offset:16
	v_and_b32_e32 v48, v48, v49
	v_and_b32_e32 v27, v47, v27
	;; [unrolled: 1-line block ×3, first 2 shown]
	v_mbcnt_lo_u32_b32 v29, v27, 0
	v_mbcnt_hi_u32_b32 v47, v28, v29
	v_cmp_ne_u64_e32 vcc, 0, v[27:28]
	v_cmp_eq_u32_e64 s[26:27], 0, v47
	s_and_b64 s[30:31], vcc, s[26:27]
	; wave barrier
	s_and_saveexec_b64 s[26:27], s[30:31]
	s_cbranch_execz .LBB156_33
; %bb.32:
	v_bcnt_u32_b32 v27, v27, 0
	v_bcnt_u32_b32 v27, v28, v27
	s_waitcnt lgkmcnt(0)
	v_add_u32_e32 v27, v45, v27
	ds_write_b32 v46, v27 offset:16
.LBB156_33:
	s_or_b64 exec, exec, s[26:27]
	v_cmp_lt_i64_e32 vcc, -1, v[17:18]
	v_bfrev_b32_e32 v51, 1
	v_cndmask_b32_e32 v27, -1, v51, vcc
	v_ashrrev_i32_e32 v28, 31, v18
	v_xor_b32_e32 v18, v27, v18
	v_xor_b32_e32 v17, v28, v17
	v_cmp_ne_u64_e32 vcc, s[28:29], v[17:18]
	v_cndmask_b32_e32 v28, v51, v18, vcc
	v_cndmask_b32_e32 v27, 0, v17, vcc
	v_lshrrev_b64 v[27:28], s68, v[27:28]
	; wave barrier
	v_and_b32_e32 v29, s73, v27
	v_mul_lo_u32 v27, v29, 20
	v_and_b32_e32 v28, 1, v29
	v_add_co_u32_e32 v50, vcc, -1, v28
	v_addc_co_u32_e64 v52, s[26:27], 0, -1, vcc
	v_cmp_ne_u32_e32 vcc, 0, v28
	v_xor_b32_e32 v28, vcc_hi, v52
	v_lshl_add_u32 v49, v30, 2, v27
	v_mov_b32_e32 v27, 0
	v_and_b32_e32 v52, exec_hi, v28
	v_lshlrev_b32_e32 v28, 30, v29
	v_xor_b32_e32 v50, vcc_lo, v50
	v_cmp_gt_i64_e32 vcc, 0, v[27:28]
	v_not_b32_e32 v28, v28
	v_ashrrev_i32_e32 v28, 31, v28
	v_and_b32_e32 v50, exec_lo, v50
	v_xor_b32_e32 v53, vcc_hi, v28
	v_xor_b32_e32 v28, vcc_lo, v28
	v_and_b32_e32 v50, v50, v28
	v_lshlrev_b32_e32 v28, 29, v29
	v_cmp_gt_i64_e32 vcc, 0, v[27:28]
	v_not_b32_e32 v28, v28
	v_ashrrev_i32_e32 v28, 31, v28
	v_and_b32_e32 v52, v52, v53
	v_xor_b32_e32 v53, vcc_hi, v28
	v_xor_b32_e32 v28, vcc_lo, v28
	v_and_b32_e32 v50, v50, v28
	v_lshlrev_b32_e32 v28, 28, v29
	v_cmp_gt_i64_e32 vcc, 0, v[27:28]
	v_not_b32_e32 v28, v28
	v_ashrrev_i32_e32 v28, 31, v28
	v_and_b32_e32 v52, v52, v53
	;; [unrolled: 8-line block ×5, first 2 shown]
	v_xor_b32_e32 v53, vcc_hi, v28
	v_xor_b32_e32 v28, vcc_lo, v28
	v_and_b32_e32 v50, v50, v28
	v_lshlrev_b32_e32 v28, 24, v29
	v_cmp_gt_i64_e32 vcc, 0, v[27:28]
	v_not_b32_e32 v28, v28
	v_ashrrev_i32_e32 v28, 31, v28
	v_xor_b32_e32 v29, vcc_hi, v28
	v_xor_b32_e32 v28, vcc_lo, v28
	ds_read_b32 v48, v49 offset:16
	v_and_b32_e32 v52, v52, v53
	v_and_b32_e32 v28, v50, v28
	;; [unrolled: 1-line block ×3, first 2 shown]
	v_mbcnt_lo_u32_b32 v50, v28, 0
	v_mbcnt_hi_u32_b32 v50, v29, v50
	v_cmp_ne_u64_e32 vcc, 0, v[28:29]
	v_cmp_eq_u32_e64 s[26:27], 0, v50
	s_and_b64 s[28:29], vcc, s[26:27]
	; wave barrier
	s_and_saveexec_b64 s[26:27], s[28:29]
	s_cbranch_execz .LBB156_35
; %bb.34:
	v_bcnt_u32_b32 v28, v28, 0
	v_bcnt_u32_b32 v28, v29, v28
	s_waitcnt lgkmcnt(0)
	v_add_u32_e32 v28, v48, v28
	ds_write_b32 v49, v28 offset:16
.LBB156_35:
	s_or_b64 exec, exec, s[26:27]
	v_cmp_lt_i64_e32 vcc, -1, v[23:24]
	s_mov_b32 s28, -1
	v_cndmask_b32_e32 v28, -1, v51, vcc
	v_ashrrev_i32_e32 v29, 31, v24
	s_brev_b32 s29, -2
	v_xor_b32_e32 v24, v28, v24
	v_xor_b32_e32 v23, v29, v23
	v_cmp_ne_u64_e32 vcc, s[28:29], v[23:24]
	v_cndmask_b32_e32 v29, v51, v24, vcc
	v_cndmask_b32_e32 v28, 0, v23, vcc
	v_lshrrev_b64 v[28:29], s68, v[28:29]
	; wave barrier
	v_and_b32_e32 v29, s73, v28
	v_mul_lo_u32 v28, v29, 20
	v_lshl_add_u32 v52, v30, 2, v28
	v_and_b32_e32 v28, 1, v29
	v_add_co_u32_e32 v53, vcc, -1, v28
	v_addc_co_u32_e64 v54, s[26:27], 0, -1, vcc
	v_cmp_ne_u32_e32 vcc, 0, v28
	v_xor_b32_e32 v28, vcc_hi, v54
	v_and_b32_e32 v54, exec_hi, v28
	v_lshlrev_b32_e32 v28, 30, v29
	v_xor_b32_e32 v53, vcc_lo, v53
	v_cmp_gt_i64_e32 vcc, 0, v[27:28]
	v_not_b32_e32 v28, v28
	v_ashrrev_i32_e32 v28, 31, v28
	v_and_b32_e32 v53, exec_lo, v53
	v_xor_b32_e32 v55, vcc_hi, v28
	v_xor_b32_e32 v28, vcc_lo, v28
	v_and_b32_e32 v53, v53, v28
	v_lshlrev_b32_e32 v28, 29, v29
	v_cmp_gt_i64_e32 vcc, 0, v[27:28]
	v_not_b32_e32 v28, v28
	v_ashrrev_i32_e32 v28, 31, v28
	v_and_b32_e32 v54, v54, v55
	v_xor_b32_e32 v55, vcc_hi, v28
	v_xor_b32_e32 v28, vcc_lo, v28
	v_and_b32_e32 v53, v53, v28
	v_lshlrev_b32_e32 v28, 28, v29
	v_cmp_gt_i64_e32 vcc, 0, v[27:28]
	v_not_b32_e32 v28, v28
	v_ashrrev_i32_e32 v28, 31, v28
	v_and_b32_e32 v54, v54, v55
	v_xor_b32_e32 v55, vcc_hi, v28
	v_xor_b32_e32 v28, vcc_lo, v28
	v_and_b32_e32 v53, v53, v28
	v_lshlrev_b32_e32 v28, 27, v29
	v_cmp_gt_i64_e32 vcc, 0, v[27:28]
	v_not_b32_e32 v28, v28
	v_ashrrev_i32_e32 v28, 31, v28
	v_and_b32_e32 v54, v54, v55
	v_xor_b32_e32 v55, vcc_hi, v28
	v_xor_b32_e32 v28, vcc_lo, v28
	v_and_b32_e32 v53, v53, v28
	v_lshlrev_b32_e32 v28, 26, v29
	v_cmp_gt_i64_e32 vcc, 0, v[27:28]
	v_not_b32_e32 v28, v28
	v_ashrrev_i32_e32 v28, 31, v28
	v_and_b32_e32 v54, v54, v55
	v_xor_b32_e32 v55, vcc_hi, v28
	v_xor_b32_e32 v28, vcc_lo, v28
	v_and_b32_e32 v53, v53, v28
	v_lshlrev_b32_e32 v28, 25, v29
	v_cmp_gt_i64_e32 vcc, 0, v[27:28]
	v_not_b32_e32 v28, v28
	v_ashrrev_i32_e32 v28, 31, v28
	v_and_b32_e32 v54, v54, v55
	v_xor_b32_e32 v55, vcc_hi, v28
	v_xor_b32_e32 v28, vcc_lo, v28
	v_and_b32_e32 v53, v53, v28
	v_lshlrev_b32_e32 v28, 24, v29
	v_cmp_gt_i64_e32 vcc, 0, v[27:28]
	v_not_b32_e32 v27, v28
	v_ashrrev_i32_e32 v27, 31, v27
	v_xor_b32_e32 v28, vcc_hi, v27
	v_xor_b32_e32 v27, vcc_lo, v27
	ds_read_b32 v51, v52 offset:16
	v_and_b32_e32 v54, v54, v55
	v_and_b32_e32 v27, v53, v27
	;; [unrolled: 1-line block ×3, first 2 shown]
	v_mbcnt_lo_u32_b32 v29, v27, 0
	v_mbcnt_hi_u32_b32 v53, v28, v29
	v_cmp_ne_u64_e32 vcc, 0, v[27:28]
	v_cmp_eq_u32_e64 s[26:27], 0, v53
	s_and_b64 s[30:31], vcc, s[26:27]
	; wave barrier
	s_and_saveexec_b64 s[26:27], s[30:31]
	s_cbranch_execz .LBB156_37
; %bb.36:
	v_bcnt_u32_b32 v27, v27, 0
	v_bcnt_u32_b32 v27, v28, v27
	s_waitcnt lgkmcnt(0)
	v_add_u32_e32 v27, v51, v27
	ds_write_b32 v52, v27 offset:16
.LBB156_37:
	s_or_b64 exec, exec, s[26:27]
	v_cmp_lt_i64_e32 vcc, -1, v[25:26]
	v_bfrev_b32_e32 v57, 1
	v_cndmask_b32_e32 v27, -1, v57, vcc
	v_ashrrev_i32_e32 v28, 31, v26
	v_xor_b32_e32 v26, v27, v26
	v_xor_b32_e32 v25, v28, v25
	v_cmp_ne_u64_e32 vcc, s[28:29], v[25:26]
	v_cndmask_b32_e32 v28, v57, v26, vcc
	v_cndmask_b32_e32 v27, 0, v25, vcc
	v_lshrrev_b64 v[27:28], s68, v[27:28]
	; wave barrier
	v_and_b32_e32 v29, s73, v27
	v_mul_lo_u32 v27, v29, 20
	v_and_b32_e32 v28, 1, v29
	v_add_co_u32_e32 v56, vcc, -1, v28
	v_addc_co_u32_e64 v58, s[26:27], 0, -1, vcc
	v_cmp_ne_u32_e32 vcc, 0, v28
	v_xor_b32_e32 v28, vcc_hi, v58
	v_lshl_add_u32 v55, v30, 2, v27
	v_mov_b32_e32 v27, 0
	v_and_b32_e32 v58, exec_hi, v28
	v_lshlrev_b32_e32 v28, 30, v29
	v_xor_b32_e32 v56, vcc_lo, v56
	v_cmp_gt_i64_e32 vcc, 0, v[27:28]
	v_not_b32_e32 v28, v28
	v_ashrrev_i32_e32 v28, 31, v28
	v_and_b32_e32 v56, exec_lo, v56
	v_xor_b32_e32 v59, vcc_hi, v28
	v_xor_b32_e32 v28, vcc_lo, v28
	v_and_b32_e32 v56, v56, v28
	v_lshlrev_b32_e32 v28, 29, v29
	v_cmp_gt_i64_e32 vcc, 0, v[27:28]
	v_not_b32_e32 v28, v28
	v_ashrrev_i32_e32 v28, 31, v28
	v_and_b32_e32 v58, v58, v59
	v_xor_b32_e32 v59, vcc_hi, v28
	v_xor_b32_e32 v28, vcc_lo, v28
	v_and_b32_e32 v56, v56, v28
	v_lshlrev_b32_e32 v28, 28, v29
	v_cmp_gt_i64_e32 vcc, 0, v[27:28]
	v_not_b32_e32 v28, v28
	v_ashrrev_i32_e32 v28, 31, v28
	v_and_b32_e32 v58, v58, v59
	;; [unrolled: 8-line block ×5, first 2 shown]
	v_xor_b32_e32 v59, vcc_hi, v28
	v_xor_b32_e32 v28, vcc_lo, v28
	v_and_b32_e32 v56, v56, v28
	v_lshlrev_b32_e32 v28, 24, v29
	v_cmp_gt_i64_e32 vcc, 0, v[27:28]
	v_not_b32_e32 v28, v28
	v_ashrrev_i32_e32 v28, 31, v28
	v_xor_b32_e32 v29, vcc_hi, v28
	v_xor_b32_e32 v28, vcc_lo, v28
	ds_read_b32 v54, v55 offset:16
	v_and_b32_e32 v58, v58, v59
	v_and_b32_e32 v28, v56, v28
	;; [unrolled: 1-line block ×3, first 2 shown]
	v_mbcnt_lo_u32_b32 v56, v28, 0
	v_mbcnt_hi_u32_b32 v56, v29, v56
	v_cmp_ne_u64_e32 vcc, 0, v[28:29]
	v_cmp_eq_u32_e64 s[26:27], 0, v56
	s_and_b64 s[28:29], vcc, s[26:27]
	; wave barrier
	s_and_saveexec_b64 s[26:27], s[28:29]
	s_cbranch_execz .LBB156_39
; %bb.38:
	v_bcnt_u32_b32 v28, v28, 0
	v_bcnt_u32_b32 v28, v29, v28
	s_waitcnt lgkmcnt(0)
	v_add_u32_e32 v28, v54, v28
	ds_write_b32 v55, v28 offset:16
.LBB156_39:
	s_or_b64 exec, exec, s[26:27]
	v_cmp_lt_i64_e32 vcc, -1, v[21:22]
	s_mov_b32 s28, -1
	v_cndmask_b32_e32 v28, -1, v57, vcc
	v_ashrrev_i32_e32 v29, 31, v22
	s_brev_b32 s29, -2
	v_xor_b32_e32 v22, v28, v22
	v_xor_b32_e32 v21, v29, v21
	v_cmp_ne_u64_e32 vcc, s[28:29], v[21:22]
	v_cndmask_b32_e32 v29, v57, v22, vcc
	v_cndmask_b32_e32 v28, 0, v21, vcc
	v_lshrrev_b64 v[28:29], s68, v[28:29]
	; wave barrier
	v_and_b32_e32 v29, s73, v28
	v_mul_lo_u32 v28, v29, 20
	v_lshl_add_u32 v58, v30, 2, v28
	v_and_b32_e32 v28, 1, v29
	v_add_co_u32_e32 v59, vcc, -1, v28
	v_addc_co_u32_e64 v60, s[26:27], 0, -1, vcc
	v_cmp_ne_u32_e32 vcc, 0, v28
	v_xor_b32_e32 v28, vcc_hi, v60
	v_and_b32_e32 v60, exec_hi, v28
	v_lshlrev_b32_e32 v28, 30, v29
	v_xor_b32_e32 v59, vcc_lo, v59
	v_cmp_gt_i64_e32 vcc, 0, v[27:28]
	v_not_b32_e32 v28, v28
	v_ashrrev_i32_e32 v28, 31, v28
	v_and_b32_e32 v59, exec_lo, v59
	v_xor_b32_e32 v61, vcc_hi, v28
	v_xor_b32_e32 v28, vcc_lo, v28
	v_and_b32_e32 v59, v59, v28
	v_lshlrev_b32_e32 v28, 29, v29
	v_cmp_gt_i64_e32 vcc, 0, v[27:28]
	v_not_b32_e32 v28, v28
	v_ashrrev_i32_e32 v28, 31, v28
	v_and_b32_e32 v60, v60, v61
	v_xor_b32_e32 v61, vcc_hi, v28
	v_xor_b32_e32 v28, vcc_lo, v28
	v_and_b32_e32 v59, v59, v28
	v_lshlrev_b32_e32 v28, 28, v29
	v_cmp_gt_i64_e32 vcc, 0, v[27:28]
	v_not_b32_e32 v28, v28
	v_ashrrev_i32_e32 v28, 31, v28
	v_and_b32_e32 v60, v60, v61
	;; [unrolled: 8-line block ×5, first 2 shown]
	v_xor_b32_e32 v61, vcc_hi, v28
	v_xor_b32_e32 v28, vcc_lo, v28
	v_and_b32_e32 v59, v59, v28
	v_lshlrev_b32_e32 v28, 24, v29
	v_cmp_gt_i64_e32 vcc, 0, v[27:28]
	v_not_b32_e32 v27, v28
	v_ashrrev_i32_e32 v27, 31, v27
	v_xor_b32_e32 v28, vcc_hi, v27
	v_xor_b32_e32 v27, vcc_lo, v27
	ds_read_b32 v57, v58 offset:16
	v_and_b32_e32 v60, v60, v61
	v_and_b32_e32 v27, v59, v27
	v_and_b32_e32 v28, v60, v28
	v_mbcnt_lo_u32_b32 v29, v27, 0
	v_mbcnt_hi_u32_b32 v59, v28, v29
	v_cmp_ne_u64_e32 vcc, 0, v[27:28]
	v_cmp_eq_u32_e64 s[26:27], 0, v59
	s_and_b64 s[30:31], vcc, s[26:27]
	; wave barrier
	s_and_saveexec_b64 s[26:27], s[30:31]
	s_cbranch_execz .LBB156_41
; %bb.40:
	v_bcnt_u32_b32 v27, v27, 0
	v_bcnt_u32_b32 v27, v28, v27
	s_waitcnt lgkmcnt(0)
	v_add_u32_e32 v27, v57, v27
	ds_write_b32 v58, v27 offset:16
.LBB156_41:
	s_or_b64 exec, exec, s[26:27]
	v_cmp_lt_i64_e32 vcc, -1, v[19:20]
	v_bfrev_b32_e32 v63, 1
	v_cndmask_b32_e32 v27, -1, v63, vcc
	v_ashrrev_i32_e32 v28, 31, v20
	v_xor_b32_e32 v20, v27, v20
	v_xor_b32_e32 v19, v28, v19
	v_cmp_ne_u64_e32 vcc, s[28:29], v[19:20]
	v_cndmask_b32_e32 v28, v63, v20, vcc
	v_cndmask_b32_e32 v27, 0, v19, vcc
	v_lshrrev_b64 v[27:28], s68, v[27:28]
	; wave barrier
	v_and_b32_e32 v29, s73, v27
	v_mul_lo_u32 v27, v29, 20
	v_and_b32_e32 v28, 1, v29
	v_add_co_u32_e32 v62, vcc, -1, v28
	v_addc_co_u32_e64 v64, s[26:27], 0, -1, vcc
	v_cmp_ne_u32_e32 vcc, 0, v28
	v_xor_b32_e32 v28, vcc_hi, v64
	v_lshl_add_u32 v61, v30, 2, v27
	v_mov_b32_e32 v27, 0
	v_and_b32_e32 v64, exec_hi, v28
	v_lshlrev_b32_e32 v28, 30, v29
	v_xor_b32_e32 v62, vcc_lo, v62
	v_cmp_gt_i64_e32 vcc, 0, v[27:28]
	v_not_b32_e32 v28, v28
	v_ashrrev_i32_e32 v28, 31, v28
	v_and_b32_e32 v62, exec_lo, v62
	v_xor_b32_e32 v65, vcc_hi, v28
	v_xor_b32_e32 v28, vcc_lo, v28
	v_and_b32_e32 v62, v62, v28
	v_lshlrev_b32_e32 v28, 29, v29
	v_cmp_gt_i64_e32 vcc, 0, v[27:28]
	v_not_b32_e32 v28, v28
	v_ashrrev_i32_e32 v28, 31, v28
	v_and_b32_e32 v64, v64, v65
	v_xor_b32_e32 v65, vcc_hi, v28
	v_xor_b32_e32 v28, vcc_lo, v28
	v_and_b32_e32 v62, v62, v28
	v_lshlrev_b32_e32 v28, 28, v29
	v_cmp_gt_i64_e32 vcc, 0, v[27:28]
	v_not_b32_e32 v28, v28
	v_ashrrev_i32_e32 v28, 31, v28
	v_and_b32_e32 v64, v64, v65
	;; [unrolled: 8-line block ×5, first 2 shown]
	v_xor_b32_e32 v65, vcc_hi, v28
	v_xor_b32_e32 v28, vcc_lo, v28
	v_and_b32_e32 v62, v62, v28
	v_lshlrev_b32_e32 v28, 24, v29
	v_cmp_gt_i64_e32 vcc, 0, v[27:28]
	v_not_b32_e32 v28, v28
	v_ashrrev_i32_e32 v28, 31, v28
	v_xor_b32_e32 v29, vcc_hi, v28
	v_xor_b32_e32 v28, vcc_lo, v28
	ds_read_b32 v60, v61 offset:16
	v_and_b32_e32 v64, v64, v65
	v_and_b32_e32 v28, v62, v28
	v_and_b32_e32 v29, v64, v29
	v_mbcnt_lo_u32_b32 v62, v28, 0
	v_mbcnt_hi_u32_b32 v62, v29, v62
	v_cmp_ne_u64_e32 vcc, 0, v[28:29]
	v_cmp_eq_u32_e64 s[26:27], 0, v62
	s_and_b64 s[28:29], vcc, s[26:27]
	; wave barrier
	s_and_saveexec_b64 s[26:27], s[28:29]
	s_cbranch_execz .LBB156_43
; %bb.42:
	v_bcnt_u32_b32 v28, v28, 0
	v_bcnt_u32_b32 v28, v29, v28
	s_waitcnt lgkmcnt(0)
	v_add_u32_e32 v28, v60, v28
	ds_write_b32 v61, v28 offset:16
.LBB156_43:
	s_or_b64 exec, exec, s[26:27]
	v_cmp_lt_i64_e32 vcc, -1, v[15:16]
	s_mov_b32 s28, -1
	v_cndmask_b32_e32 v28, -1, v63, vcc
	v_ashrrev_i32_e32 v29, 31, v16
	s_brev_b32 s29, -2
	v_xor_b32_e32 v16, v28, v16
	v_xor_b32_e32 v15, v29, v15
	v_cmp_ne_u64_e32 vcc, s[28:29], v[15:16]
	v_cndmask_b32_e32 v29, v63, v16, vcc
	v_cndmask_b32_e32 v28, 0, v15, vcc
	v_lshrrev_b64 v[28:29], s68, v[28:29]
	; wave barrier
	v_and_b32_e32 v29, s73, v28
	v_mul_lo_u32 v28, v29, 20
	v_lshl_add_u32 v64, v30, 2, v28
	v_and_b32_e32 v28, 1, v29
	v_add_co_u32_e32 v65, vcc, -1, v28
	v_addc_co_u32_e64 v66, s[26:27], 0, -1, vcc
	v_cmp_ne_u32_e32 vcc, 0, v28
	v_xor_b32_e32 v28, vcc_hi, v66
	v_and_b32_e32 v66, exec_hi, v28
	v_lshlrev_b32_e32 v28, 30, v29
	v_xor_b32_e32 v65, vcc_lo, v65
	v_cmp_gt_i64_e32 vcc, 0, v[27:28]
	v_not_b32_e32 v28, v28
	v_ashrrev_i32_e32 v28, 31, v28
	v_and_b32_e32 v65, exec_lo, v65
	v_xor_b32_e32 v67, vcc_hi, v28
	v_xor_b32_e32 v28, vcc_lo, v28
	v_and_b32_e32 v65, v65, v28
	v_lshlrev_b32_e32 v28, 29, v29
	v_cmp_gt_i64_e32 vcc, 0, v[27:28]
	v_not_b32_e32 v28, v28
	v_ashrrev_i32_e32 v28, 31, v28
	v_and_b32_e32 v66, v66, v67
	v_xor_b32_e32 v67, vcc_hi, v28
	v_xor_b32_e32 v28, vcc_lo, v28
	v_and_b32_e32 v65, v65, v28
	v_lshlrev_b32_e32 v28, 28, v29
	v_cmp_gt_i64_e32 vcc, 0, v[27:28]
	v_not_b32_e32 v28, v28
	v_ashrrev_i32_e32 v28, 31, v28
	v_and_b32_e32 v66, v66, v67
	;; [unrolled: 8-line block ×5, first 2 shown]
	v_xor_b32_e32 v67, vcc_hi, v28
	v_xor_b32_e32 v28, vcc_lo, v28
	v_and_b32_e32 v65, v65, v28
	v_lshlrev_b32_e32 v28, 24, v29
	v_cmp_gt_i64_e32 vcc, 0, v[27:28]
	v_not_b32_e32 v27, v28
	v_ashrrev_i32_e32 v27, 31, v27
	v_xor_b32_e32 v28, vcc_hi, v27
	v_xor_b32_e32 v27, vcc_lo, v27
	ds_read_b32 v63, v64 offset:16
	v_and_b32_e32 v66, v66, v67
	v_and_b32_e32 v27, v65, v27
	v_and_b32_e32 v28, v66, v28
	v_mbcnt_lo_u32_b32 v29, v27, 0
	v_mbcnt_hi_u32_b32 v65, v28, v29
	v_cmp_ne_u64_e32 vcc, 0, v[27:28]
	v_cmp_eq_u32_e64 s[26:27], 0, v65
	s_and_b64 s[30:31], vcc, s[26:27]
	; wave barrier
	s_and_saveexec_b64 s[26:27], s[30:31]
	s_cbranch_execz .LBB156_45
; %bb.44:
	v_bcnt_u32_b32 v27, v27, 0
	v_bcnt_u32_b32 v27, v28, v27
	s_waitcnt lgkmcnt(0)
	v_add_u32_e32 v27, v63, v27
	ds_write_b32 v64, v27 offset:16
.LBB156_45:
	s_or_b64 exec, exec, s[26:27]
	v_cmp_lt_i64_e32 vcc, -1, v[11:12]
	v_bfrev_b32_e32 v69, 1
	v_cndmask_b32_e32 v27, -1, v69, vcc
	v_ashrrev_i32_e32 v28, 31, v12
	v_xor_b32_e32 v12, v27, v12
	v_xor_b32_e32 v11, v28, v11
	v_cmp_ne_u64_e32 vcc, s[28:29], v[11:12]
	v_cndmask_b32_e32 v28, v69, v12, vcc
	v_cndmask_b32_e32 v27, 0, v11, vcc
	v_lshrrev_b64 v[27:28], s68, v[27:28]
	; wave barrier
	v_and_b32_e32 v29, s73, v27
	v_mul_lo_u32 v27, v29, 20
	v_and_b32_e32 v28, 1, v29
	v_add_co_u32_e32 v68, vcc, -1, v28
	v_addc_co_u32_e64 v70, s[26:27], 0, -1, vcc
	v_cmp_ne_u32_e32 vcc, 0, v28
	v_xor_b32_e32 v28, vcc_hi, v70
	v_lshl_add_u32 v67, v30, 2, v27
	v_mov_b32_e32 v27, 0
	v_and_b32_e32 v70, exec_hi, v28
	v_lshlrev_b32_e32 v28, 30, v29
	v_xor_b32_e32 v68, vcc_lo, v68
	v_cmp_gt_i64_e32 vcc, 0, v[27:28]
	v_not_b32_e32 v28, v28
	v_ashrrev_i32_e32 v28, 31, v28
	v_and_b32_e32 v68, exec_lo, v68
	v_xor_b32_e32 v71, vcc_hi, v28
	v_xor_b32_e32 v28, vcc_lo, v28
	v_and_b32_e32 v68, v68, v28
	v_lshlrev_b32_e32 v28, 29, v29
	v_cmp_gt_i64_e32 vcc, 0, v[27:28]
	v_not_b32_e32 v28, v28
	v_ashrrev_i32_e32 v28, 31, v28
	v_and_b32_e32 v70, v70, v71
	v_xor_b32_e32 v71, vcc_hi, v28
	v_xor_b32_e32 v28, vcc_lo, v28
	v_and_b32_e32 v68, v68, v28
	v_lshlrev_b32_e32 v28, 28, v29
	v_cmp_gt_i64_e32 vcc, 0, v[27:28]
	v_not_b32_e32 v28, v28
	v_ashrrev_i32_e32 v28, 31, v28
	v_and_b32_e32 v70, v70, v71
	;; [unrolled: 8-line block ×5, first 2 shown]
	v_xor_b32_e32 v71, vcc_hi, v28
	v_xor_b32_e32 v28, vcc_lo, v28
	v_and_b32_e32 v68, v68, v28
	v_lshlrev_b32_e32 v28, 24, v29
	v_cmp_gt_i64_e32 vcc, 0, v[27:28]
	v_not_b32_e32 v28, v28
	v_ashrrev_i32_e32 v28, 31, v28
	v_xor_b32_e32 v29, vcc_hi, v28
	v_xor_b32_e32 v28, vcc_lo, v28
	ds_read_b32 v66, v67 offset:16
	v_and_b32_e32 v70, v70, v71
	v_and_b32_e32 v28, v68, v28
	;; [unrolled: 1-line block ×3, first 2 shown]
	v_mbcnt_lo_u32_b32 v68, v28, 0
	v_mbcnt_hi_u32_b32 v68, v29, v68
	v_cmp_ne_u64_e32 vcc, 0, v[28:29]
	v_cmp_eq_u32_e64 s[26:27], 0, v68
	s_and_b64 s[28:29], vcc, s[26:27]
	; wave barrier
	s_and_saveexec_b64 s[26:27], s[28:29]
	s_cbranch_execz .LBB156_47
; %bb.46:
	v_bcnt_u32_b32 v28, v28, 0
	v_bcnt_u32_b32 v28, v29, v28
	s_waitcnt lgkmcnt(0)
	v_add_u32_e32 v28, v66, v28
	ds_write_b32 v67, v28 offset:16
.LBB156_47:
	s_or_b64 exec, exec, s[26:27]
	v_cmp_lt_i64_e32 vcc, -1, v[7:8]
	s_mov_b32 s26, -1
	v_cndmask_b32_e32 v28, -1, v69, vcc
	v_ashrrev_i32_e32 v29, 31, v8
	s_brev_b32 s27, -2
	v_xor_b32_e32 v8, v28, v8
	v_xor_b32_e32 v7, v29, v7
	v_cmp_ne_u64_e32 vcc, s[26:27], v[7:8]
	v_cndmask_b32_e32 v29, v69, v8, vcc
	v_cndmask_b32_e32 v28, 0, v7, vcc
	v_lshrrev_b64 v[28:29], s68, v[28:29]
	; wave barrier
	v_and_b32_e32 v29, s73, v28
	v_mul_lo_u32 v28, v29, 20
	v_lshl_add_u32 v70, v30, 2, v28
	v_and_b32_e32 v28, 1, v29
	v_add_co_u32_e32 v30, vcc, -1, v28
	v_addc_co_u32_e64 v71, s[26:27], 0, -1, vcc
	v_cmp_ne_u32_e32 vcc, 0, v28
	v_xor_b32_e32 v28, vcc_hi, v71
	v_and_b32_e32 v71, exec_hi, v28
	v_lshlrev_b32_e32 v28, 30, v29
	v_xor_b32_e32 v30, vcc_lo, v30
	v_cmp_gt_i64_e32 vcc, 0, v[27:28]
	v_not_b32_e32 v28, v28
	v_ashrrev_i32_e32 v28, 31, v28
	v_and_b32_e32 v30, exec_lo, v30
	v_xor_b32_e32 v72, vcc_hi, v28
	v_xor_b32_e32 v28, vcc_lo, v28
	v_and_b32_e32 v30, v30, v28
	v_lshlrev_b32_e32 v28, 29, v29
	v_cmp_gt_i64_e32 vcc, 0, v[27:28]
	v_not_b32_e32 v28, v28
	v_ashrrev_i32_e32 v28, 31, v28
	v_and_b32_e32 v71, v71, v72
	v_xor_b32_e32 v72, vcc_hi, v28
	v_xor_b32_e32 v28, vcc_lo, v28
	v_and_b32_e32 v30, v30, v28
	v_lshlrev_b32_e32 v28, 28, v29
	v_cmp_gt_i64_e32 vcc, 0, v[27:28]
	v_not_b32_e32 v28, v28
	v_ashrrev_i32_e32 v28, 31, v28
	v_and_b32_e32 v71, v71, v72
	;; [unrolled: 8-line block ×5, first 2 shown]
	v_xor_b32_e32 v72, vcc_hi, v28
	v_xor_b32_e32 v28, vcc_lo, v28
	v_and_b32_e32 v30, v30, v28
	v_lshlrev_b32_e32 v28, 24, v29
	v_cmp_gt_i64_e32 vcc, 0, v[27:28]
	v_not_b32_e32 v27, v28
	v_ashrrev_i32_e32 v27, 31, v27
	v_xor_b32_e32 v28, vcc_hi, v27
	v_xor_b32_e32 v27, vcc_lo, v27
	ds_read_b32 v69, v70 offset:16
	v_and_b32_e32 v71, v71, v72
	v_and_b32_e32 v27, v30, v27
	;; [unrolled: 1-line block ×3, first 2 shown]
	v_mbcnt_lo_u32_b32 v29, v27, 0
	v_mbcnt_hi_u32_b32 v71, v28, v29
	v_cmp_ne_u64_e32 vcc, 0, v[27:28]
	v_cmp_eq_u32_e64 s[26:27], 0, v71
	s_and_b64 s[28:29], vcc, s[26:27]
	; wave barrier
	s_and_saveexec_b64 s[26:27], s[28:29]
	s_cbranch_execz .LBB156_49
; %bb.48:
	v_bcnt_u32_b32 v27, v27, 0
	v_bcnt_u32_b32 v27, v28, v27
	s_waitcnt lgkmcnt(0)
	v_add_u32_e32 v27, v69, v27
	ds_write_b32 v70, v27 offset:16
.LBB156_49:
	s_or_b64 exec, exec, s[26:27]
	; wave barrier
	s_waitcnt lgkmcnt(0)
	s_barrier
	ds_read2_b32 v[29:30], v36 offset0:4 offset1:5
	ds_read2_b32 v[27:28], v36 offset0:6 offset1:7
	ds_read_b32 v72, v36 offset:32
	v_min_u32_e32 v35, 0xc0, v35
	v_or_b32_e32 v35, 63, v35
	s_waitcnt lgkmcnt(1)
	v_add3_u32 v73, v30, v29, v27
	s_waitcnt lgkmcnt(0)
	v_add3_u32 v72, v73, v28, v72
	v_and_b32_e32 v73, 15, v34
	v_cmp_ne_u32_e32 vcc, 0, v73
	v_mov_b32_dpp v74, v72 row_shr:1 row_mask:0xf bank_mask:0xf
	v_cndmask_b32_e32 v74, 0, v74, vcc
	v_add_u32_e32 v72, v74, v72
	v_cmp_lt_u32_e32 vcc, 1, v73
	s_nop 0
	v_mov_b32_dpp v74, v72 row_shr:2 row_mask:0xf bank_mask:0xf
	v_cndmask_b32_e32 v74, 0, v74, vcc
	v_add_u32_e32 v72, v72, v74
	v_cmp_lt_u32_e32 vcc, 3, v73
	s_nop 0
	;; [unrolled: 5-line block ×3, first 2 shown]
	v_mov_b32_dpp v74, v72 row_shr:8 row_mask:0xf bank_mask:0xf
	v_cndmask_b32_e32 v73, 0, v74, vcc
	v_add_u32_e32 v72, v72, v73
	v_bfe_i32 v74, v34, 4, 1
	v_cmp_lt_u32_e32 vcc, 31, v34
	v_mov_b32_dpp v73, v72 row_bcast:15 row_mask:0xf bank_mask:0xf
	v_and_b32_e32 v73, v74, v73
	v_add_u32_e32 v72, v72, v73
	s_nop 1
	v_mov_b32_dpp v73, v72 row_bcast:31 row_mask:0xf bank_mask:0xf
	v_cndmask_b32_e32 v73, 0, v73, vcc
	v_add_u32_e32 v72, v72, v73
	v_lshrrev_b32_e32 v73, 6, v0
	v_cmp_eq_u32_e32 vcc, v0, v35
	s_and_saveexec_b64 s[26:27], vcc
; %bb.50:
	v_lshlrev_b32_e32 v35, 2, v73
	ds_write_b32 v35, v72
; %bb.51:
	s_or_b64 exec, exec, s[26:27]
	v_cmp_gt_u32_e32 vcc, 4, v0
	s_waitcnt lgkmcnt(0)
	s_barrier
	s_and_saveexec_b64 s[26:27], vcc
	s_cbranch_execz .LBB156_53
; %bb.52:
	v_lshlrev_b32_e32 v35, 2, v0
	ds_read_b32 v74, v35
	v_and_b32_e32 v75, 3, v34
	v_cmp_ne_u32_e32 vcc, 0, v75
	s_waitcnt lgkmcnt(0)
	v_mov_b32_dpp v76, v74 row_shr:1 row_mask:0xf bank_mask:0xf
	v_cndmask_b32_e32 v76, 0, v76, vcc
	v_add_u32_e32 v74, v76, v74
	v_cmp_lt_u32_e32 vcc, 1, v75
	s_nop 0
	v_mov_b32_dpp v76, v74 row_shr:2 row_mask:0xf bank_mask:0xf
	v_cndmask_b32_e32 v75, 0, v76, vcc
	v_add_u32_e32 v74, v74, v75
	ds_write_b32 v35, v74
.LBB156_53:
	s_or_b64 exec, exec, s[26:27]
	v_cmp_lt_u32_e32 vcc, 63, v0
	v_mov_b32_e32 v35, 0
	s_waitcnt lgkmcnt(0)
	s_barrier
	s_and_saveexec_b64 s[26:27], vcc
; %bb.54:
	v_lshl_add_u32 v35, v73, 2, -4
	ds_read_b32 v35, v35
; %bb.55:
	s_or_b64 exec, exec, s[26:27]
	v_add_u32_e32 v73, -1, v34
	v_and_b32_e32 v74, 64, v34
	v_cmp_lt_i32_e32 vcc, v73, v74
	v_cndmask_b32_e32 v73, v73, v34, vcc
	s_waitcnt lgkmcnt(0)
	v_add_u32_e32 v72, v35, v72
	v_lshlrev_b32_e32 v73, 2, v73
	ds_bpermute_b32 v72, v73, v72
	v_cmp_eq_u32_e32 vcc, 0, v34
	s_movk_i32 s26, 0x100
	s_waitcnt lgkmcnt(0)
	v_cndmask_b32_e32 v34, v72, v35, vcc
	v_cmp_ne_u32_e32 vcc, 0, v0
	v_cndmask_b32_e32 v34, 0, v34, vcc
	v_add_u32_e32 v29, v34, v29
	v_add_u32_e32 v30, v29, v30
	;; [unrolled: 1-line block ×4, first 2 shown]
	ds_write2_b32 v36, v34, v29 offset0:4 offset1:5
	ds_write2_b32 v36, v30, v27 offset0:6 offset1:7
	ds_write_b32 v36, v28 offset:32
	s_waitcnt lgkmcnt(0)
	s_barrier
	ds_read_b32 v58, v58 offset:16
	ds_read_b32 v34, v61 offset:16
	;; [unrolled: 1-line block ×13, first 2 shown]
	v_add_u32_e32 v36, 1, v0
	v_cmp_ne_u32_e32 vcc, s26, v36
	v_mov_b32_e32 v49, 0xc00
	s_and_saveexec_b64 s[26:27], vcc
; %bb.56:
	v_mul_u32_u24_e32 v36, 20, v36
	ds_read_b32 v49, v36 offset:16
; %bb.57:
	s_or_b64 exec, exec, s[26:27]
	v_lshlrev_b32_e32 v36, 3, v37
	s_waitcnt lgkmcnt(7)
	v_lshl_add_u32 v35, v35, 3, v36
	s_waitcnt lgkmcnt(0)
	s_barrier
	ds_write_b64 v35, v[3:4] offset:2048
	v_lshlrev_b32_e32 v3, 3, v64
	v_lshlrev_b32_e32 v4, 3, v41
	;; [unrolled: 1-line block ×3, first 2 shown]
	v_add3_u32 v36, v3, v4, v36
	ds_write_b64 v36, v[5:6] offset:2048
	v_lshlrev_b32_e32 v3, 3, v61
	v_lshlrev_b32_e32 v4, 3, v44
	v_lshlrev_b32_e32 v5, 3, v42
	v_add3_u32 v37, v3, v4, v5
	v_lshlrev_b32_e32 v3, 3, v38
	v_lshlrev_b32_e32 v4, 3, v47
	v_lshlrev_b32_e32 v5, 3, v45
	v_add3_u32 v38, v3, v4, v5
	;; [unrolled: 4-line block ×10, first 2 shown]
	v_lshl_or_b32 v3, s6, 8, v0
	v_mov_b32_e32 v4, 0
	v_lshlrev_b64 v[5:6], 2, v[3:4]
	ds_write_b64 v37, v[9:10] offset:2048
	v_sub_u32_e32 v30, v49, v29
	v_mov_b32_e32 v9, s55
	v_add_co_u32_e32 v5, vcc, s54, v5
	v_addc_co_u32_e32 v6, vcc, v9, v6, vcc
	v_or_b32_e32 v3, 2.0, v30
	s_mov_b64 s[26:27], 0
	s_brev_b32 s34, -4
	s_mov_b32 s35, s7
	v_mov_b32_e32 v10, 0
	ds_write_b64 v38, v[13:14] offset:2048
	ds_write_b64 v39, v[17:18] offset:2048
	;; [unrolled: 1-line block ×9, first 2 shown]
	s_waitcnt lgkmcnt(0)
	s_barrier
	global_store_dword v[5:6], v3, off
                                        ; implicit-def: $sgpr28_sgpr29
	s_branch .LBB156_60
.LBB156_58:                             ;   in Loop: Header=BB156_60 Depth=1
	s_or_b64 exec, exec, s[30:31]
.LBB156_59:                             ;   in Loop: Header=BB156_60 Depth=1
	s_or_b64 exec, exec, s[28:29]
	v_and_b32_e32 v7, 0x3fffffff, v3
	v_add_u32_e32 v10, v7, v10
	v_cmp_gt_i32_e64 s[28:29], -2.0, v3
	s_and_b64 s[30:31], exec, s[28:29]
	s_or_b64 s[26:27], s[30:31], s[26:27]
	s_andn2_b64 exec, exec, s[26:27]
	s_cbranch_execz .LBB156_65
.LBB156_60:                             ; =>This Loop Header: Depth=1
                                        ;     Child Loop BB156_63 Depth 2
	s_or_b64 s[28:29], s[28:29], exec
	s_cmp_eq_u32 s35, 0
	s_cbranch_scc1 .LBB156_64
; %bb.61:                               ;   in Loop: Header=BB156_60 Depth=1
	s_add_i32 s35, s35, -1
	v_lshl_or_b32 v3, s35, 8, v0
	v_lshlrev_b64 v[7:8], 2, v[3:4]
	v_add_co_u32_e32 v7, vcc, s54, v7
	v_addc_co_u32_e32 v8, vcc, v9, v8, vcc
	global_load_dword v3, v[7:8], off glc
	s_waitcnt vmcnt(0)
	v_cmp_gt_u32_e32 vcc, 2.0, v3
	s_and_saveexec_b64 s[28:29], vcc
	s_cbranch_execz .LBB156_59
; %bb.62:                               ;   in Loop: Header=BB156_60 Depth=1
	s_mov_b64 s[30:31], 0
.LBB156_63:                             ;   Parent Loop BB156_60 Depth=1
                                        ; =>  This Inner Loop Header: Depth=2
	global_load_dword v3, v[7:8], off glc
	s_waitcnt vmcnt(0)
	v_cmp_lt_u32_e32 vcc, s34, v3
	s_or_b64 s[30:31], vcc, s[30:31]
	s_andn2_b64 exec, exec, s[30:31]
	s_cbranch_execnz .LBB156_63
	s_branch .LBB156_58
.LBB156_64:                             ;   in Loop: Header=BB156_60 Depth=1
                                        ; implicit-def: $sgpr35
	s_and_b64 s[30:31], exec, s[28:29]
	s_or_b64 s[26:27], s[30:31], s[26:27]
	s_andn2_b64 exec, exec, s[26:27]
	s_cbranch_execnz .LBB156_60
.LBB156_65:
	s_or_b64 exec, exec, s[26:27]
	v_add_u32_e32 v3, v10, v30
	v_or_b32_e32 v3, 0x80000000, v3
	v_lshlrev_b32_e32 v34, 3, v0
	global_store_dword v[5:6], v3, off
	global_load_dwordx2 v[3:4], v34, s[64:65]
	v_sub_co_u32_e32 v5, vcc, v10, v29
	v_subb_co_u32_e64 v6, s[26:27], 0, 0, vcc
	v_cmp_gt_u32_e64 s[26:27], s74, v0
	s_waitcnt vmcnt(0)
	v_add_co_u32_e32 v3, vcc, v5, v3
	v_addc_co_u32_e32 v4, vcc, v6, v4, vcc
	ds_write_b64 v34, v[3:4]
	s_waitcnt lgkmcnt(0)
	s_barrier
	s_and_saveexec_b64 s[28:29], s[26:27]
	s_cbranch_execz .LBB156_67
; %bb.66:
	ds_read_b64 v[3:4], v34 offset:2048
	s_mov_b32 s30, -1
	s_brev_b32 s31, -2
	v_bfrev_b32_e32 v7, 1
	s_waitcnt lgkmcnt(0)
	v_cmp_ne_u64_e32 vcc, s[30:31], v[3:4]
	v_ashrrev_i32_e32 v8, 31, v4
	v_cndmask_b32_e32 v6, v7, v4, vcc
	v_cndmask_b32_e32 v5, 0, v3, vcc
	v_lshrrev_b64 v[5:6], s68, v[5:6]
	v_cmp_lt_i64_e32 vcc, -1, v[3:4]
	v_and_b32_e32 v5, s73, v5
	v_lshlrev_b32_e32 v5, 3, v5
	ds_read_b64 v[5:6], v5
	v_cndmask_b32_e64 v7, v7, -1, vcc
	v_xor_b32_e32 v4, v7, v4
	v_mov_b32_e32 v7, s59
	v_not_b32_e32 v8, v8
	s_waitcnt lgkmcnt(0)
	v_lshlrev_b64 v[5:6], 3, v[5:6]
	v_xor_b32_e32 v3, v8, v3
	v_add_co_u32_e32 v5, vcc, s58, v5
	v_addc_co_u32_e32 v6, vcc, v7, v6, vcc
	v_add_co_u32_e32 v5, vcc, v5, v34
	v_addc_co_u32_e32 v6, vcc, 0, v6, vcc
	global_store_dwordx2 v[5:6], v[3:4], off
.LBB156_67:
	s_or_b64 exec, exec, s[28:29]
	v_or_b32_e32 v3, 0x100, v0
	v_cmp_gt_u32_e64 s[28:29], s74, v3
	s_and_saveexec_b64 s[30:31], s[28:29]
	s_cbranch_execz .LBB156_69
; %bb.68:
	ds_read_b64 v[3:4], v34 offset:4096
	s_mov_b32 s34, -1
	s_brev_b32 s35, -2
	v_bfrev_b32_e32 v7, 1
	s_waitcnt lgkmcnt(0)
	v_cmp_ne_u64_e32 vcc, s[34:35], v[3:4]
	v_ashrrev_i32_e32 v8, 31, v4
	v_cndmask_b32_e32 v6, v7, v4, vcc
	v_cndmask_b32_e32 v5, 0, v3, vcc
	v_lshrrev_b64 v[5:6], s68, v[5:6]
	v_cmp_lt_i64_e32 vcc, -1, v[3:4]
	v_and_b32_e32 v5, s73, v5
	v_lshlrev_b32_e32 v5, 3, v5
	ds_read_b64 v[5:6], v5
	v_cndmask_b32_e64 v7, v7, -1, vcc
	v_xor_b32_e32 v4, v7, v4
	v_mov_b32_e32 v7, s59
	v_not_b32_e32 v8, v8
	s_waitcnt lgkmcnt(0)
	v_lshlrev_b64 v[5:6], 3, v[5:6]
	v_xor_b32_e32 v3, v8, v3
	v_add_co_u32_e32 v5, vcc, s58, v5
	v_addc_co_u32_e32 v6, vcc, v7, v6, vcc
	v_add_co_u32_e32 v5, vcc, v5, v34
	v_addc_co_u32_e32 v6, vcc, 0, v6, vcc
	global_store_dwordx2 v[5:6], v[3:4], off offset:2048
.LBB156_69:
	s_or_b64 exec, exec, s[30:31]
	v_or_b32_e32 v47, 0x200, v0
	v_cmp_gt_u32_e64 s[30:31], s74, v47
	s_and_saveexec_b64 s[34:35], s[30:31]
	s_cbranch_execz .LBB156_71
; %bb.70:
	ds_read_b64 v[3:4], v34 offset:6144
	s_mov_b32 s36, -1
	s_brev_b32 s37, -2
	v_bfrev_b32_e32 v7, 1
	s_waitcnt lgkmcnt(0)
	v_cmp_ne_u64_e32 vcc, s[36:37], v[3:4]
	v_ashrrev_i32_e32 v8, 31, v4
	v_cndmask_b32_e32 v6, v7, v4, vcc
	v_cndmask_b32_e32 v5, 0, v3, vcc
	v_lshrrev_b64 v[5:6], s68, v[5:6]
	v_cmp_lt_i64_e32 vcc, -1, v[3:4]
	v_and_b32_e32 v5, s73, v5
	v_lshlrev_b32_e32 v5, 3, v5
	ds_read_b64 v[5:6], v5
	v_cndmask_b32_e64 v7, v7, -1, vcc
	v_xor_b32_e32 v4, v7, v4
	v_mov_b32_e32 v7, s59
	v_not_b32_e32 v8, v8
	s_waitcnt lgkmcnt(0)
	v_lshlrev_b64 v[5:6], 3, v[5:6]
	v_xor_b32_e32 v3, v8, v3
	v_add_co_u32_e32 v5, vcc, s58, v5
	v_addc_co_u32_e32 v6, vcc, v7, v6, vcc
	v_lshlrev_b32_e32 v7, 3, v47
	v_add_co_u32_e32 v5, vcc, v5, v7
	v_addc_co_u32_e32 v6, vcc, 0, v6, vcc
	global_store_dwordx2 v[5:6], v[3:4], off
.LBB156_71:
	s_or_b64 exec, exec, s[34:35]
	v_or_b32_e32 v48, 0x300, v0
	v_cmp_gt_u32_e64 s[34:35], s74, v48
	s_and_saveexec_b64 s[36:37], s[34:35]
	s_cbranch_execz .LBB156_73
; %bb.72:
	ds_read_b64 v[3:4], v34 offset:8192
	s_mov_b32 s38, -1
	s_brev_b32 s39, -2
	v_bfrev_b32_e32 v7, 1
	s_waitcnt lgkmcnt(0)
	v_cmp_ne_u64_e32 vcc, s[38:39], v[3:4]
	v_ashrrev_i32_e32 v8, 31, v4
	v_cndmask_b32_e32 v6, v7, v4, vcc
	v_cndmask_b32_e32 v5, 0, v3, vcc
	v_lshrrev_b64 v[5:6], s68, v[5:6]
	v_cmp_lt_i64_e32 vcc, -1, v[3:4]
	v_and_b32_e32 v5, s73, v5
	v_lshlrev_b32_e32 v5, 3, v5
	ds_read_b64 v[5:6], v5
	v_cndmask_b32_e64 v7, v7, -1, vcc
	v_xor_b32_e32 v4, v7, v4
	v_mov_b32_e32 v7, s59
	v_not_b32_e32 v8, v8
	s_waitcnt lgkmcnt(0)
	v_lshlrev_b64 v[5:6], 3, v[5:6]
	v_xor_b32_e32 v3, v8, v3
	v_add_co_u32_e32 v5, vcc, s58, v5
	v_addc_co_u32_e32 v6, vcc, v7, v6, vcc
	v_lshlrev_b32_e32 v7, 3, v48
	v_add_co_u32_e32 v5, vcc, v5, v7
	v_addc_co_u32_e32 v6, vcc, 0, v6, vcc
	global_store_dwordx2 v[5:6], v[3:4], off
.LBB156_73:
	;; [unrolled: 34-line block ×10, first 2 shown]
	s_or_b64 exec, exec, s[74:75]
	s_add_u32 s70, s60, s70
	s_addc_u32 s71, s61, s71
	v_mov_b32_e32 v3, s71
	v_add_co_u32_e32 v4, vcc, s70, v32
	v_addc_co_u32_e32 v3, vcc, 0, v3, vcc
	v_add_co_u32_e32 v27, vcc, v4, v33
	v_addc_co_u32_e32 v28, vcc, 0, v3, vcc
                                        ; implicit-def: $vgpr3_vgpr4
	s_and_saveexec_b64 s[70:71], s[0:1]
	s_xor_b64 s[0:1], exec, s[70:71]
	s_cbranch_execz .LBB156_101
; %bb.90:
	global_load_dwordx2 v[3:4], v[27:28], off
	s_or_b64 exec, exec, s[0:1]
                                        ; implicit-def: $vgpr5_vgpr6
	s_and_saveexec_b64 s[0:1], s[2:3]
	s_cbranch_execnz .LBB156_102
.LBB156_91:
	s_or_b64 exec, exec, s[0:1]
                                        ; implicit-def: $vgpr7_vgpr8
	s_and_saveexec_b64 s[0:1], s[52:53]
	s_cbranch_execz .LBB156_103
.LBB156_92:
	global_load_dwordx2 v[7:8], v[27:28], off offset:1024
	s_or_b64 exec, exec, s[0:1]
                                        ; implicit-def: $vgpr9_vgpr10
	s_and_saveexec_b64 s[0:1], s[8:9]
	s_cbranch_execnz .LBB156_104
.LBB156_93:
	s_or_b64 exec, exec, s[0:1]
                                        ; implicit-def: $vgpr11_vgpr12
	s_and_saveexec_b64 s[0:1], s[10:11]
	s_cbranch_execz .LBB156_105
.LBB156_94:
	global_load_dwordx2 v[11:12], v[27:28], off offset:2048
	s_or_b64 exec, exec, s[0:1]
                                        ; implicit-def: $vgpr13_vgpr14
	s_and_saveexec_b64 s[0:1], s[12:13]
	s_cbranch_execnz .LBB156_106
.LBB156_95:
	s_or_b64 exec, exec, s[0:1]
                                        ; implicit-def: $vgpr15_vgpr16
	s_and_saveexec_b64 s[0:1], s[14:15]
	s_cbranch_execz .LBB156_107
.LBB156_96:
	global_load_dwordx2 v[15:16], v[27:28], off offset:3072
	s_or_b64 exec, exec, s[0:1]
                                        ; implicit-def: $vgpr17_vgpr18
	s_and_saveexec_b64 s[0:1], s[16:17]
	s_cbranch_execnz .LBB156_108
.LBB156_97:
	s_or_b64 exec, exec, s[0:1]
                                        ; implicit-def: $vgpr19_vgpr20
	s_and_saveexec_b64 s[0:1], s[18:19]
	s_cbranch_execz .LBB156_109
.LBB156_98:
	v_add_co_u32_e32 v19, vcc, 0x1000, v27
	v_addc_co_u32_e32 v20, vcc, 0, v28, vcc
	global_load_dwordx2 v[19:20], v[19:20], off
	s_or_b64 exec, exec, s[0:1]
                                        ; implicit-def: $vgpr21_vgpr22
	s_and_saveexec_b64 s[0:1], s[20:21]
	s_cbranch_execnz .LBB156_110
.LBB156_99:
	s_or_b64 exec, exec, s[0:1]
                                        ; implicit-def: $vgpr23_vgpr24
	s_and_saveexec_b64 s[0:1], s[22:23]
	s_cbranch_execz .LBB156_111
.LBB156_100:
	v_add_co_u32_e32 v23, vcc, 0x1000, v27
	v_addc_co_u32_e32 v24, vcc, 0, v28, vcc
	global_load_dwordx2 v[23:24], v[23:24], off offset:1024
	s_or_b64 exec, exec, s[0:1]
                                        ; implicit-def: $vgpr25_vgpr26
	s_and_saveexec_b64 s[0:1], s[24:25]
	s_cbranch_execnz .LBB156_112
	s_branch .LBB156_113
.LBB156_101:
	s_or_b64 exec, exec, s[0:1]
                                        ; implicit-def: $vgpr5_vgpr6
	s_and_saveexec_b64 s[0:1], s[2:3]
	s_cbranch_execz .LBB156_91
.LBB156_102:
	global_load_dwordx2 v[5:6], v[27:28], off offset:512
	s_or_b64 exec, exec, s[0:1]
                                        ; implicit-def: $vgpr7_vgpr8
	s_and_saveexec_b64 s[0:1], s[52:53]
	s_cbranch_execnz .LBB156_92
.LBB156_103:
	s_or_b64 exec, exec, s[0:1]
                                        ; implicit-def: $vgpr9_vgpr10
	s_and_saveexec_b64 s[0:1], s[8:9]
	s_cbranch_execz .LBB156_93
.LBB156_104:
	global_load_dwordx2 v[9:10], v[27:28], off offset:1536
	s_or_b64 exec, exec, s[0:1]
                                        ; implicit-def: $vgpr11_vgpr12
	s_and_saveexec_b64 s[0:1], s[10:11]
	s_cbranch_execnz .LBB156_94
.LBB156_105:
	s_or_b64 exec, exec, s[0:1]
                                        ; implicit-def: $vgpr13_vgpr14
	s_and_saveexec_b64 s[0:1], s[12:13]
	s_cbranch_execz .LBB156_95
.LBB156_106:
	global_load_dwordx2 v[13:14], v[27:28], off offset:2560
	s_or_b64 exec, exec, s[0:1]
                                        ; implicit-def: $vgpr15_vgpr16
	s_and_saveexec_b64 s[0:1], s[14:15]
	s_cbranch_execnz .LBB156_96
.LBB156_107:
	s_or_b64 exec, exec, s[0:1]
                                        ; implicit-def: $vgpr17_vgpr18
	s_and_saveexec_b64 s[0:1], s[16:17]
	s_cbranch_execz .LBB156_97
.LBB156_108:
	global_load_dwordx2 v[17:18], v[27:28], off offset:3584
	s_or_b64 exec, exec, s[0:1]
                                        ; implicit-def: $vgpr19_vgpr20
	s_and_saveexec_b64 s[0:1], s[18:19]
	s_cbranch_execnz .LBB156_98
.LBB156_109:
	s_or_b64 exec, exec, s[0:1]
                                        ; implicit-def: $vgpr21_vgpr22
	s_and_saveexec_b64 s[0:1], s[20:21]
	s_cbranch_execz .LBB156_99
.LBB156_110:
	v_add_co_u32_e32 v21, vcc, 0x1000, v27
	v_addc_co_u32_e32 v22, vcc, 0, v28, vcc
	global_load_dwordx2 v[21:22], v[21:22], off offset:512
	s_or_b64 exec, exec, s[0:1]
                                        ; implicit-def: $vgpr23_vgpr24
	s_and_saveexec_b64 s[0:1], s[22:23]
	s_cbranch_execnz .LBB156_100
.LBB156_111:
	s_or_b64 exec, exec, s[0:1]
                                        ; implicit-def: $vgpr25_vgpr26
	s_and_saveexec_b64 s[0:1], s[24:25]
	s_cbranch_execz .LBB156_113
.LBB156_112:
	v_add_co_u32_e32 v25, vcc, 0x1000, v27
	v_addc_co_u32_e32 v26, vcc, 0, v28, vcc
	global_load_dwordx2 v[25:26], v[25:26], off offset:1536
.LBB156_113:
	s_or_b64 exec, exec, s[0:1]
	v_mov_b32_e32 v27, 0
	v_mov_b32_e32 v58, 0
	s_and_saveexec_b64 s[0:1], s[26:27]
	s_cbranch_execz .LBB156_115
; %bb.114:
	ds_read_b64 v[32:33], v34 offset:2048
	s_mov_b32 s2, -1
	s_brev_b32 s3, -2
	v_bfrev_b32_e32 v28, 1
	s_waitcnt lgkmcnt(0)
	v_cmp_ne_u64_e32 vcc, s[2:3], v[32:33]
	v_cndmask_b32_e32 v33, v28, v33, vcc
	v_cndmask_b32_e32 v32, 0, v32, vcc
	v_lshrrev_b64 v[32:33], s68, v[32:33]
	v_and_b32_e32 v58, s73, v32
.LBB156_115:
	s_or_b64 exec, exec, s[0:1]
	s_and_saveexec_b64 s[0:1], s[28:29]
	s_cbranch_execz .LBB156_117
; %bb.116:
	ds_read_b64 v[27:28], v34 offset:4096
	s_mov_b32 s2, -1
	s_brev_b32 s3, -2
	v_bfrev_b32_e32 v32, 1
	s_waitcnt lgkmcnt(0)
	v_cmp_ne_u64_e32 vcc, s[2:3], v[27:28]
	v_cndmask_b32_e32 v28, v32, v28, vcc
	v_cndmask_b32_e32 v27, 0, v27, vcc
	v_lshrrev_b64 v[27:28], s68, v[27:28]
	v_and_b32_e32 v27, s73, v27
.LBB156_117:
	s_or_b64 exec, exec, s[0:1]
	v_mov_b32_e32 v28, 0
	v_mov_b32_e32 v60, 0
	s_and_saveexec_b64 s[0:1], s[30:31]
	s_cbranch_execz .LBB156_119
; %bb.118:
	ds_read_b64 v[32:33], v34 offset:6144
	s_mov_b32 s2, -1
	s_brev_b32 s3, -2
	v_bfrev_b32_e32 v57, 1
	s_waitcnt lgkmcnt(0)
	v_cmp_ne_u64_e32 vcc, s[2:3], v[32:33]
	v_cndmask_b32_e32 v33, v57, v33, vcc
	v_cndmask_b32_e32 v32, 0, v32, vcc
	v_lshrrev_b64 v[32:33], s68, v[32:33]
	v_and_b32_e32 v60, s73, v32
.LBB156_119:
	s_or_b64 exec, exec, s[0:1]
	s_and_saveexec_b64 s[0:1], s[34:35]
	s_cbranch_execz .LBB156_121
; %bb.120:
	ds_read_b64 v[32:33], v34 offset:8192
	s_mov_b32 s2, -1
	s_brev_b32 s3, -2
	v_bfrev_b32_e32 v28, 1
	s_waitcnt lgkmcnt(0)
	v_cmp_ne_u64_e32 vcc, s[2:3], v[32:33]
	v_cndmask_b32_e32 v33, v28, v33, vcc
	v_cndmask_b32_e32 v32, 0, v32, vcc
	v_lshrrev_b64 v[32:33], s68, v[32:33]
	v_and_b32_e32 v28, s73, v32
.LBB156_121:
	;; [unrolled: 32-line block ×6, first 2 shown]
	s_or_b64 exec, exec, s[0:1]
	s_waitcnt vmcnt(0)
	s_barrier
	ds_write_b64 v35, v[3:4] offset:2048
	ds_write_b64 v36, v[5:6] offset:2048
	;; [unrolled: 1-line block ×12, first 2 shown]
	s_waitcnt lgkmcnt(0)
	s_barrier
	s_and_saveexec_b64 s[0:1], s[26:27]
	s_cbranch_execz .LBB156_196
; %bb.138:
	v_lshlrev_b32_e32 v3, 3, v58
	ds_read_b64 v[3:4], v3
	ds_read_b64 v[5:6], v34 offset:2048
	v_mov_b32_e32 v7, s63
	s_waitcnt lgkmcnt(1)
	v_lshlrev_b64 v[3:4], 3, v[3:4]
	v_add_co_u32_e32 v3, vcc, s62, v3
	v_addc_co_u32_e32 v4, vcc, v7, v4, vcc
	v_add_co_u32_e32 v3, vcc, v3, v34
	v_addc_co_u32_e32 v4, vcc, 0, v4, vcc
	s_waitcnt lgkmcnt(0)
	global_store_dwordx2 v[3:4], v[5:6], off
	s_or_b64 exec, exec, s[0:1]
	s_and_saveexec_b64 s[0:1], s[28:29]
	s_cbranch_execnz .LBB156_197
.LBB156_139:
	s_or_b64 exec, exec, s[0:1]
	s_and_saveexec_b64 s[0:1], s[30:31]
	s_cbranch_execz .LBB156_198
.LBB156_140:
	v_lshlrev_b32_e32 v3, 3, v60
	ds_read_b64 v[3:4], v3
	ds_read_b64 v[5:6], v34 offset:6144
	v_mov_b32_e32 v7, s63
	s_waitcnt lgkmcnt(1)
	v_lshlrev_b64 v[3:4], 3, v[3:4]
	v_add_co_u32_e32 v3, vcc, s62, v3
	v_addc_co_u32_e32 v4, vcc, v7, v4, vcc
	v_lshlrev_b32_e32 v7, 3, v47
	v_add_co_u32_e32 v3, vcc, v3, v7
	v_addc_co_u32_e32 v4, vcc, 0, v4, vcc
	s_waitcnt lgkmcnt(0)
	global_store_dwordx2 v[3:4], v[5:6], off
	s_or_b64 exec, exec, s[0:1]
	s_and_saveexec_b64 s[0:1], s[34:35]
	s_cbranch_execnz .LBB156_199
.LBB156_141:
	s_or_b64 exec, exec, s[0:1]
	s_and_saveexec_b64 s[0:1], s[36:37]
	s_cbranch_execz .LBB156_200
.LBB156_142:
	v_lshlrev_b32_e32 v3, 3, v61
	ds_read_b64 v[3:4], v3
	ds_read_b64 v[5:6], v34 offset:10240
	v_mov_b32_e32 v7, s63
	s_waitcnt lgkmcnt(1)
	v_lshlrev_b64 v[3:4], 3, v[3:4]
	v_add_co_u32_e32 v3, vcc, s62, v3
	v_addc_co_u32_e32 v4, vcc, v7, v4, vcc
	v_lshlrev_b32_e32 v7, 3, v49
	v_add_co_u32_e32 v3, vcc, v3, v7
	v_addc_co_u32_e32 v4, vcc, 0, v4, vcc
	s_waitcnt lgkmcnt(0)
	global_store_dwordx2 v[3:4], v[5:6], off
	s_or_b64 exec, exec, s[0:1]
	s_and_saveexec_b64 s[0:1], s[38:39]
	s_cbranch_execnz .LBB156_201
.LBB156_143:
	s_or_b64 exec, exec, s[0:1]
	s_and_saveexec_b64 s[0:1], s[40:41]
	s_cbranch_execz .LBB156_202
.LBB156_144:
	v_lshlrev_b32_e32 v3, 3, v62
	ds_read_b64 v[3:4], v3
	ds_read_b64 v[5:6], v34 offset:14336
	v_mov_b32_e32 v7, s63
	s_waitcnt lgkmcnt(1)
	v_lshlrev_b64 v[3:4], 3, v[3:4]
	v_add_co_u32_e32 v3, vcc, s62, v3
	v_addc_co_u32_e32 v4, vcc, v7, v4, vcc
	v_lshlrev_b32_e32 v7, 3, v51
	v_add_co_u32_e32 v3, vcc, v3, v7
	v_addc_co_u32_e32 v4, vcc, 0, v4, vcc
	s_waitcnt lgkmcnt(0)
	global_store_dwordx2 v[3:4], v[5:6], off
	s_or_b64 exec, exec, s[0:1]
	s_and_saveexec_b64 s[0:1], s[42:43]
	s_cbranch_execnz .LBB156_203
.LBB156_145:
	s_or_b64 exec, exec, s[0:1]
	s_and_saveexec_b64 s[0:1], s[44:45]
	s_cbranch_execz .LBB156_204
.LBB156_146:
	v_lshlrev_b32_e32 v3, 3, v63
	ds_read_b64 v[3:4], v3
	ds_read_b64 v[5:6], v34 offset:18432
	v_mov_b32_e32 v7, s63
	s_waitcnt lgkmcnt(1)
	v_lshlrev_b64 v[3:4], 3, v[3:4]
	v_add_co_u32_e32 v3, vcc, s62, v3
	v_addc_co_u32_e32 v4, vcc, v7, v4, vcc
	v_lshlrev_b32_e32 v7, 3, v53
	v_add_co_u32_e32 v3, vcc, v3, v7
	v_addc_co_u32_e32 v4, vcc, 0, v4, vcc
	s_waitcnt lgkmcnt(0)
	global_store_dwordx2 v[3:4], v[5:6], off
	s_or_b64 exec, exec, s[0:1]
	s_and_saveexec_b64 s[0:1], s[46:47]
	s_cbranch_execnz .LBB156_205
.LBB156_147:
	s_or_b64 exec, exec, s[0:1]
	s_and_saveexec_b64 s[0:1], s[48:49]
	s_cbranch_execz .LBB156_206
.LBB156_148:
	v_lshlrev_b32_e32 v3, 3, v64
	ds_read_b64 v[3:4], v3
	ds_read_b64 v[5:6], v34 offset:22528
	v_mov_b32_e32 v7, s63
	s_waitcnt lgkmcnt(1)
	v_lshlrev_b64 v[3:4], 3, v[3:4]
	v_add_co_u32_e32 v3, vcc, s62, v3
	v_addc_co_u32_e32 v4, vcc, v7, v4, vcc
	v_lshlrev_b32_e32 v7, 3, v55
	v_add_co_u32_e32 v3, vcc, v3, v7
	v_addc_co_u32_e32 v4, vcc, 0, v4, vcc
	s_waitcnt lgkmcnt(0)
	global_store_dwordx2 v[3:4], v[5:6], off
	s_or_b64 exec, exec, s[0:1]
	s_and_saveexec_b64 s[0:1], s[50:51]
	s_cbranch_execnz .LBB156_207
.LBB156_149:
	s_or_b64 exec, exec, s[0:1]
	s_add_i32 s33, s33, -1
	s_cmp_eq_u32 s6, s33
	s_cbranch_scc0 .LBB156_151
.LBB156_150:
	ds_read_b64 v[3:4], v34
	v_add_co_u32_e32 v5, vcc, v30, v29
	v_addc_co_u32_e64 v6, s[0:1], 0, 0, vcc
	s_waitcnt lgkmcnt(0)
	v_add_co_u32_e32 v3, vcc, v5, v3
	v_addc_co_u32_e32 v4, vcc, v6, v4, vcc
	global_store_dwordx2 v34, v[3:4], s[66:67]
.LBB156_151:
	s_mov_b64 s[0:1], 0
.LBB156_152:
	s_and_b64 vcc, exec, s[0:1]
	s_cbranch_vccz .LBB156_195
; %bb.153:
	s_mov_b32 s73, 0
	s_lshl_b64 s[10:11], s[72:73], 3
	v_mbcnt_hi_u32_b32 v31, -1, v31
	s_add_u32 s0, s56, s10
	v_lshlrev_b32_e32 v29, 3, v31
	s_addc_u32 s1, s57, s11
	v_and_b32_e32 v33, 0xc0, v0
	v_add_co_u32_e32 v6, vcc, s0, v29
	s_load_dword s14, s[4:5], 0x50
	s_load_dword s0, s[4:5], 0x5c
	v_mul_u32_u24_e32 v3, 12, v33
	v_mov_b32_e32 v4, s1
	v_addc_co_u32_e32 v4, vcc, 0, v4, vcc
	v_lshlrev_b32_e32 v30, 3, v3
	v_add_co_u32_e32 v6, vcc, v6, v30
	v_addc_co_u32_e32 v7, vcc, 0, v4, vcc
	s_add_u32 s1, s4, 0x50
	global_load_dwordx2 v[27:28], v[6:7], off
	s_addc_u32 s2, s5, 0
	s_waitcnt lgkmcnt(0)
	s_lshr_b32 s4, s0, 16
	s_cmp_lt_u32 s6, s14
	s_cselect_b32 s0, 12, 18
	s_add_u32 s0, s1, s0
	v_mov_b32_e32 v5, 0
	s_addc_u32 s1, s2, 0
	global_load_ushort v34, v5, s[0:1]
	v_mul_u32_u24_e32 v32, 20, v0
	ds_write2_b32 v32, v5, v5 offset0:4 offset1:5
	ds_write2_b32 v32, v5, v5 offset0:6 offset1:7
	ds_write_b32 v32, v5 offset:32
	s_movk_i32 s0, 0x1000
	global_load_dwordx2 v[3:4], v[6:7], off offset:512
	global_load_dwordx2 v[25:26], v[6:7], off offset:1024
	;; [unrolled: 1-line block ×7, first 2 shown]
	v_mad_u32_u24 v35, v2, s4, v1
	v_add_co_u32_e32 v1, vcc, s0, v6
	v_addc_co_u32_e32 v2, vcc, 0, v7, vcc
	global_load_dwordx2 v[19:20], v[1:2], off
	global_load_dwordx2 v[15:16], v[1:2], off offset:512
	global_load_dwordx2 v[11:12], v[1:2], off offset:1024
	;; [unrolled: 1-line block ×3, first 2 shown]
	v_bfrev_b32_e32 v36, 1
	s_mov_b32 s2, -1
	s_brev_b32 s3, -2
	s_lshl_b32 s0, -1, s69
	s_not_b32 s15, s0
	s_waitcnt vmcnt(0) lgkmcnt(0)
	s_barrier
	; wave barrier
	v_cmp_lt_i64_e32 vcc, -1, v[27:28]
	v_ashrrev_i32_e32 v6, 31, v28
	v_cndmask_b32_e32 v1, -1, v36, vcc
	v_xor_b32_e32 v2, v1, v28
	v_xor_b32_e32 v1, v6, v27
	v_cmp_ne_u64_e32 vcc, s[2:3], v[1:2]
	v_mad_u64_u32 v[27:28], s[0:1], v35, v34, v[0:1]
	v_cndmask_b32_e32 v35, v36, v2, vcc
	v_cndmask_b32_e32 v34, 0, v1, vcc
	v_lshrrev_b64 v[34:35], s68, v[34:35]
	v_lshrrev_b32_e32 v39, 6, v27
	v_and_b32_e32 v27, s15, v34
	v_and_b32_e32 v34, 1, v27
	v_add_co_u32_e32 v35, vcc, -1, v34
	v_mul_lo_u32 v28, v27, 20
	v_lshlrev_b32_e32 v6, 30, v27
	v_addc_co_u32_e64 v37, s[0:1], 0, -1, vcc
	v_cmp_ne_u32_e32 vcc, 0, v34
	v_cmp_gt_i64_e64 s[0:1], 0, v[5:6]
	v_not_b32_e32 v34, v6
	v_lshlrev_b32_e32 v6, 29, v27
	v_xor_b32_e32 v37, vcc_hi, v37
	v_xor_b32_e32 v35, vcc_lo, v35
	v_ashrrev_i32_e32 v34, 31, v34
	v_cmp_gt_i64_e32 vcc, 0, v[5:6]
	v_not_b32_e32 v38, v6
	v_lshlrev_b32_e32 v6, 28, v27
	v_and_b32_e32 v37, exec_hi, v37
	v_xor_b32_e32 v40, s1, v34
	v_ashrrev_i32_e32 v38, 31, v38
	v_and_b32_e32 v35, exec_lo, v35
	v_xor_b32_e32 v41, s0, v34
	v_lshl_add_u32 v34, v39, 2, v28
	v_and_b32_e32 v28, v37, v40
	v_xor_b32_e32 v37, vcc_hi, v38
	v_xor_b32_e32 v38, vcc_lo, v38
	v_cmp_gt_i64_e32 vcc, 0, v[5:6]
	v_not_b32_e32 v6, v6
	v_and_b32_e32 v35, v35, v41
	v_ashrrev_i32_e32 v6, 31, v6
	v_and_b32_e32 v28, v28, v37
	v_and_b32_e32 v35, v35, v38
	v_xor_b32_e32 v37, vcc_hi, v6
	v_xor_b32_e32 v6, vcc_lo, v6
	v_and_b32_e32 v35, v35, v6
	v_lshlrev_b32_e32 v6, 27, v27
	v_cmp_gt_i64_e32 vcc, 0, v[5:6]
	v_not_b32_e32 v6, v6
	v_ashrrev_i32_e32 v6, 31, v6
	v_and_b32_e32 v28, v28, v37
	v_xor_b32_e32 v37, vcc_hi, v6
	v_xor_b32_e32 v6, vcc_lo, v6
	v_and_b32_e32 v35, v35, v6
	v_lshlrev_b32_e32 v6, 26, v27
	v_cmp_gt_i64_e32 vcc, 0, v[5:6]
	v_not_b32_e32 v6, v6
	v_ashrrev_i32_e32 v6, 31, v6
	;; [unrolled: 8-line block ×4, first 2 shown]
	v_and_b32_e32 v28, v28, v37
	v_xor_b32_e32 v27, vcc_hi, v6
	v_xor_b32_e32 v6, vcc_lo, v6
	v_and_b32_e32 v28, v28, v27
	v_and_b32_e32 v27, v35, v6
	v_mbcnt_lo_u32_b32 v6, v27, 0
	v_mbcnt_hi_u32_b32 v35, v28, v6
	v_cmp_ne_u64_e32 vcc, 0, v[27:28]
	v_cmp_eq_u32_e64 s[0:1], 0, v35
	s_and_b64 s[4:5], vcc, s[0:1]
	s_and_saveexec_b64 s[0:1], s[4:5]
; %bb.154:
	v_bcnt_u32_b32 v6, v27, 0
	v_bcnt_u32_b32 v6, v28, v6
	ds_write_b32 v34, v6 offset:16
; %bb.155:
	s_or_b64 exec, exec, s[0:1]
	v_cmp_lt_i64_e32 vcc, -1, v[3:4]
	v_ashrrev_i32_e32 v27, 31, v4
	v_cndmask_b32_e32 v6, -1, v36, vcc
	v_xor_b32_e32 v4, v6, v4
	v_xor_b32_e32 v3, v27, v3
	v_cmp_ne_u64_e32 vcc, s[2:3], v[3:4]
	v_cndmask_b32_e32 v28, v36, v4, vcc
	v_cndmask_b32_e32 v27, 0, v3, vcc
	v_lshrrev_b64 v[27:28], s68, v[27:28]
	; wave barrier
	v_and_b32_e32 v27, s15, v27
	v_mul_lo_u32 v6, v27, 20
	v_lshl_add_u32 v37, v39, 2, v6
	v_and_b32_e32 v6, 1, v27
	v_add_co_u32_e32 v28, vcc, -1, v6
	v_addc_co_u32_e64 v38, s[0:1], 0, -1, vcc
	v_cmp_ne_u32_e32 vcc, 0, v6
	v_xor_b32_e32 v6, vcc_hi, v38
	v_and_b32_e32 v38, exec_hi, v6
	v_lshlrev_b32_e32 v6, 30, v27
	v_xor_b32_e32 v28, vcc_lo, v28
	v_cmp_gt_i64_e32 vcc, 0, v[5:6]
	v_not_b32_e32 v6, v6
	v_ashrrev_i32_e32 v6, 31, v6
	v_and_b32_e32 v28, exec_lo, v28
	v_xor_b32_e32 v40, vcc_hi, v6
	v_xor_b32_e32 v6, vcc_lo, v6
	v_and_b32_e32 v28, v28, v6
	v_lshlrev_b32_e32 v6, 29, v27
	v_cmp_gt_i64_e32 vcc, 0, v[5:6]
	v_not_b32_e32 v6, v6
	v_ashrrev_i32_e32 v6, 31, v6
	v_and_b32_e32 v38, v38, v40
	v_xor_b32_e32 v40, vcc_hi, v6
	v_xor_b32_e32 v6, vcc_lo, v6
	v_and_b32_e32 v28, v28, v6
	v_lshlrev_b32_e32 v6, 28, v27
	v_cmp_gt_i64_e32 vcc, 0, v[5:6]
	v_not_b32_e32 v6, v6
	v_ashrrev_i32_e32 v6, 31, v6
	v_and_b32_e32 v38, v38, v40
	v_xor_b32_e32 v40, vcc_hi, v6
	v_xor_b32_e32 v6, vcc_lo, v6
	v_and_b32_e32 v28, v28, v6
	v_lshlrev_b32_e32 v6, 27, v27
	v_cmp_gt_i64_e32 vcc, 0, v[5:6]
	v_not_b32_e32 v6, v6
	v_ashrrev_i32_e32 v6, 31, v6
	v_and_b32_e32 v38, v38, v40
	v_xor_b32_e32 v40, vcc_hi, v6
	v_xor_b32_e32 v6, vcc_lo, v6
	v_and_b32_e32 v28, v28, v6
	v_lshlrev_b32_e32 v6, 26, v27
	v_cmp_gt_i64_e32 vcc, 0, v[5:6]
	v_not_b32_e32 v6, v6
	v_ashrrev_i32_e32 v6, 31, v6
	v_and_b32_e32 v38, v38, v40
	v_xor_b32_e32 v40, vcc_hi, v6
	v_xor_b32_e32 v6, vcc_lo, v6
	v_and_b32_e32 v28, v28, v6
	v_lshlrev_b32_e32 v6, 25, v27
	v_cmp_gt_i64_e32 vcc, 0, v[5:6]
	v_not_b32_e32 v6, v6
	v_ashrrev_i32_e32 v6, 31, v6
	v_and_b32_e32 v38, v38, v40
	v_xor_b32_e32 v40, vcc_hi, v6
	v_xor_b32_e32 v6, vcc_lo, v6
	v_and_b32_e32 v28, v28, v6
	v_lshlrev_b32_e32 v6, 24, v27
	v_cmp_gt_i64_e32 vcc, 0, v[5:6]
	v_not_b32_e32 v5, v6
	v_ashrrev_i32_e32 v5, 31, v5
	v_xor_b32_e32 v6, vcc_hi, v5
	v_xor_b32_e32 v5, vcc_lo, v5
	ds_read_b32 v36, v37 offset:16
	v_and_b32_e32 v38, v38, v40
	v_and_b32_e32 v5, v28, v5
	;; [unrolled: 1-line block ×3, first 2 shown]
	v_mbcnt_lo_u32_b32 v27, v5, 0
	v_mbcnt_hi_u32_b32 v38, v6, v27
	v_cmp_ne_u64_e32 vcc, 0, v[5:6]
	v_cmp_eq_u32_e64 s[0:1], 0, v38
	s_and_b64 s[2:3], vcc, s[0:1]
	; wave barrier
	s_and_saveexec_b64 s[0:1], s[2:3]
	s_cbranch_execz .LBB156_157
; %bb.156:
	v_bcnt_u32_b32 v5, v5, 0
	v_bcnt_u32_b32 v5, v6, v5
	s_waitcnt lgkmcnt(0)
	v_add_u32_e32 v5, v36, v5
	ds_write_b32 v37, v5 offset:16
.LBB156_157:
	s_or_b64 exec, exec, s[0:1]
	v_cmp_lt_i64_e32 vcc, -1, v[25:26]
	v_bfrev_b32_e32 v28, 1
	s_mov_b32 s2, -1
	v_cndmask_b32_e32 v5, -1, v28, vcc
	v_ashrrev_i32_e32 v27, 31, v26
	s_brev_b32 s3, -2
	v_xor_b32_e32 v6, v5, v26
	v_xor_b32_e32 v5, v27, v25
	v_cmp_ne_u64_e32 vcc, s[2:3], v[5:6]
	v_cndmask_b32_e32 v26, v28, v6, vcc
	v_cndmask_b32_e32 v25, 0, v5, vcc
	v_lshrrev_b64 v[25:26], s68, v[25:26]
	; wave barrier
	v_and_b32_e32 v27, s15, v25
	v_mul_lo_u32 v25, v27, 20
	v_and_b32_e32 v26, 1, v27
	v_add_co_u32_e32 v42, vcc, -1, v26
	v_addc_co_u32_e64 v43, s[0:1], 0, -1, vcc
	v_cmp_ne_u32_e32 vcc, 0, v26
	v_xor_b32_e32 v26, vcc_hi, v43
	v_lshl_add_u32 v41, v39, 2, v25
	v_mov_b32_e32 v25, 0
	v_and_b32_e32 v43, exec_hi, v26
	v_lshlrev_b32_e32 v26, 30, v27
	v_xor_b32_e32 v42, vcc_lo, v42
	v_cmp_gt_i64_e32 vcc, 0, v[25:26]
	v_not_b32_e32 v26, v26
	v_ashrrev_i32_e32 v26, 31, v26
	v_and_b32_e32 v42, exec_lo, v42
	v_xor_b32_e32 v44, vcc_hi, v26
	v_xor_b32_e32 v26, vcc_lo, v26
	v_and_b32_e32 v42, v42, v26
	v_lshlrev_b32_e32 v26, 29, v27
	v_cmp_gt_i64_e32 vcc, 0, v[25:26]
	v_not_b32_e32 v26, v26
	v_ashrrev_i32_e32 v26, 31, v26
	v_and_b32_e32 v43, v43, v44
	v_xor_b32_e32 v44, vcc_hi, v26
	v_xor_b32_e32 v26, vcc_lo, v26
	v_and_b32_e32 v42, v42, v26
	v_lshlrev_b32_e32 v26, 28, v27
	v_cmp_gt_i64_e32 vcc, 0, v[25:26]
	v_not_b32_e32 v26, v26
	v_ashrrev_i32_e32 v26, 31, v26
	v_and_b32_e32 v43, v43, v44
	;; [unrolled: 8-line block ×5, first 2 shown]
	v_xor_b32_e32 v44, vcc_hi, v26
	v_xor_b32_e32 v26, vcc_lo, v26
	v_and_b32_e32 v42, v42, v26
	v_lshlrev_b32_e32 v26, 24, v27
	v_cmp_gt_i64_e32 vcc, 0, v[25:26]
	v_not_b32_e32 v26, v26
	v_ashrrev_i32_e32 v26, 31, v26
	v_xor_b32_e32 v27, vcc_hi, v26
	v_xor_b32_e32 v26, vcc_lo, v26
	ds_read_b32 v40, v41 offset:16
	v_and_b32_e32 v43, v43, v44
	v_and_b32_e32 v26, v42, v26
	;; [unrolled: 1-line block ×3, first 2 shown]
	v_mbcnt_lo_u32_b32 v42, v26, 0
	v_mbcnt_hi_u32_b32 v42, v27, v42
	v_cmp_ne_u64_e32 vcc, 0, v[26:27]
	v_cmp_eq_u32_e64 s[0:1], 0, v42
	s_and_b64 s[4:5], vcc, s[0:1]
	; wave barrier
	s_and_saveexec_b64 s[0:1], s[4:5]
	s_cbranch_execz .LBB156_159
; %bb.158:
	v_bcnt_u32_b32 v26, v26, 0
	v_bcnt_u32_b32 v26, v27, v26
	s_waitcnt lgkmcnt(0)
	v_add_u32_e32 v26, v40, v26
	ds_write_b32 v41, v26 offset:16
.LBB156_159:
	s_or_b64 exec, exec, s[0:1]
	v_cmp_lt_i64_e32 vcc, -1, v[9:10]
	v_ashrrev_i32_e32 v27, 31, v10
	v_cndmask_b32_e32 v26, -1, v28, vcc
	v_xor_b32_e32 v10, v26, v10
	v_xor_b32_e32 v9, v27, v9
	v_cmp_ne_u64_e32 vcc, s[2:3], v[9:10]
	v_cndmask_b32_e32 v27, v28, v10, vcc
	v_cndmask_b32_e32 v26, 0, v9, vcc
	v_lshrrev_b64 v[26:27], s68, v[26:27]
	; wave barrier
	v_and_b32_e32 v27, s15, v26
	v_mul_lo_u32 v26, v27, 20
	v_lshl_add_u32 v44, v39, 2, v26
	v_and_b32_e32 v26, 1, v27
	v_add_co_u32_e32 v28, vcc, -1, v26
	v_addc_co_u32_e64 v45, s[0:1], 0, -1, vcc
	v_cmp_ne_u32_e32 vcc, 0, v26
	v_xor_b32_e32 v26, vcc_hi, v45
	v_and_b32_e32 v45, exec_hi, v26
	v_lshlrev_b32_e32 v26, 30, v27
	v_xor_b32_e32 v28, vcc_lo, v28
	v_cmp_gt_i64_e32 vcc, 0, v[25:26]
	v_not_b32_e32 v26, v26
	v_ashrrev_i32_e32 v26, 31, v26
	v_and_b32_e32 v28, exec_lo, v28
	v_xor_b32_e32 v46, vcc_hi, v26
	v_xor_b32_e32 v26, vcc_lo, v26
	v_and_b32_e32 v28, v28, v26
	v_lshlrev_b32_e32 v26, 29, v27
	v_cmp_gt_i64_e32 vcc, 0, v[25:26]
	v_not_b32_e32 v26, v26
	v_ashrrev_i32_e32 v26, 31, v26
	v_and_b32_e32 v45, v45, v46
	v_xor_b32_e32 v46, vcc_hi, v26
	v_xor_b32_e32 v26, vcc_lo, v26
	v_and_b32_e32 v28, v28, v26
	v_lshlrev_b32_e32 v26, 28, v27
	v_cmp_gt_i64_e32 vcc, 0, v[25:26]
	v_not_b32_e32 v26, v26
	v_ashrrev_i32_e32 v26, 31, v26
	v_and_b32_e32 v45, v45, v46
	;; [unrolled: 8-line block ×5, first 2 shown]
	v_xor_b32_e32 v46, vcc_hi, v26
	v_xor_b32_e32 v26, vcc_lo, v26
	v_and_b32_e32 v28, v28, v26
	v_lshlrev_b32_e32 v26, 24, v27
	v_cmp_gt_i64_e32 vcc, 0, v[25:26]
	v_not_b32_e32 v25, v26
	v_ashrrev_i32_e32 v25, 31, v25
	v_xor_b32_e32 v26, vcc_hi, v25
	v_xor_b32_e32 v25, vcc_lo, v25
	ds_read_b32 v43, v44 offset:16
	v_and_b32_e32 v45, v45, v46
	v_and_b32_e32 v25, v28, v25
	;; [unrolled: 1-line block ×3, first 2 shown]
	v_mbcnt_lo_u32_b32 v27, v25, 0
	v_mbcnt_hi_u32_b32 v45, v26, v27
	v_cmp_ne_u64_e32 vcc, 0, v[25:26]
	v_cmp_eq_u32_e64 s[0:1], 0, v45
	s_and_b64 s[2:3], vcc, s[0:1]
	; wave barrier
	s_and_saveexec_b64 s[0:1], s[2:3]
	s_cbranch_execz .LBB156_161
; %bb.160:
	v_bcnt_u32_b32 v25, v25, 0
	v_bcnt_u32_b32 v25, v26, v25
	s_waitcnt lgkmcnt(0)
	v_add_u32_e32 v25, v43, v25
	ds_write_b32 v44, v25 offset:16
.LBB156_161:
	s_or_b64 exec, exec, s[0:1]
	v_cmp_lt_i64_e32 vcc, -1, v[13:14]
	v_bfrev_b32_e32 v28, 1
	s_mov_b32 s2, -1
	v_cndmask_b32_e32 v25, -1, v28, vcc
	v_ashrrev_i32_e32 v26, 31, v14
	s_brev_b32 s3, -2
	v_xor_b32_e32 v14, v25, v14
	v_xor_b32_e32 v13, v26, v13
	v_cmp_ne_u64_e32 vcc, s[2:3], v[13:14]
	v_cndmask_b32_e32 v26, v28, v14, vcc
	v_cndmask_b32_e32 v25, 0, v13, vcc
	v_lshrrev_b64 v[25:26], s68, v[25:26]
	; wave barrier
	v_and_b32_e32 v27, s15, v25
	v_mul_lo_u32 v25, v27, 20
	v_and_b32_e32 v26, 1, v27
	v_add_co_u32_e32 v48, vcc, -1, v26
	v_addc_co_u32_e64 v49, s[0:1], 0, -1, vcc
	v_cmp_ne_u32_e32 vcc, 0, v26
	v_xor_b32_e32 v26, vcc_hi, v49
	v_lshl_add_u32 v47, v39, 2, v25
	v_mov_b32_e32 v25, 0
	v_and_b32_e32 v49, exec_hi, v26
	v_lshlrev_b32_e32 v26, 30, v27
	v_xor_b32_e32 v48, vcc_lo, v48
	v_cmp_gt_i64_e32 vcc, 0, v[25:26]
	v_not_b32_e32 v26, v26
	v_ashrrev_i32_e32 v26, 31, v26
	v_and_b32_e32 v48, exec_lo, v48
	v_xor_b32_e32 v50, vcc_hi, v26
	v_xor_b32_e32 v26, vcc_lo, v26
	v_and_b32_e32 v48, v48, v26
	v_lshlrev_b32_e32 v26, 29, v27
	v_cmp_gt_i64_e32 vcc, 0, v[25:26]
	v_not_b32_e32 v26, v26
	v_ashrrev_i32_e32 v26, 31, v26
	v_and_b32_e32 v49, v49, v50
	v_xor_b32_e32 v50, vcc_hi, v26
	v_xor_b32_e32 v26, vcc_lo, v26
	v_and_b32_e32 v48, v48, v26
	v_lshlrev_b32_e32 v26, 28, v27
	v_cmp_gt_i64_e32 vcc, 0, v[25:26]
	v_not_b32_e32 v26, v26
	v_ashrrev_i32_e32 v26, 31, v26
	v_and_b32_e32 v49, v49, v50
	;; [unrolled: 8-line block ×5, first 2 shown]
	v_xor_b32_e32 v50, vcc_hi, v26
	v_xor_b32_e32 v26, vcc_lo, v26
	v_and_b32_e32 v48, v48, v26
	v_lshlrev_b32_e32 v26, 24, v27
	v_cmp_gt_i64_e32 vcc, 0, v[25:26]
	v_not_b32_e32 v26, v26
	v_ashrrev_i32_e32 v26, 31, v26
	v_xor_b32_e32 v27, vcc_hi, v26
	v_xor_b32_e32 v26, vcc_lo, v26
	ds_read_b32 v46, v47 offset:16
	v_and_b32_e32 v49, v49, v50
	v_and_b32_e32 v26, v48, v26
	;; [unrolled: 1-line block ×3, first 2 shown]
	v_mbcnt_lo_u32_b32 v48, v26, 0
	v_mbcnt_hi_u32_b32 v48, v27, v48
	v_cmp_ne_u64_e32 vcc, 0, v[26:27]
	v_cmp_eq_u32_e64 s[0:1], 0, v48
	s_and_b64 s[4:5], vcc, s[0:1]
	; wave barrier
	s_and_saveexec_b64 s[0:1], s[4:5]
	s_cbranch_execz .LBB156_163
; %bb.162:
	v_bcnt_u32_b32 v26, v26, 0
	v_bcnt_u32_b32 v26, v27, v26
	s_waitcnt lgkmcnt(0)
	v_add_u32_e32 v26, v46, v26
	ds_write_b32 v47, v26 offset:16
.LBB156_163:
	s_or_b64 exec, exec, s[0:1]
	v_cmp_lt_i64_e32 vcc, -1, v[17:18]
	v_ashrrev_i32_e32 v27, 31, v18
	v_cndmask_b32_e32 v26, -1, v28, vcc
	v_xor_b32_e32 v18, v26, v18
	v_xor_b32_e32 v17, v27, v17
	v_cmp_ne_u64_e32 vcc, s[2:3], v[17:18]
	v_cndmask_b32_e32 v27, v28, v18, vcc
	v_cndmask_b32_e32 v26, 0, v17, vcc
	v_lshrrev_b64 v[26:27], s68, v[26:27]
	; wave barrier
	v_and_b32_e32 v27, s15, v26
	v_mul_lo_u32 v26, v27, 20
	v_lshl_add_u32 v50, v39, 2, v26
	v_and_b32_e32 v26, 1, v27
	v_add_co_u32_e32 v28, vcc, -1, v26
	v_addc_co_u32_e64 v51, s[0:1], 0, -1, vcc
	v_cmp_ne_u32_e32 vcc, 0, v26
	v_xor_b32_e32 v26, vcc_hi, v51
	v_and_b32_e32 v51, exec_hi, v26
	v_lshlrev_b32_e32 v26, 30, v27
	v_xor_b32_e32 v28, vcc_lo, v28
	v_cmp_gt_i64_e32 vcc, 0, v[25:26]
	v_not_b32_e32 v26, v26
	v_ashrrev_i32_e32 v26, 31, v26
	v_and_b32_e32 v28, exec_lo, v28
	v_xor_b32_e32 v52, vcc_hi, v26
	v_xor_b32_e32 v26, vcc_lo, v26
	v_and_b32_e32 v28, v28, v26
	v_lshlrev_b32_e32 v26, 29, v27
	v_cmp_gt_i64_e32 vcc, 0, v[25:26]
	v_not_b32_e32 v26, v26
	v_ashrrev_i32_e32 v26, 31, v26
	v_and_b32_e32 v51, v51, v52
	v_xor_b32_e32 v52, vcc_hi, v26
	v_xor_b32_e32 v26, vcc_lo, v26
	v_and_b32_e32 v28, v28, v26
	v_lshlrev_b32_e32 v26, 28, v27
	v_cmp_gt_i64_e32 vcc, 0, v[25:26]
	v_not_b32_e32 v26, v26
	v_ashrrev_i32_e32 v26, 31, v26
	v_and_b32_e32 v51, v51, v52
	;; [unrolled: 8-line block ×5, first 2 shown]
	v_xor_b32_e32 v52, vcc_hi, v26
	v_xor_b32_e32 v26, vcc_lo, v26
	v_and_b32_e32 v28, v28, v26
	v_lshlrev_b32_e32 v26, 24, v27
	v_cmp_gt_i64_e32 vcc, 0, v[25:26]
	v_not_b32_e32 v25, v26
	v_ashrrev_i32_e32 v25, 31, v25
	v_xor_b32_e32 v26, vcc_hi, v25
	v_xor_b32_e32 v25, vcc_lo, v25
	ds_read_b32 v49, v50 offset:16
	v_and_b32_e32 v51, v51, v52
	v_and_b32_e32 v25, v28, v25
	;; [unrolled: 1-line block ×3, first 2 shown]
	v_mbcnt_lo_u32_b32 v27, v25, 0
	v_mbcnt_hi_u32_b32 v51, v26, v27
	v_cmp_ne_u64_e32 vcc, 0, v[25:26]
	v_cmp_eq_u32_e64 s[0:1], 0, v51
	s_and_b64 s[2:3], vcc, s[0:1]
	; wave barrier
	s_and_saveexec_b64 s[0:1], s[2:3]
	s_cbranch_execz .LBB156_165
; %bb.164:
	v_bcnt_u32_b32 v25, v25, 0
	v_bcnt_u32_b32 v25, v26, v25
	s_waitcnt lgkmcnt(0)
	v_add_u32_e32 v25, v49, v25
	ds_write_b32 v50, v25 offset:16
.LBB156_165:
	s_or_b64 exec, exec, s[0:1]
	v_cmp_lt_i64_e32 vcc, -1, v[21:22]
	v_bfrev_b32_e32 v28, 1
	s_mov_b32 s2, -1
	v_cndmask_b32_e32 v25, -1, v28, vcc
	v_ashrrev_i32_e32 v26, 31, v22
	s_brev_b32 s3, -2
	v_xor_b32_e32 v22, v25, v22
	v_xor_b32_e32 v21, v26, v21
	v_cmp_ne_u64_e32 vcc, s[2:3], v[21:22]
	v_cndmask_b32_e32 v26, v28, v22, vcc
	v_cndmask_b32_e32 v25, 0, v21, vcc
	v_lshrrev_b64 v[25:26], s68, v[25:26]
	; wave barrier
	v_and_b32_e32 v27, s15, v25
	v_mul_lo_u32 v25, v27, 20
	v_and_b32_e32 v26, 1, v27
	v_add_co_u32_e32 v54, vcc, -1, v26
	v_addc_co_u32_e64 v55, s[0:1], 0, -1, vcc
	v_cmp_ne_u32_e32 vcc, 0, v26
	v_xor_b32_e32 v26, vcc_hi, v55
	v_lshl_add_u32 v53, v39, 2, v25
	v_mov_b32_e32 v25, 0
	v_and_b32_e32 v55, exec_hi, v26
	v_lshlrev_b32_e32 v26, 30, v27
	v_xor_b32_e32 v54, vcc_lo, v54
	v_cmp_gt_i64_e32 vcc, 0, v[25:26]
	v_not_b32_e32 v26, v26
	v_ashrrev_i32_e32 v26, 31, v26
	v_and_b32_e32 v54, exec_lo, v54
	v_xor_b32_e32 v56, vcc_hi, v26
	v_xor_b32_e32 v26, vcc_lo, v26
	v_and_b32_e32 v54, v54, v26
	v_lshlrev_b32_e32 v26, 29, v27
	v_cmp_gt_i64_e32 vcc, 0, v[25:26]
	v_not_b32_e32 v26, v26
	v_ashrrev_i32_e32 v26, 31, v26
	v_and_b32_e32 v55, v55, v56
	v_xor_b32_e32 v56, vcc_hi, v26
	v_xor_b32_e32 v26, vcc_lo, v26
	v_and_b32_e32 v54, v54, v26
	v_lshlrev_b32_e32 v26, 28, v27
	v_cmp_gt_i64_e32 vcc, 0, v[25:26]
	v_not_b32_e32 v26, v26
	v_ashrrev_i32_e32 v26, 31, v26
	v_and_b32_e32 v55, v55, v56
	;; [unrolled: 8-line block ×5, first 2 shown]
	v_xor_b32_e32 v56, vcc_hi, v26
	v_xor_b32_e32 v26, vcc_lo, v26
	v_and_b32_e32 v54, v54, v26
	v_lshlrev_b32_e32 v26, 24, v27
	v_cmp_gt_i64_e32 vcc, 0, v[25:26]
	v_not_b32_e32 v26, v26
	v_ashrrev_i32_e32 v26, 31, v26
	v_xor_b32_e32 v27, vcc_hi, v26
	v_xor_b32_e32 v26, vcc_lo, v26
	ds_read_b32 v52, v53 offset:16
	v_and_b32_e32 v55, v55, v56
	v_and_b32_e32 v26, v54, v26
	;; [unrolled: 1-line block ×3, first 2 shown]
	v_mbcnt_lo_u32_b32 v54, v26, 0
	v_mbcnt_hi_u32_b32 v54, v27, v54
	v_cmp_ne_u64_e32 vcc, 0, v[26:27]
	v_cmp_eq_u32_e64 s[0:1], 0, v54
	s_and_b64 s[4:5], vcc, s[0:1]
	; wave barrier
	s_and_saveexec_b64 s[0:1], s[4:5]
	s_cbranch_execz .LBB156_167
; %bb.166:
	v_bcnt_u32_b32 v26, v26, 0
	v_bcnt_u32_b32 v26, v27, v26
	s_waitcnt lgkmcnt(0)
	v_add_u32_e32 v26, v52, v26
	ds_write_b32 v53, v26 offset:16
.LBB156_167:
	s_or_b64 exec, exec, s[0:1]
	v_cmp_lt_i64_e32 vcc, -1, v[23:24]
	v_ashrrev_i32_e32 v27, 31, v24
	v_cndmask_b32_e32 v26, -1, v28, vcc
	v_xor_b32_e32 v24, v26, v24
	v_xor_b32_e32 v23, v27, v23
	v_cmp_ne_u64_e32 vcc, s[2:3], v[23:24]
	v_cndmask_b32_e32 v27, v28, v24, vcc
	v_cndmask_b32_e32 v26, 0, v23, vcc
	v_lshrrev_b64 v[26:27], s68, v[26:27]
	; wave barrier
	v_and_b32_e32 v27, s15, v26
	v_mul_lo_u32 v26, v27, 20
	v_lshl_add_u32 v56, v39, 2, v26
	v_and_b32_e32 v26, 1, v27
	v_add_co_u32_e32 v28, vcc, -1, v26
	v_addc_co_u32_e64 v57, s[0:1], 0, -1, vcc
	v_cmp_ne_u32_e32 vcc, 0, v26
	v_xor_b32_e32 v26, vcc_hi, v57
	v_and_b32_e32 v57, exec_hi, v26
	v_lshlrev_b32_e32 v26, 30, v27
	v_xor_b32_e32 v28, vcc_lo, v28
	v_cmp_gt_i64_e32 vcc, 0, v[25:26]
	v_not_b32_e32 v26, v26
	v_ashrrev_i32_e32 v26, 31, v26
	v_and_b32_e32 v28, exec_lo, v28
	v_xor_b32_e32 v58, vcc_hi, v26
	v_xor_b32_e32 v26, vcc_lo, v26
	v_and_b32_e32 v28, v28, v26
	v_lshlrev_b32_e32 v26, 29, v27
	v_cmp_gt_i64_e32 vcc, 0, v[25:26]
	v_not_b32_e32 v26, v26
	v_ashrrev_i32_e32 v26, 31, v26
	v_and_b32_e32 v57, v57, v58
	v_xor_b32_e32 v58, vcc_hi, v26
	v_xor_b32_e32 v26, vcc_lo, v26
	v_and_b32_e32 v28, v28, v26
	v_lshlrev_b32_e32 v26, 28, v27
	v_cmp_gt_i64_e32 vcc, 0, v[25:26]
	v_not_b32_e32 v26, v26
	v_ashrrev_i32_e32 v26, 31, v26
	v_and_b32_e32 v57, v57, v58
	;; [unrolled: 8-line block ×5, first 2 shown]
	v_xor_b32_e32 v58, vcc_hi, v26
	v_xor_b32_e32 v26, vcc_lo, v26
	v_and_b32_e32 v28, v28, v26
	v_lshlrev_b32_e32 v26, 24, v27
	v_cmp_gt_i64_e32 vcc, 0, v[25:26]
	v_not_b32_e32 v25, v26
	v_ashrrev_i32_e32 v25, 31, v25
	v_xor_b32_e32 v26, vcc_hi, v25
	v_xor_b32_e32 v25, vcc_lo, v25
	ds_read_b32 v55, v56 offset:16
	v_and_b32_e32 v57, v57, v58
	v_and_b32_e32 v25, v28, v25
	;; [unrolled: 1-line block ×3, first 2 shown]
	v_mbcnt_lo_u32_b32 v27, v25, 0
	v_mbcnt_hi_u32_b32 v57, v26, v27
	v_cmp_ne_u64_e32 vcc, 0, v[25:26]
	v_cmp_eq_u32_e64 s[0:1], 0, v57
	s_and_b64 s[2:3], vcc, s[0:1]
	; wave barrier
	s_and_saveexec_b64 s[0:1], s[2:3]
	s_cbranch_execz .LBB156_169
; %bb.168:
	v_bcnt_u32_b32 v25, v25, 0
	v_bcnt_u32_b32 v25, v26, v25
	s_waitcnt lgkmcnt(0)
	v_add_u32_e32 v25, v55, v25
	ds_write_b32 v56, v25 offset:16
.LBB156_169:
	s_or_b64 exec, exec, s[0:1]
	v_cmp_lt_i64_e32 vcc, -1, v[19:20]
	v_bfrev_b32_e32 v28, 1
	s_mov_b32 s2, -1
	v_cndmask_b32_e32 v25, -1, v28, vcc
	v_ashrrev_i32_e32 v26, 31, v20
	s_brev_b32 s3, -2
	v_xor_b32_e32 v20, v25, v20
	v_xor_b32_e32 v19, v26, v19
	v_cmp_ne_u64_e32 vcc, s[2:3], v[19:20]
	v_cndmask_b32_e32 v26, v28, v20, vcc
	v_cndmask_b32_e32 v25, 0, v19, vcc
	v_lshrrev_b64 v[25:26], s68, v[25:26]
	; wave barrier
	v_and_b32_e32 v27, s15, v25
	v_mul_lo_u32 v25, v27, 20
	v_and_b32_e32 v26, 1, v27
	v_add_co_u32_e32 v60, vcc, -1, v26
	v_addc_co_u32_e64 v61, s[0:1], 0, -1, vcc
	v_cmp_ne_u32_e32 vcc, 0, v26
	v_xor_b32_e32 v26, vcc_hi, v61
	v_lshl_add_u32 v59, v39, 2, v25
	v_mov_b32_e32 v25, 0
	v_and_b32_e32 v61, exec_hi, v26
	v_lshlrev_b32_e32 v26, 30, v27
	v_xor_b32_e32 v60, vcc_lo, v60
	v_cmp_gt_i64_e32 vcc, 0, v[25:26]
	v_not_b32_e32 v26, v26
	v_ashrrev_i32_e32 v26, 31, v26
	v_and_b32_e32 v60, exec_lo, v60
	v_xor_b32_e32 v62, vcc_hi, v26
	v_xor_b32_e32 v26, vcc_lo, v26
	v_and_b32_e32 v60, v60, v26
	v_lshlrev_b32_e32 v26, 29, v27
	v_cmp_gt_i64_e32 vcc, 0, v[25:26]
	v_not_b32_e32 v26, v26
	v_ashrrev_i32_e32 v26, 31, v26
	v_and_b32_e32 v61, v61, v62
	v_xor_b32_e32 v62, vcc_hi, v26
	v_xor_b32_e32 v26, vcc_lo, v26
	v_and_b32_e32 v60, v60, v26
	v_lshlrev_b32_e32 v26, 28, v27
	v_cmp_gt_i64_e32 vcc, 0, v[25:26]
	v_not_b32_e32 v26, v26
	v_ashrrev_i32_e32 v26, 31, v26
	v_and_b32_e32 v61, v61, v62
	;; [unrolled: 8-line block ×5, first 2 shown]
	v_xor_b32_e32 v62, vcc_hi, v26
	v_xor_b32_e32 v26, vcc_lo, v26
	v_and_b32_e32 v60, v60, v26
	v_lshlrev_b32_e32 v26, 24, v27
	v_cmp_gt_i64_e32 vcc, 0, v[25:26]
	v_not_b32_e32 v26, v26
	v_ashrrev_i32_e32 v26, 31, v26
	v_xor_b32_e32 v27, vcc_hi, v26
	v_xor_b32_e32 v26, vcc_lo, v26
	ds_read_b32 v58, v59 offset:16
	v_and_b32_e32 v61, v61, v62
	v_and_b32_e32 v26, v60, v26
	;; [unrolled: 1-line block ×3, first 2 shown]
	v_mbcnt_lo_u32_b32 v60, v26, 0
	v_mbcnt_hi_u32_b32 v60, v27, v60
	v_cmp_ne_u64_e32 vcc, 0, v[26:27]
	v_cmp_eq_u32_e64 s[0:1], 0, v60
	s_and_b64 s[4:5], vcc, s[0:1]
	; wave barrier
	s_and_saveexec_b64 s[0:1], s[4:5]
	s_cbranch_execz .LBB156_171
; %bb.170:
	v_bcnt_u32_b32 v26, v26, 0
	v_bcnt_u32_b32 v26, v27, v26
	s_waitcnt lgkmcnt(0)
	v_add_u32_e32 v26, v58, v26
	ds_write_b32 v59, v26 offset:16
.LBB156_171:
	s_or_b64 exec, exec, s[0:1]
	v_cmp_lt_i64_e32 vcc, -1, v[15:16]
	v_ashrrev_i32_e32 v27, 31, v16
	v_cndmask_b32_e32 v26, -1, v28, vcc
	v_xor_b32_e32 v16, v26, v16
	v_xor_b32_e32 v15, v27, v15
	v_cmp_ne_u64_e32 vcc, s[2:3], v[15:16]
	v_cndmask_b32_e32 v27, v28, v16, vcc
	v_cndmask_b32_e32 v26, 0, v15, vcc
	v_lshrrev_b64 v[26:27], s68, v[26:27]
	; wave barrier
	v_and_b32_e32 v27, s15, v26
	v_mul_lo_u32 v26, v27, 20
	v_lshl_add_u32 v62, v39, 2, v26
	v_and_b32_e32 v26, 1, v27
	v_add_co_u32_e32 v28, vcc, -1, v26
	v_addc_co_u32_e64 v63, s[0:1], 0, -1, vcc
	v_cmp_ne_u32_e32 vcc, 0, v26
	v_xor_b32_e32 v26, vcc_hi, v63
	v_and_b32_e32 v63, exec_hi, v26
	v_lshlrev_b32_e32 v26, 30, v27
	v_xor_b32_e32 v28, vcc_lo, v28
	v_cmp_gt_i64_e32 vcc, 0, v[25:26]
	v_not_b32_e32 v26, v26
	v_ashrrev_i32_e32 v26, 31, v26
	v_and_b32_e32 v28, exec_lo, v28
	v_xor_b32_e32 v64, vcc_hi, v26
	v_xor_b32_e32 v26, vcc_lo, v26
	v_and_b32_e32 v28, v28, v26
	v_lshlrev_b32_e32 v26, 29, v27
	v_cmp_gt_i64_e32 vcc, 0, v[25:26]
	v_not_b32_e32 v26, v26
	v_ashrrev_i32_e32 v26, 31, v26
	v_and_b32_e32 v63, v63, v64
	v_xor_b32_e32 v64, vcc_hi, v26
	v_xor_b32_e32 v26, vcc_lo, v26
	v_and_b32_e32 v28, v28, v26
	v_lshlrev_b32_e32 v26, 28, v27
	v_cmp_gt_i64_e32 vcc, 0, v[25:26]
	v_not_b32_e32 v26, v26
	v_ashrrev_i32_e32 v26, 31, v26
	v_and_b32_e32 v63, v63, v64
	;; [unrolled: 8-line block ×5, first 2 shown]
	v_xor_b32_e32 v64, vcc_hi, v26
	v_xor_b32_e32 v26, vcc_lo, v26
	v_and_b32_e32 v28, v28, v26
	v_lshlrev_b32_e32 v26, 24, v27
	v_cmp_gt_i64_e32 vcc, 0, v[25:26]
	v_not_b32_e32 v25, v26
	v_ashrrev_i32_e32 v25, 31, v25
	v_xor_b32_e32 v26, vcc_hi, v25
	v_xor_b32_e32 v25, vcc_lo, v25
	ds_read_b32 v61, v62 offset:16
	v_and_b32_e32 v63, v63, v64
	v_and_b32_e32 v25, v28, v25
	;; [unrolled: 1-line block ×3, first 2 shown]
	v_mbcnt_lo_u32_b32 v27, v25, 0
	v_mbcnt_hi_u32_b32 v63, v26, v27
	v_cmp_ne_u64_e32 vcc, 0, v[25:26]
	v_cmp_eq_u32_e64 s[0:1], 0, v63
	s_and_b64 s[2:3], vcc, s[0:1]
	; wave barrier
	s_and_saveexec_b64 s[0:1], s[2:3]
	s_cbranch_execz .LBB156_173
; %bb.172:
	v_bcnt_u32_b32 v25, v25, 0
	v_bcnt_u32_b32 v25, v26, v25
	s_waitcnt lgkmcnt(0)
	v_add_u32_e32 v25, v61, v25
	ds_write_b32 v62, v25 offset:16
.LBB156_173:
	s_or_b64 exec, exec, s[0:1]
	v_cmp_lt_i64_e32 vcc, -1, v[11:12]
	v_bfrev_b32_e32 v28, 1
	s_mov_b32 s2, -1
	v_cndmask_b32_e32 v25, -1, v28, vcc
	v_ashrrev_i32_e32 v26, 31, v12
	s_brev_b32 s3, -2
	v_xor_b32_e32 v12, v25, v12
	v_xor_b32_e32 v11, v26, v11
	v_cmp_ne_u64_e32 vcc, s[2:3], v[11:12]
	v_cndmask_b32_e32 v26, v28, v12, vcc
	v_cndmask_b32_e32 v25, 0, v11, vcc
	v_lshrrev_b64 v[25:26], s68, v[25:26]
	; wave barrier
	v_and_b32_e32 v27, s15, v25
	v_mul_lo_u32 v25, v27, 20
	v_and_b32_e32 v26, 1, v27
	v_add_co_u32_e32 v66, vcc, -1, v26
	v_addc_co_u32_e64 v67, s[0:1], 0, -1, vcc
	v_cmp_ne_u32_e32 vcc, 0, v26
	v_xor_b32_e32 v26, vcc_hi, v67
	v_lshl_add_u32 v65, v39, 2, v25
	v_mov_b32_e32 v25, 0
	v_and_b32_e32 v67, exec_hi, v26
	v_lshlrev_b32_e32 v26, 30, v27
	v_xor_b32_e32 v66, vcc_lo, v66
	v_cmp_gt_i64_e32 vcc, 0, v[25:26]
	v_not_b32_e32 v26, v26
	v_ashrrev_i32_e32 v26, 31, v26
	v_and_b32_e32 v66, exec_lo, v66
	v_xor_b32_e32 v68, vcc_hi, v26
	v_xor_b32_e32 v26, vcc_lo, v26
	v_and_b32_e32 v66, v66, v26
	v_lshlrev_b32_e32 v26, 29, v27
	v_cmp_gt_i64_e32 vcc, 0, v[25:26]
	v_not_b32_e32 v26, v26
	v_ashrrev_i32_e32 v26, 31, v26
	v_and_b32_e32 v67, v67, v68
	v_xor_b32_e32 v68, vcc_hi, v26
	v_xor_b32_e32 v26, vcc_lo, v26
	v_and_b32_e32 v66, v66, v26
	v_lshlrev_b32_e32 v26, 28, v27
	v_cmp_gt_i64_e32 vcc, 0, v[25:26]
	v_not_b32_e32 v26, v26
	v_ashrrev_i32_e32 v26, 31, v26
	v_and_b32_e32 v67, v67, v68
	;; [unrolled: 8-line block ×5, first 2 shown]
	v_xor_b32_e32 v68, vcc_hi, v26
	v_xor_b32_e32 v26, vcc_lo, v26
	v_and_b32_e32 v66, v66, v26
	v_lshlrev_b32_e32 v26, 24, v27
	v_cmp_gt_i64_e32 vcc, 0, v[25:26]
	v_not_b32_e32 v26, v26
	v_ashrrev_i32_e32 v26, 31, v26
	v_xor_b32_e32 v27, vcc_hi, v26
	v_xor_b32_e32 v26, vcc_lo, v26
	ds_read_b32 v64, v65 offset:16
	v_and_b32_e32 v67, v67, v68
	v_and_b32_e32 v26, v66, v26
	;; [unrolled: 1-line block ×3, first 2 shown]
	v_mbcnt_lo_u32_b32 v66, v26, 0
	v_mbcnt_hi_u32_b32 v66, v27, v66
	v_cmp_ne_u64_e32 vcc, 0, v[26:27]
	v_cmp_eq_u32_e64 s[0:1], 0, v66
	s_and_b64 s[4:5], vcc, s[0:1]
	; wave barrier
	s_and_saveexec_b64 s[0:1], s[4:5]
	s_cbranch_execz .LBB156_175
; %bb.174:
	v_bcnt_u32_b32 v26, v26, 0
	v_bcnt_u32_b32 v26, v27, v26
	s_waitcnt lgkmcnt(0)
	v_add_u32_e32 v26, v64, v26
	ds_write_b32 v65, v26 offset:16
.LBB156_175:
	s_or_b64 exec, exec, s[0:1]
	v_cmp_lt_i64_e32 vcc, -1, v[7:8]
	v_ashrrev_i32_e32 v27, 31, v8
	v_cndmask_b32_e32 v26, -1, v28, vcc
	v_xor_b32_e32 v8, v26, v8
	v_xor_b32_e32 v7, v27, v7
	v_cmp_ne_u64_e32 vcc, s[2:3], v[7:8]
	v_cndmask_b32_e32 v27, v28, v8, vcc
	v_cndmask_b32_e32 v26, 0, v7, vcc
	v_lshrrev_b64 v[26:27], s68, v[26:27]
	; wave barrier
	v_and_b32_e32 v27, s15, v26
	v_mul_lo_u32 v26, v27, 20
	v_lshl_add_u32 v67, v39, 2, v26
	v_and_b32_e32 v26, 1, v27
	v_add_co_u32_e32 v28, vcc, -1, v26
	v_addc_co_u32_e64 v68, s[0:1], 0, -1, vcc
	v_cmp_ne_u32_e32 vcc, 0, v26
	v_xor_b32_e32 v26, vcc_hi, v68
	v_and_b32_e32 v68, exec_hi, v26
	v_lshlrev_b32_e32 v26, 30, v27
	v_xor_b32_e32 v28, vcc_lo, v28
	v_cmp_gt_i64_e32 vcc, 0, v[25:26]
	v_not_b32_e32 v26, v26
	v_ashrrev_i32_e32 v26, 31, v26
	v_and_b32_e32 v28, exec_lo, v28
	v_xor_b32_e32 v69, vcc_hi, v26
	v_xor_b32_e32 v26, vcc_lo, v26
	v_and_b32_e32 v28, v28, v26
	v_lshlrev_b32_e32 v26, 29, v27
	v_cmp_gt_i64_e32 vcc, 0, v[25:26]
	v_not_b32_e32 v26, v26
	v_ashrrev_i32_e32 v26, 31, v26
	v_and_b32_e32 v68, v68, v69
	v_xor_b32_e32 v69, vcc_hi, v26
	v_xor_b32_e32 v26, vcc_lo, v26
	v_and_b32_e32 v28, v28, v26
	v_lshlrev_b32_e32 v26, 28, v27
	v_cmp_gt_i64_e32 vcc, 0, v[25:26]
	v_not_b32_e32 v26, v26
	v_ashrrev_i32_e32 v26, 31, v26
	v_and_b32_e32 v68, v68, v69
	;; [unrolled: 8-line block ×5, first 2 shown]
	v_xor_b32_e32 v69, vcc_hi, v26
	v_xor_b32_e32 v26, vcc_lo, v26
	v_and_b32_e32 v28, v28, v26
	v_lshlrev_b32_e32 v26, 24, v27
	v_cmp_gt_i64_e32 vcc, 0, v[25:26]
	v_not_b32_e32 v25, v26
	v_ashrrev_i32_e32 v25, 31, v25
	v_xor_b32_e32 v26, vcc_hi, v25
	v_xor_b32_e32 v25, vcc_lo, v25
	ds_read_b32 v39, v67 offset:16
	v_and_b32_e32 v68, v68, v69
	v_and_b32_e32 v25, v28, v25
	;; [unrolled: 1-line block ×3, first 2 shown]
	v_mbcnt_lo_u32_b32 v27, v25, 0
	v_mbcnt_hi_u32_b32 v68, v26, v27
	v_cmp_ne_u64_e32 vcc, 0, v[25:26]
	v_cmp_eq_u32_e64 s[0:1], 0, v68
	s_and_b64 s[2:3], vcc, s[0:1]
	; wave barrier
	s_and_saveexec_b64 s[0:1], s[2:3]
	s_cbranch_execz .LBB156_177
; %bb.176:
	v_bcnt_u32_b32 v25, v25, 0
	v_bcnt_u32_b32 v25, v26, v25
	s_waitcnt lgkmcnt(0)
	v_add_u32_e32 v25, v39, v25
	ds_write_b32 v67, v25 offset:16
.LBB156_177:
	s_or_b64 exec, exec, s[0:1]
	; wave barrier
	s_waitcnt lgkmcnt(0)
	s_barrier
	ds_read2_b32 v[27:28], v32 offset0:4 offset1:5
	ds_read2_b32 v[25:26], v32 offset0:6 offset1:7
	ds_read_b32 v69, v32 offset:32
	v_min_u32_e32 v33, 0xc0, v33
	v_or_b32_e32 v33, 63, v33
	s_waitcnt lgkmcnt(1)
	v_add3_u32 v70, v28, v27, v25
	s_waitcnt lgkmcnt(0)
	v_add3_u32 v69, v70, v26, v69
	v_and_b32_e32 v70, 15, v31
	v_cmp_ne_u32_e32 vcc, 0, v70
	v_mov_b32_dpp v71, v69 row_shr:1 row_mask:0xf bank_mask:0xf
	v_cndmask_b32_e32 v71, 0, v71, vcc
	v_add_u32_e32 v69, v71, v69
	v_cmp_lt_u32_e32 vcc, 1, v70
	s_nop 0
	v_mov_b32_dpp v71, v69 row_shr:2 row_mask:0xf bank_mask:0xf
	v_cndmask_b32_e32 v71, 0, v71, vcc
	v_add_u32_e32 v69, v69, v71
	v_cmp_lt_u32_e32 vcc, 3, v70
	s_nop 0
	;; [unrolled: 5-line block ×3, first 2 shown]
	v_mov_b32_dpp v71, v69 row_shr:8 row_mask:0xf bank_mask:0xf
	v_cndmask_b32_e32 v70, 0, v71, vcc
	v_add_u32_e32 v69, v69, v70
	v_bfe_i32 v71, v31, 4, 1
	v_cmp_lt_u32_e32 vcc, 31, v31
	v_mov_b32_dpp v70, v69 row_bcast:15 row_mask:0xf bank_mask:0xf
	v_and_b32_e32 v70, v71, v70
	v_add_u32_e32 v69, v69, v70
	s_nop 1
	v_mov_b32_dpp v70, v69 row_bcast:31 row_mask:0xf bank_mask:0xf
	v_cndmask_b32_e32 v70, 0, v70, vcc
	v_add_u32_e32 v69, v69, v70
	v_lshrrev_b32_e32 v70, 6, v0
	v_cmp_eq_u32_e32 vcc, v0, v33
	s_and_saveexec_b64 s[0:1], vcc
; %bb.178:
	v_lshlrev_b32_e32 v33, 2, v70
	ds_write_b32 v33, v69
; %bb.179:
	s_or_b64 exec, exec, s[0:1]
	v_cmp_gt_u32_e32 vcc, 4, v0
	s_waitcnt lgkmcnt(0)
	s_barrier
	s_and_saveexec_b64 s[0:1], vcc
	s_cbranch_execz .LBB156_181
; %bb.180:
	v_lshlrev_b32_e32 v33, 2, v0
	ds_read_b32 v71, v33
	v_and_b32_e32 v72, 3, v31
	v_cmp_ne_u32_e32 vcc, 0, v72
	s_waitcnt lgkmcnt(0)
	v_mov_b32_dpp v73, v71 row_shr:1 row_mask:0xf bank_mask:0xf
	v_cndmask_b32_e32 v73, 0, v73, vcc
	v_add_u32_e32 v71, v73, v71
	v_cmp_lt_u32_e32 vcc, 1, v72
	s_nop 0
	v_mov_b32_dpp v73, v71 row_shr:2 row_mask:0xf bank_mask:0xf
	v_cndmask_b32_e32 v72, 0, v73, vcc
	v_add_u32_e32 v71, v71, v72
	ds_write_b32 v33, v71
.LBB156_181:
	s_or_b64 exec, exec, s[0:1]
	v_cmp_lt_u32_e32 vcc, 63, v0
	v_mov_b32_e32 v33, 0
	s_waitcnt lgkmcnt(0)
	s_barrier
	s_and_saveexec_b64 s[0:1], vcc
; %bb.182:
	v_lshl_add_u32 v33, v70, 2, -4
	ds_read_b32 v33, v33
; %bb.183:
	s_or_b64 exec, exec, s[0:1]
	v_add_u32_e32 v70, -1, v31
	v_and_b32_e32 v71, 64, v31
	v_cmp_lt_i32_e32 vcc, v70, v71
	v_cndmask_b32_e32 v70, v70, v31, vcc
	s_waitcnt lgkmcnt(0)
	v_add_u32_e32 v69, v33, v69
	v_lshlrev_b32_e32 v70, 2, v70
	ds_bpermute_b32 v69, v70, v69
	v_cmp_eq_u32_e32 vcc, 0, v31
	s_movk_i32 s0, 0x100
	s_waitcnt lgkmcnt(0)
	v_cndmask_b32_e32 v31, v69, v33, vcc
	v_cmp_ne_u32_e32 vcc, 0, v0
	v_cndmask_b32_e32 v31, 0, v31, vcc
	v_add_u32_e32 v27, v31, v27
	v_add_u32_e32 v28, v27, v28
	v_add_u32_e32 v25, v28, v25
	v_add_u32_e32 v26, v25, v26
	ds_write2_b32 v32, v31, v27 offset0:4 offset1:5
	ds_write2_b32 v32, v28, v25 offset0:6 offset1:7
	ds_write_b32 v32, v26 offset:32
	s_waitcnt lgkmcnt(0)
	s_barrier
	ds_read_b32 v70, v56 offset:16
	ds_read_b32 v69, v59 offset:16
	;; [unrolled: 1-line block ×13, first 2 shown]
	v_add_u32_e32 v44, 1, v0
	v_cmp_ne_u32_e32 vcc, s0, v44
	v_mov_b32_e32 v32, 0xc00
	s_and_saveexec_b64 s[0:1], vcc
; %bb.184:
	v_mul_u32_u24_e32 v32, 20, v44
	ds_read_b32 v32, v32 offset:16
; %bb.185:
	s_or_b64 exec, exec, s[0:1]
	v_lshlrev_b32_e32 v35, 3, v35
	s_waitcnt lgkmcnt(7)
	v_lshl_add_u32 v26, v26, 3, v35
	s_waitcnt lgkmcnt(0)
	s_barrier
	ds_write_b64 v26, v[1:2] offset:2048
	v_lshlrev_b32_e32 v1, 3, v27
	v_lshlrev_b32_e32 v2, 3, v38
	;; [unrolled: 1-line block ×3, first 2 shown]
	v_add3_u32 v27, v1, v2, v27
	ds_write_b64 v27, v[3:4] offset:2048
	v_lshlrev_b32_e32 v1, 3, v28
	v_lshlrev_b32_e32 v2, 3, v42
	;; [unrolled: 1-line block ×3, first 2 shown]
	v_add3_u32 v28, v1, v2, v3
	v_lshlrev_b32_e32 v1, 3, v31
	v_lshlrev_b32_e32 v2, 3, v45
	;; [unrolled: 1-line block ×3, first 2 shown]
	v_add3_u32 v31, v1, v2, v3
	v_lshlrev_b32_e32 v1, 3, v41
	v_lshlrev_b32_e32 v2, 3, v48
	;; [unrolled: 1-line block ×3, first 2 shown]
	ds_write_b64 v28, v[5:6] offset:2048
	ds_write_b64 v31, v[9:10] offset:2048
	v_add3_u32 v9, v1, v2, v3
	v_lshlrev_b32_e32 v1, 3, v37
	v_lshlrev_b32_e32 v2, 3, v51
	v_lshlrev_b32_e32 v3, 3, v49
	v_add3_u32 v10, v1, v2, v3
	v_lshlrev_b32_e32 v1, 3, v34
	v_lshlrev_b32_e32 v2, 3, v54
	v_lshlrev_b32_e32 v3, 3, v52
	ds_write_b64 v9, v[13:14] offset:2048
	v_add3_u32 v13, v1, v2, v3
	v_lshlrev_b32_e32 v1, 3, v70
	v_lshlrev_b32_e32 v2, 3, v57
	v_lshlrev_b32_e32 v3, 3, v55
	v_add3_u32 v14, v1, v2, v3
	v_lshlrev_b32_e32 v1, 3, v69
	v_lshlrev_b32_e32 v2, 3, v60
	v_lshlrev_b32_e32 v3, 3, v58
	;; [unrolled: 9-line block ×3, first 2 shown]
	ds_write_b64 v13, v[21:22] offset:2048
	ds_write_b64 v14, v[23:24] offset:2048
	ds_write_b64 v17, v[19:20] offset:2048
	ds_write_b64 v18, v[15:16] offset:2048
	v_add3_u32 v15, v1, v2, v3
	v_lshlrev_b32_e32 v1, 3, v33
	v_lshlrev_b32_e32 v2, 3, v68
	;; [unrolled: 1-line block ×3, first 2 shown]
	ds_write_b64 v15, v[11:12] offset:2048
	v_add3_u32 v11, v1, v2, v3
	v_lshl_or_b32 v1, s6, 8, v0
	v_mov_b32_e32 v2, 0
	v_lshlrev_b64 v[3:4], 2, v[1:2]
	ds_write_b64 v11, v[7:8] offset:2048
	v_sub_u32_e32 v7, v32, v25
	v_mov_b32_e32 v8, s55
	v_add_co_u32_e32 v3, vcc, s54, v3
	v_addc_co_u32_e32 v4, vcc, v8, v4, vcc
	v_or_b32_e32 v1, 2.0, v7
	s_mov_b64 s[0:1], 0
	s_brev_b32 s8, -4
	v_mov_b32_e32 v12, 0
	s_waitcnt lgkmcnt(0)
	s_barrier
	global_store_dword v[3:4], v1, off
                                        ; implicit-def: $sgpr2_sgpr3
	s_branch .LBB156_188
.LBB156_186:                            ;   in Loop: Header=BB156_188 Depth=1
	s_or_b64 exec, exec, s[4:5]
.LBB156_187:                            ;   in Loop: Header=BB156_188 Depth=1
	s_or_b64 exec, exec, s[2:3]
	v_and_b32_e32 v5, 0x3fffffff, v1
	v_add_u32_e32 v12, v5, v12
	v_cmp_gt_i32_e64 s[2:3], -2.0, v1
	s_and_b64 s[4:5], exec, s[2:3]
	s_or_b64 s[0:1], s[4:5], s[0:1]
	s_andn2_b64 exec, exec, s[0:1]
	s_cbranch_execz .LBB156_193
.LBB156_188:                            ; =>This Loop Header: Depth=1
                                        ;     Child Loop BB156_191 Depth 2
	s_or_b64 s[2:3], s[2:3], exec
	s_cmp_eq_u32 s7, 0
	s_cbranch_scc1 .LBB156_192
; %bb.189:                              ;   in Loop: Header=BB156_188 Depth=1
	s_add_i32 s7, s7, -1
	v_lshl_or_b32 v1, s7, 8, v0
	v_lshlrev_b64 v[5:6], 2, v[1:2]
	v_add_co_u32_e32 v5, vcc, s54, v5
	v_addc_co_u32_e32 v6, vcc, v8, v6, vcc
	global_load_dword v1, v[5:6], off glc
	s_waitcnt vmcnt(0)
	v_cmp_gt_u32_e32 vcc, 2.0, v1
	s_and_saveexec_b64 s[2:3], vcc
	s_cbranch_execz .LBB156_187
; %bb.190:                              ;   in Loop: Header=BB156_188 Depth=1
	s_mov_b64 s[4:5], 0
.LBB156_191:                            ;   Parent Loop BB156_188 Depth=1
                                        ; =>  This Inner Loop Header: Depth=2
	global_load_dword v1, v[5:6], off glc
	s_waitcnt vmcnt(0)
	v_cmp_lt_u32_e32 vcc, s8, v1
	s_or_b64 s[4:5], vcc, s[4:5]
	s_andn2_b64 exec, exec, s[4:5]
	s_cbranch_execnz .LBB156_191
	s_branch .LBB156_186
.LBB156_192:                            ;   in Loop: Header=BB156_188 Depth=1
                                        ; implicit-def: $sgpr7
	s_and_b64 s[4:5], exec, s[2:3]
	s_or_b64 s[0:1], s[4:5], s[0:1]
	s_andn2_b64 exec, exec, s[0:1]
	s_cbranch_execnz .LBB156_188
.LBB156_193:
	s_or_b64 exec, exec, s[0:1]
	v_add_u32_e32 v1, v12, v7
	v_or_b32_e32 v1, 0x80000000, v1
	v_lshlrev_b32_e32 v0, 3, v0
	global_store_dword v[3:4], v1, off
	global_load_dwordx2 v[2:3], v0, s[64:65]
	v_sub_co_u32_e32 v4, vcc, v12, v25
	v_subb_co_u32_e64 v5, s[0:1], 0, 0, vcc
	s_mov_b32 s12, -1
	s_brev_b32 s13, -2
	v_bfrev_b32_e32 v1, 1
	v_mov_b32_e32 v8, s59
	v_mov_b32_e32 v12, s59
	;; [unrolled: 1-line block ×3, first 2 shown]
	v_or_b32_e32 v70, 0x2000, v0
	v_or_b32_e32 v71, 0x2800, v0
	;; [unrolled: 1-line block ×4, first 2 shown]
	s_movk_i32 s7, 0x1000
	s_waitcnt vmcnt(0)
	v_add_co_u32_e32 v2, vcc, v4, v2
	v_addc_co_u32_e32 v3, vcc, v5, v3, vcc
	ds_write_b64 v0, v[2:3]
	s_waitcnt lgkmcnt(0)
	s_barrier
	ds_read2st64_b64 v[3:6], v0 offset0:4 offset1:8
	ds_read2st64_b64 v[19:22], v0 offset0:12 offset1:16
	v_or_b32_e32 v2, 0x1000, v0
	s_waitcnt lgkmcnt(1)
	v_cmp_lt_i64_e64 s[0:1], -1, v[3:4]
	v_cmp_lt_i64_e64 s[2:3], -1, v[5:6]
	v_cmp_ne_u64_e32 vcc, s[12:13], v[3:4]
	v_cndmask_b32_e64 v23, v1, -1, s[0:1]
	v_ashrrev_i32_e32 v32, 31, v4
	v_cmp_ne_u64_e64 s[0:1], s[12:13], v[5:6]
	s_waitcnt lgkmcnt(0)
	v_cmp_lt_i64_e64 s[4:5], -1, v[19:20]
	v_cndmask_b32_e64 v34, v1, -1, s[2:3]
	v_cmp_ne_u64_e64 s[2:3], s[12:13], v[19:20]
	v_not_b32_e32 v32, v32
	v_cndmask_b32_e32 v24, v1, v4, vcc
	v_cndmask_b32_e64 v33, v1, v6, s[0:1]
	v_ashrrev_i32_e32 v36, 31, v6
	v_cndmask_b32_e64 v38, v1, -1, s[4:5]
	v_cmp_ne_u64_e64 s[4:5], s[12:13], v[21:22]
	v_xor_b32_e32 v4, v23, v4
	v_cndmask_b32_e32 v23, 0, v3, vcc
	v_xor_b32_e32 v3, v32, v3
	v_cndmask_b32_e64 v32, 0, v5, s[0:1]
	v_cndmask_b32_e64 v35, v1, v20, s[2:3]
	v_not_b32_e32 v36, v36
	v_xor_b32_e32 v6, v34, v6
	v_cndmask_b32_e64 v34, 0, v19, s[2:3]
	v_lshrrev_b64 v[23:24], s68, v[23:24]
	v_lshrrev_b64 v[32:33], s68, v[32:33]
	v_cndmask_b32_e64 v37, v1, v22, s[4:5]
	v_xor_b32_e32 v5, v36, v5
	v_cndmask_b32_e64 v36, 0, v21, s[4:5]
	v_lshrrev_b64 v[33:34], s68, v[34:35]
	v_lshrrev_b64 v[34:35], s68, v[36:37]
	v_and_b32_e32 v23, s15, v23
	v_and_b32_e32 v24, s15, v32
	;; [unrolled: 1-line block ×3, first 2 shown]
	v_lshlrev_b32_e32 v62, 3, v23
	v_and_b32_e32 v36, s15, v34
	v_lshlrev_b32_e32 v63, 3, v24
	v_lshlrev_b32_e32 v64, 3, v32
	ds_read_b64 v[23:24], v62
	ds_read_b64 v[32:33], v63
	;; [unrolled: 1-line block ×3, first 2 shown]
	v_lshlrev_b32_e32 v65, 3, v36
	ds_read_b64 v[36:37], v65
	s_waitcnt lgkmcnt(3)
	v_lshlrev_b64 v[23:24], 3, v[23:24]
	s_waitcnt lgkmcnt(2)
	v_lshlrev_b64 v[32:33], 3, v[32:33]
	v_add_co_u32_e32 v23, vcc, s58, v23
	v_addc_co_u32_e32 v8, vcc, v8, v24, vcc
	s_waitcnt lgkmcnt(1)
	v_lshlrev_b64 v[34:35], 3, v[34:35]
	v_add_co_u32_e32 v32, vcc, s58, v32
	v_addc_co_u32_e32 v12, vcc, v12, v33, vcc
	v_add_co_u32_e32 v34, vcc, s58, v34
	v_addc_co_u32_e32 v16, vcc, v16, v35, vcc
	;; [unrolled: 2-line block ×3, first 2 shown]
	v_add_co_u32_e32 v32, vcc, v32, v0
	v_ashrrev_i32_e32 v39, 31, v20
	v_addc_co_u32_e32 v33, vcc, 0, v12, vcc
	v_ashrrev_i32_e32 v41, 31, v22
	v_not_b32_e32 v39, v39
	v_add_co_u32_e32 v34, vcc, v34, v2
	v_xor_b32_e32 v20, v38, v20
	v_xor_b32_e32 v19, v39, v19
	v_addc_co_u32_e32 v35, vcc, 0, v16, vcc
	global_store_dwordx2 v[23:24], v[3:4], off
	global_store_dwordx2 v[32:33], v[5:6], off offset:2048
	global_store_dwordx2 v[34:35], v[19:20], off
	v_not_b32_e32 v3, v41
	v_xor_b32_e32 v19, v3, v21
	s_waitcnt lgkmcnt(0)
	v_lshlrev_b64 v[3:4], 3, v[36:37]
	v_mov_b32_e32 v5, s59
	v_add_co_u32_e32 v8, vcc, s58, v3
	v_addc_co_u32_e32 v12, vcc, v5, v4, vcc
	ds_read2st64_b64 v[3:6], v0 offset0:20 offset1:24
	v_cmp_lt_i64_e64 s[8:9], -1, v[21:22]
	v_or_b32_e32 v16, 0x1800, v0
	v_cndmask_b32_e64 v40, v1, -1, s[8:9]
	v_add_co_u32_e32 v21, vcc, v8, v16
	v_xor_b32_e32 v20, v40, v22
	v_addc_co_u32_e32 v22, vcc, 0, v12, vcc
	s_waitcnt lgkmcnt(0)
	v_cmp_ne_u64_e32 vcc, s[12:13], v[3:4]
	global_store_dwordx2 v[21:22], v[19:20], off
	v_ashrrev_i32_e32 v19, 31, v4
	v_not_b32_e32 v19, v19
	v_cndmask_b32_e32 v24, v1, v4, vcc
	v_cndmask_b32_e32 v23, 0, v3, vcc
	v_cmp_lt_i64_e32 vcc, -1, v[3:4]
	v_xor_b32_e32 v3, v19, v3
	ds_read2st64_b64 v[19:22], v0 offset0:28 offset1:32
	v_lshrrev_b64 v[23:24], s68, v[23:24]
	v_cndmask_b32_e64 v12, v1, -1, vcc
	v_cmp_ne_u64_e32 vcc, s[12:13], v[5:6]
	v_and_b32_e32 v8, s15, v23
	v_cndmask_b32_e32 v24, v1, v6, vcc
	v_cndmask_b32_e32 v23, 0, v5, vcc
	v_lshrrev_b64 v[23:24], s68, v[23:24]
	s_waitcnt lgkmcnt(0)
	v_cmp_ne_u64_e32 vcc, s[12:13], v[19:20]
	v_lshlrev_b32_e32 v66, 3, v8
	ds_read_b64 v[32:33], v66
	v_and_b32_e32 v8, s15, v23
	v_cndmask_b32_e32 v24, v1, v20, vcc
	v_cndmask_b32_e32 v23, 0, v19, vcc
	v_lshrrev_b64 v[23:24], s68, v[23:24]
	v_cmp_ne_u64_e32 vcc, s[12:13], v[21:22]
	v_lshlrev_b32_e32 v67, 3, v8
	v_and_b32_e32 v8, s15, v23
	v_cndmask_b32_e32 v24, v1, v22, vcc
	v_cndmask_b32_e32 v23, 0, v21, vcc
	v_lshrrev_b64 v[23:24], s68, v[23:24]
	s_waitcnt lgkmcnt(0)
	v_lshlrev_b64 v[32:33], 3, v[32:33]
	v_lshlrev_b32_e32 v68, 3, v8
	v_and_b32_e32 v8, s15, v23
	v_xor_b32_e32 v4, v12, v4
	v_lshlrev_b32_e32 v69, 3, v8
	v_mov_b32_e32 v8, s59
	v_add_co_u32_e32 v12, vcc, s58, v32
	v_addc_co_u32_e32 v8, vcc, v8, v33, vcc
	v_add_co_u32_e32 v32, vcc, v12, v70
	v_addc_co_u32_e32 v33, vcc, 0, v8, vcc
	ds_read_b64 v[23:24], v67
	ds_read_b64 v[34:35], v68
	ds_read_b64 v[36:37], v69
	v_cmp_lt_i64_e32 vcc, -1, v[5:6]
	global_store_dwordx2 v[32:33], v[3:4], off
	v_ashrrev_i32_e32 v4, 31, v6
	v_cndmask_b32_e64 v3, v1, -1, vcc
	v_not_b32_e32 v8, v4
	v_xor_b32_e32 v4, v3, v6
	v_xor_b32_e32 v3, v8, v5
	s_waitcnt lgkmcnt(2)
	v_lshlrev_b64 v[5:6], 3, v[23:24]
	v_mov_b32_e32 v8, s59
	v_add_co_u32_e32 v5, vcc, s58, v5
	v_addc_co_u32_e32 v6, vcc, v8, v6, vcc
	v_add_co_u32_e32 v5, vcc, v5, v71
	v_addc_co_u32_e32 v6, vcc, 0, v6, vcc
	v_cmp_lt_i64_e32 vcc, -1, v[19:20]
	global_store_dwordx2 v[5:6], v[3:4], off
	v_ashrrev_i32_e32 v4, 31, v20
	v_cndmask_b32_e64 v3, v1, -1, vcc
	v_not_b32_e32 v5, v4
	v_xor_b32_e32 v4, v3, v20
	v_xor_b32_e32 v3, v5, v19
	s_waitcnt lgkmcnt(1)
	v_lshlrev_b64 v[5:6], 3, v[34:35]
	s_add_u32 s0, s60, s10
	v_add_co_u32_e32 v5, vcc, s58, v5
	v_addc_co_u32_e32 v6, vcc, v8, v6, vcc
	v_add_co_u32_e32 v5, vcc, v5, v72
	v_addc_co_u32_e32 v6, vcc, 0, v6, vcc
	v_cmp_lt_i64_e32 vcc, -1, v[21:22]
	global_store_dwordx2 v[5:6], v[3:4], off
	v_ashrrev_i32_e32 v4, 31, v22
	v_cndmask_b32_e64 v3, v1, -1, vcc
	v_not_b32_e32 v4, v4
	v_xor_b32_e32 v20, v3, v22
	v_xor_b32_e32 v19, v4, v21
	s_waitcnt lgkmcnt(0)
	v_lshlrev_b64 v[3:4], 3, v[36:37]
	v_mov_b32_e32 v5, s59
	v_add_co_u32_e32 v8, vcc, s58, v3
	v_addc_co_u32_e32 v12, vcc, v5, v4, vcc
	ds_read2st64_b64 v[3:6], v0 offset0:36 offset1:40
	v_add_co_u32_e32 v21, vcc, v8, v73
	v_addc_co_u32_e32 v22, vcc, 0, v12, vcc
	s_waitcnt lgkmcnt(0)
	v_cmp_ne_u64_e32 vcc, s[12:13], v[3:4]
	global_store_dwordx2 v[21:22], v[19:20], off
	v_ashrrev_i32_e32 v19, 31, v4
	v_not_b32_e32 v19, v19
	v_cndmask_b32_e32 v24, v1, v4, vcc
	v_cndmask_b32_e32 v23, 0, v3, vcc
	v_cmp_lt_i64_e32 vcc, -1, v[3:4]
	v_xor_b32_e32 v3, v19, v3
	ds_read2st64_b64 v[19:22], v0 offset0:44 offset1:48
	v_lshrrev_b64 v[23:24], s68, v[23:24]
	v_cndmask_b32_e64 v12, v1, -1, vcc
	v_cmp_ne_u64_e32 vcc, s[12:13], v[5:6]
	v_and_b32_e32 v8, s15, v23
	v_cndmask_b32_e32 v24, v1, v6, vcc
	v_cndmask_b32_e32 v23, 0, v5, vcc
	v_lshrrev_b64 v[23:24], s68, v[23:24]
	s_waitcnt lgkmcnt(0)
	v_cmp_ne_u64_e32 vcc, s[12:13], v[19:20]
	v_lshlrev_b32_e32 v74, 3, v8
	v_and_b32_e32 v8, s15, v23
	v_cndmask_b32_e32 v24, v1, v20, vcc
	v_cndmask_b32_e32 v23, 0, v19, vcc
	v_lshrrev_b64 v[23:24], s68, v[23:24]
	v_cmp_ne_u64_e32 vcc, s[12:13], v[21:22]
	v_lshlrev_b32_e32 v75, 3, v8
	v_and_b32_e32 v8, s15, v23
	v_cndmask_b32_e32 v24, v1, v22, vcc
	v_cndmask_b32_e32 v23, 0, v21, vcc
	v_lshrrev_b64 v[23:24], s68, v[23:24]
	v_lshlrev_b32_e32 v76, 3, v8
	v_and_b32_e32 v8, s15, v23
	s_addc_u32 s1, s61, s11
	v_xor_b32_e32 v4, v12, v4
	v_lshlrev_b32_e32 v77, 3, v8
	v_mov_b32_e32 v8, s1
	v_add_co_u32_e32 v12, vcc, s0, v29
	v_addc_co_u32_e32 v8, vcc, 0, v8, vcc
	v_add_co_u32_e32 v29, vcc, v12, v30
	v_addc_co_u32_e32 v30, vcc, 0, v8, vcc
	ds_read_b64 v[32:33], v74
	ds_read_b64 v[23:24], v75
	;; [unrolled: 1-line block ×4, first 2 shown]
	global_load_dwordx2 v[38:39], v[29:30], off
	global_load_dwordx2 v[40:41], v[29:30], off offset:512
	global_load_dwordx2 v[42:43], v[29:30], off offset:1024
	;; [unrolled: 1-line block ×7, first 2 shown]
	v_add_co_u32_e32 v29, vcc, s7, v29
	v_addc_co_u32_e32 v30, vcc, 0, v30, vcc
	global_load_dwordx2 v[54:55], v[29:30], off
	global_load_dwordx2 v[56:57], v[29:30], off offset:512
	global_load_dwordx2 v[58:59], v[29:30], off offset:1024
	;; [unrolled: 1-line block ×3, first 2 shown]
	s_waitcnt lgkmcnt(3)
	v_lshlrev_b64 v[32:33], 3, v[32:33]
	v_mov_b32_e32 v8, s59
	v_add_co_u32_e32 v12, vcc, s58, v32
	v_addc_co_u32_e32 v8, vcc, v8, v33, vcc
	v_or_b32_e32 v32, 0x4000, v0
	v_add_co_u32_e32 v29, vcc, v12, v32
	v_addc_co_u32_e32 v30, vcc, 0, v8, vcc
	v_cmp_lt_i64_e32 vcc, -1, v[5:6]
	global_store_dwordx2 v[29:30], v[3:4], off
	v_ashrrev_i32_e32 v4, 31, v6
	v_cndmask_b32_e64 v3, v1, -1, vcc
	v_not_b32_e32 v8, v4
	v_xor_b32_e32 v4, v3, v6
	v_xor_b32_e32 v3, v8, v5
	s_waitcnt lgkmcnt(2)
	v_lshlrev_b64 v[5:6], 3, v[23:24]
	v_mov_b32_e32 v8, s59
	v_add_co_u32_e32 v5, vcc, s58, v5
	v_addc_co_u32_e32 v6, vcc, v8, v6, vcc
	v_or_b32_e32 v23, 0x4800, v0
	v_add_co_u32_e32 v5, vcc, v5, v23
	v_addc_co_u32_e32 v6, vcc, 0, v6, vcc
	v_cmp_lt_i64_e32 vcc, -1, v[19:20]
	global_store_dwordx2 v[5:6], v[3:4], off
	v_ashrrev_i32_e32 v4, 31, v20
	v_cndmask_b32_e64 v3, v1, -1, vcc
	v_not_b32_e32 v5, v4
	v_xor_b32_e32 v4, v3, v20
	v_xor_b32_e32 v3, v5, v19
	s_waitcnt lgkmcnt(1)
	v_lshlrev_b64 v[5:6], 3, v[34:35]
	v_or_b32_e32 v19, 0x5000, v0
	v_add_co_u32_e32 v5, vcc, s58, v5
	v_addc_co_u32_e32 v6, vcc, v8, v6, vcc
	v_add_co_u32_e32 v5, vcc, v5, v19
	v_addc_co_u32_e32 v6, vcc, 0, v6, vcc
	v_cmp_lt_i64_e32 vcc, -1, v[21:22]
	global_store_dwordx2 v[5:6], v[3:4], off
	s_waitcnt lgkmcnt(0)
	v_lshlrev_b64 v[5:6], 3, v[36:37]
	v_cndmask_b32_e64 v1, v1, -1, vcc
	v_xor_b32_e32 v4, v1, v22
	v_mov_b32_e32 v1, s59
	v_add_co_u32_e32 v5, vcc, s58, v5
	v_ashrrev_i32_e32 v3, 31, v22
	v_addc_co_u32_e32 v1, vcc, v1, v6, vcc
	v_or_b32_e32 v20, 0x5800, v0
	v_not_b32_e32 v3, v3
	v_add_co_u32_e32 v5, vcc, v5, v20
	v_xor_b32_e32 v3, v3, v21
	v_addc_co_u32_e32 v6, vcc, 0, v1, vcc
	global_store_dwordx2 v[5:6], v[3:4], off
	s_waitcnt vmcnt(0)
	s_barrier
	ds_write_b64 v26, v[38:39] offset:2048
	ds_write_b64 v27, v[40:41] offset:2048
	ds_write_b64 v28, v[42:43] offset:2048
	ds_write_b64 v31, v[44:45] offset:2048
	ds_write_b64 v9, v[46:47] offset:2048
	ds_write_b64 v10, v[48:49] offset:2048
	ds_write_b64 v13, v[50:51] offset:2048
	ds_write_b64 v14, v[52:53] offset:2048
	ds_write_b64 v17, v[54:55] offset:2048
	ds_write_b64 v18, v[56:57] offset:2048
	ds_write_b64 v15, v[58:59] offset:2048
	ds_write_b64 v11, v[60:61] offset:2048
	s_waitcnt lgkmcnt(0)
	s_barrier
	ds_read_b64 v[8:9], v62
	ds_read2st64_b64 v[3:6], v0 offset0:4 offset1:8
	ds_read_b64 v[10:11], v63
	ds_read_b64 v[12:13], v64
	ds_read_b64 v[14:15], v65
	s_waitcnt lgkmcnt(4)
	v_lshlrev_b64 v[8:9], 3, v[8:9]
	v_mov_b32_e32 v1, s63
	v_add_co_u32_e32 v8, vcc, s62, v8
	v_addc_co_u32_e32 v1, vcc, v1, v9, vcc
	v_add_co_u32_e32 v8, vcc, v8, v0
	v_addc_co_u32_e32 v9, vcc, 0, v1, vcc
	s_waitcnt lgkmcnt(3)
	global_store_dwordx2 v[8:9], v[3:4], off
	s_waitcnt lgkmcnt(2)
	v_lshlrev_b64 v[3:4], 3, v[10:11]
	v_mov_b32_e32 v1, s63
	v_add_co_u32_e32 v3, vcc, s62, v3
	v_addc_co_u32_e32 v1, vcc, v1, v4, vcc
	v_add_co_u32_e32 v3, vcc, v3, v0
	v_addc_co_u32_e32 v4, vcc, 0, v1, vcc
	s_waitcnt lgkmcnt(1)
	v_lshlrev_b64 v[8:9], 3, v[12:13]
	global_store_dwordx2 v[3:4], v[5:6], off offset:2048
	ds_read2st64_b64 v[3:6], v0 offset0:12 offset1:16
	v_mov_b32_e32 v1, s63
	v_add_co_u32_e32 v8, vcc, s62, v8
	v_addc_co_u32_e32 v9, vcc, v1, v9, vcc
	v_add_co_u32_e32 v1, vcc, v8, v2
	v_addc_co_u32_e32 v2, vcc, 0, v9, vcc
	s_waitcnt lgkmcnt(0)
	global_store_dwordx2 v[1:2], v[3:4], off
	v_lshlrev_b64 v[1:2], 3, v[14:15]
	v_mov_b32_e32 v3, s63
	v_add_co_u32_e32 v1, vcc, s62, v1
	v_addc_co_u32_e32 v2, vcc, v3, v2, vcc
	v_add_co_u32_e32 v1, vcc, v1, v16
	v_addc_co_u32_e32 v2, vcc, 0, v2, vcc
	global_store_dwordx2 v[1:2], v[5:6], off
	ds_read_b64 v[5:6], v66
	ds_read2st64_b64 v[1:4], v0 offset0:20 offset1:24
	ds_read_b64 v[8:9], v67
	ds_read_b64 v[10:11], v68
	;; [unrolled: 1-line block ×3, first 2 shown]
	s_waitcnt lgkmcnt(4)
	v_lshlrev_b64 v[5:6], 3, v[5:6]
	v_mov_b32_e32 v14, s63
	v_add_co_u32_e32 v5, vcc, s62, v5
	v_addc_co_u32_e32 v6, vcc, v14, v6, vcc
	v_add_co_u32_e32 v5, vcc, v5, v70
	v_addc_co_u32_e32 v6, vcc, 0, v6, vcc
	s_waitcnt lgkmcnt(3)
	global_store_dwordx2 v[5:6], v[1:2], off
	s_waitcnt lgkmcnt(2)
	v_lshlrev_b64 v[1:2], 3, v[8:9]
	v_mov_b32_e32 v5, s63
	v_add_co_u32_e32 v1, vcc, s62, v1
	v_addc_co_u32_e32 v2, vcc, v5, v2, vcc
	v_add_co_u32_e32 v1, vcc, v1, v71
	v_addc_co_u32_e32 v2, vcc, 0, v2, vcc
	s_waitcnt lgkmcnt(1)
	v_lshlrev_b64 v[5:6], 3, v[10:11]
	global_store_dwordx2 v[1:2], v[3:4], off
	ds_read2st64_b64 v[1:4], v0 offset0:28 offset1:32
	v_mov_b32_e32 v8, s63
	v_add_co_u32_e32 v5, vcc, s62, v5
	v_addc_co_u32_e32 v6, vcc, v8, v6, vcc
	v_add_co_u32_e32 v5, vcc, v5, v72
	v_addc_co_u32_e32 v6, vcc, 0, v6, vcc
	s_waitcnt lgkmcnt(0)
	global_store_dwordx2 v[5:6], v[1:2], off
	v_lshlrev_b64 v[1:2], 3, v[12:13]
	v_mov_b32_e32 v5, s63
	v_add_co_u32_e32 v1, vcc, s62, v1
	v_addc_co_u32_e32 v2, vcc, v5, v2, vcc
	v_add_co_u32_e32 v1, vcc, v1, v73
	v_addc_co_u32_e32 v2, vcc, 0, v2, vcc
	global_store_dwordx2 v[1:2], v[3:4], off
	ds_read_b64 v[5:6], v74
	ds_read2st64_b64 v[1:4], v0 offset0:36 offset1:40
	ds_read_b64 v[8:9], v75
	ds_read_b64 v[10:11], v76
	;; [unrolled: 1-line block ×3, first 2 shown]
	s_waitcnt lgkmcnt(4)
	v_lshlrev_b64 v[5:6], 3, v[5:6]
	s_add_i32 s14, s14, -1
	v_add_co_u32_e32 v5, vcc, s62, v5
	v_addc_co_u32_e32 v6, vcc, v14, v6, vcc
	v_add_co_u32_e32 v5, vcc, v5, v32
	v_addc_co_u32_e32 v6, vcc, 0, v6, vcc
	s_waitcnt lgkmcnt(3)
	global_store_dwordx2 v[5:6], v[1:2], off
	s_waitcnt lgkmcnt(2)
	v_lshlrev_b64 v[1:2], 3, v[8:9]
	v_mov_b32_e32 v5, s63
	v_add_co_u32_e32 v1, vcc, s62, v1
	v_addc_co_u32_e32 v2, vcc, v5, v2, vcc
	v_add_co_u32_e32 v1, vcc, v1, v23
	v_addc_co_u32_e32 v2, vcc, 0, v2, vcc
	s_waitcnt lgkmcnt(1)
	v_lshlrev_b64 v[5:6], 3, v[10:11]
	global_store_dwordx2 v[1:2], v[3:4], off
	ds_read2st64_b64 v[1:4], v0 offset0:44 offset1:48
	v_mov_b32_e32 v8, s63
	v_add_co_u32_e32 v5, vcc, s62, v5
	v_addc_co_u32_e32 v6, vcc, v8, v6, vcc
	v_add_co_u32_e32 v5, vcc, v5, v19
	v_addc_co_u32_e32 v6, vcc, 0, v6, vcc
	s_waitcnt lgkmcnt(0)
	global_store_dwordx2 v[5:6], v[1:2], off
	v_lshlrev_b64 v[1:2], 3, v[12:13]
	v_mov_b32_e32 v5, s63
	v_add_co_u32_e32 v1, vcc, s62, v1
	v_addc_co_u32_e32 v2, vcc, v5, v2, vcc
	v_add_co_u32_e32 v1, vcc, v1, v20
	v_addc_co_u32_e32 v2, vcc, 0, v2, vcc
	s_cmp_lg_u32 s6, s14
	global_store_dwordx2 v[1:2], v[3:4], off
	s_cbranch_scc1 .LBB156_195
; %bb.194:
	ds_read_b64 v[1:2], v0
	v_add_co_u32_e32 v3, vcc, v7, v25
	v_addc_co_u32_e64 v4, s[0:1], 0, 0, vcc
	s_waitcnt lgkmcnt(0)
	v_add_co_u32_e32 v1, vcc, v3, v1
	v_addc_co_u32_e32 v2, vcc, v4, v2, vcc
	global_store_dwordx2 v0, v[1:2], s[66:67]
.LBB156_195:
	s_endpgm
.LBB156_196:
	s_or_b64 exec, exec, s[0:1]
	s_and_saveexec_b64 s[0:1], s[28:29]
	s_cbranch_execz .LBB156_139
.LBB156_197:
	v_lshlrev_b32_e32 v3, 3, v27
	ds_read_b64 v[3:4], v3
	ds_read_b64 v[5:6], v34 offset:4096
	v_mov_b32_e32 v7, s63
	s_waitcnt lgkmcnt(1)
	v_lshlrev_b64 v[3:4], 3, v[3:4]
	v_add_co_u32_e32 v3, vcc, s62, v3
	v_addc_co_u32_e32 v4, vcc, v7, v4, vcc
	v_add_co_u32_e32 v3, vcc, v3, v34
	v_addc_co_u32_e32 v4, vcc, 0, v4, vcc
	s_waitcnt lgkmcnt(0)
	global_store_dwordx2 v[3:4], v[5:6], off offset:2048
	s_or_b64 exec, exec, s[0:1]
	s_and_saveexec_b64 s[0:1], s[30:31]
	s_cbranch_execnz .LBB156_140
.LBB156_198:
	s_or_b64 exec, exec, s[0:1]
	s_and_saveexec_b64 s[0:1], s[34:35]
	s_cbranch_execz .LBB156_141
.LBB156_199:
	v_lshlrev_b32_e32 v3, 3, v28
	ds_read_b64 v[3:4], v3
	ds_read_b64 v[5:6], v34 offset:8192
	v_mov_b32_e32 v7, s63
	s_waitcnt lgkmcnt(1)
	v_lshlrev_b64 v[3:4], 3, v[3:4]
	v_add_co_u32_e32 v3, vcc, s62, v3
	v_addc_co_u32_e32 v4, vcc, v7, v4, vcc
	v_lshlrev_b32_e32 v7, 3, v48
	v_add_co_u32_e32 v3, vcc, v3, v7
	v_addc_co_u32_e32 v4, vcc, 0, v4, vcc
	s_waitcnt lgkmcnt(0)
	global_store_dwordx2 v[3:4], v[5:6], off
	s_or_b64 exec, exec, s[0:1]
	s_and_saveexec_b64 s[0:1], s[36:37]
	s_cbranch_execnz .LBB156_142
.LBB156_200:
	s_or_b64 exec, exec, s[0:1]
	s_and_saveexec_b64 s[0:1], s[38:39]
	s_cbranch_execz .LBB156_143
.LBB156_201:
	v_lshlrev_b32_e32 v3, 3, v32
	ds_read_b64 v[3:4], v3
	ds_read_b64 v[5:6], v34 offset:12288
	v_mov_b32_e32 v7, s63
	s_waitcnt lgkmcnt(1)
	v_lshlrev_b64 v[3:4], 3, v[3:4]
	v_add_co_u32_e32 v3, vcc, s62, v3
	v_addc_co_u32_e32 v4, vcc, v7, v4, vcc
	v_lshlrev_b32_e32 v7, 3, v50
	v_add_co_u32_e32 v3, vcc, v3, v7
	v_addc_co_u32_e32 v4, vcc, 0, v4, vcc
	s_waitcnt lgkmcnt(0)
	global_store_dwordx2 v[3:4], v[5:6], off
	s_or_b64 exec, exec, s[0:1]
	s_and_saveexec_b64 s[0:1], s[40:41]
	s_cbranch_execnz .LBB156_144
.LBB156_202:
	s_or_b64 exec, exec, s[0:1]
	s_and_saveexec_b64 s[0:1], s[42:43]
	s_cbranch_execz .LBB156_145
.LBB156_203:
	v_lshlrev_b32_e32 v3, 3, v33
	ds_read_b64 v[3:4], v3
	ds_read_b64 v[5:6], v34 offset:16384
	v_mov_b32_e32 v7, s63
	s_waitcnt lgkmcnt(1)
	v_lshlrev_b64 v[3:4], 3, v[3:4]
	v_add_co_u32_e32 v3, vcc, s62, v3
	v_addc_co_u32_e32 v4, vcc, v7, v4, vcc
	v_lshlrev_b32_e32 v7, 3, v52
	v_add_co_u32_e32 v3, vcc, v3, v7
	v_addc_co_u32_e32 v4, vcc, 0, v4, vcc
	s_waitcnt lgkmcnt(0)
	global_store_dwordx2 v[3:4], v[5:6], off
	s_or_b64 exec, exec, s[0:1]
	s_and_saveexec_b64 s[0:1], s[44:45]
	s_cbranch_execnz .LBB156_146
.LBB156_204:
	s_or_b64 exec, exec, s[0:1]
	s_and_saveexec_b64 s[0:1], s[46:47]
	s_cbranch_execz .LBB156_147
.LBB156_205:
	v_lshlrev_b32_e32 v3, 3, v57
	ds_read_b64 v[3:4], v3
	ds_read_b64 v[5:6], v34 offset:20480
	v_mov_b32_e32 v7, s63
	s_waitcnt lgkmcnt(1)
	v_lshlrev_b64 v[3:4], 3, v[3:4]
	v_add_co_u32_e32 v3, vcc, s62, v3
	v_addc_co_u32_e32 v4, vcc, v7, v4, vcc
	v_lshlrev_b32_e32 v7, 3, v54
	v_add_co_u32_e32 v3, vcc, v3, v7
	v_addc_co_u32_e32 v4, vcc, 0, v4, vcc
	s_waitcnt lgkmcnt(0)
	global_store_dwordx2 v[3:4], v[5:6], off
	s_or_b64 exec, exec, s[0:1]
	s_and_saveexec_b64 s[0:1], s[48:49]
	s_cbranch_execnz .LBB156_148
.LBB156_206:
	s_or_b64 exec, exec, s[0:1]
	s_and_saveexec_b64 s[0:1], s[50:51]
	s_cbranch_execz .LBB156_149
.LBB156_207:
	v_lshlrev_b32_e32 v3, 3, v59
	ds_read_b64 v[3:4], v3
	ds_read_b64 v[5:6], v34 offset:24576
	v_mov_b32_e32 v7, s63
	s_waitcnt lgkmcnt(1)
	v_lshlrev_b64 v[3:4], 3, v[3:4]
	v_add_co_u32_e32 v3, vcc, s62, v3
	v_addc_co_u32_e32 v4, vcc, v7, v4, vcc
	v_lshlrev_b32_e32 v7, 3, v56
	v_add_co_u32_e32 v3, vcc, v3, v7
	v_addc_co_u32_e32 v4, vcc, 0, v4, vcc
	s_waitcnt lgkmcnt(0)
	global_store_dwordx2 v[3:4], v[5:6], off
	s_or_b64 exec, exec, s[0:1]
	s_add_i32 s33, s33, -1
	s_cmp_eq_u32 s6, s33
	s_cbranch_scc1 .LBB156_150
	s_branch .LBB156_151
	.section	.rodata,"a",@progbits
	.p2align	6, 0x0
	.amdhsa_kernel _ZN7rocprim17ROCPRIM_304000_NS6detail25onesweep_iteration_kernelINS1_34wrapped_radix_sort_onesweep_configINS0_14default_configEdN2at4cuda3cub6detail10OpaqueTypeILi8EEEEELb0EPKdPdPKSA_PSA_mNS0_19identity_decomposerEEEvT1_T2_T3_T4_jPT5_SO_PNS1_23onesweep_lookback_stateET6_jjj
		.amdhsa_group_segment_fixed_size 26624
		.amdhsa_private_segment_fixed_size 0
		.amdhsa_kernarg_size 336
		.amdhsa_user_sgpr_count 6
		.amdhsa_user_sgpr_private_segment_buffer 1
		.amdhsa_user_sgpr_dispatch_ptr 0
		.amdhsa_user_sgpr_queue_ptr 0
		.amdhsa_user_sgpr_kernarg_segment_ptr 1
		.amdhsa_user_sgpr_dispatch_id 0
		.amdhsa_user_sgpr_flat_scratch_init 0
		.amdhsa_user_sgpr_private_segment_size 0
		.amdhsa_uses_dynamic_stack 0
		.amdhsa_system_sgpr_private_segment_wavefront_offset 0
		.amdhsa_system_sgpr_workgroup_id_x 1
		.amdhsa_system_sgpr_workgroup_id_y 0
		.amdhsa_system_sgpr_workgroup_id_z 0
		.amdhsa_system_sgpr_workgroup_info 0
		.amdhsa_system_vgpr_workitem_id 2
		.amdhsa_next_free_vgpr 85
		.amdhsa_next_free_sgpr 98
		.amdhsa_reserve_vcc 1
		.amdhsa_reserve_flat_scratch 0
		.amdhsa_float_round_mode_32 0
		.amdhsa_float_round_mode_16_64 0
		.amdhsa_float_denorm_mode_32 3
		.amdhsa_float_denorm_mode_16_64 3
		.amdhsa_dx10_clamp 1
		.amdhsa_ieee_mode 1
		.amdhsa_fp16_overflow 0
		.amdhsa_exception_fp_ieee_invalid_op 0
		.amdhsa_exception_fp_denorm_src 0
		.amdhsa_exception_fp_ieee_div_zero 0
		.amdhsa_exception_fp_ieee_overflow 0
		.amdhsa_exception_fp_ieee_underflow 0
		.amdhsa_exception_fp_ieee_inexact 0
		.amdhsa_exception_int_div_zero 0
	.end_amdhsa_kernel
	.section	.text._ZN7rocprim17ROCPRIM_304000_NS6detail25onesweep_iteration_kernelINS1_34wrapped_radix_sort_onesweep_configINS0_14default_configEdN2at4cuda3cub6detail10OpaqueTypeILi8EEEEELb0EPKdPdPKSA_PSA_mNS0_19identity_decomposerEEEvT1_T2_T3_T4_jPT5_SO_PNS1_23onesweep_lookback_stateET6_jjj,"axG",@progbits,_ZN7rocprim17ROCPRIM_304000_NS6detail25onesweep_iteration_kernelINS1_34wrapped_radix_sort_onesweep_configINS0_14default_configEdN2at4cuda3cub6detail10OpaqueTypeILi8EEEEELb0EPKdPdPKSA_PSA_mNS0_19identity_decomposerEEEvT1_T2_T3_T4_jPT5_SO_PNS1_23onesweep_lookback_stateET6_jjj,comdat
.Lfunc_end156:
	.size	_ZN7rocprim17ROCPRIM_304000_NS6detail25onesweep_iteration_kernelINS1_34wrapped_radix_sort_onesweep_configINS0_14default_configEdN2at4cuda3cub6detail10OpaqueTypeILi8EEEEELb0EPKdPdPKSA_PSA_mNS0_19identity_decomposerEEEvT1_T2_T3_T4_jPT5_SO_PNS1_23onesweep_lookback_stateET6_jjj, .Lfunc_end156-_ZN7rocprim17ROCPRIM_304000_NS6detail25onesweep_iteration_kernelINS1_34wrapped_radix_sort_onesweep_configINS0_14default_configEdN2at4cuda3cub6detail10OpaqueTypeILi8EEEEELb0EPKdPdPKSA_PSA_mNS0_19identity_decomposerEEEvT1_T2_T3_T4_jPT5_SO_PNS1_23onesweep_lookback_stateET6_jjj
                                        ; -- End function
	.set _ZN7rocprim17ROCPRIM_304000_NS6detail25onesweep_iteration_kernelINS1_34wrapped_radix_sort_onesweep_configINS0_14default_configEdN2at4cuda3cub6detail10OpaqueTypeILi8EEEEELb0EPKdPdPKSA_PSA_mNS0_19identity_decomposerEEEvT1_T2_T3_T4_jPT5_SO_PNS1_23onesweep_lookback_stateET6_jjj.num_vgpr, 78
	.set _ZN7rocprim17ROCPRIM_304000_NS6detail25onesweep_iteration_kernelINS1_34wrapped_radix_sort_onesweep_configINS0_14default_configEdN2at4cuda3cub6detail10OpaqueTypeILi8EEEEELb0EPKdPdPKSA_PSA_mNS0_19identity_decomposerEEEvT1_T2_T3_T4_jPT5_SO_PNS1_23onesweep_lookback_stateET6_jjj.num_agpr, 0
	.set _ZN7rocprim17ROCPRIM_304000_NS6detail25onesweep_iteration_kernelINS1_34wrapped_radix_sort_onesweep_configINS0_14default_configEdN2at4cuda3cub6detail10OpaqueTypeILi8EEEEELb0EPKdPdPKSA_PSA_mNS0_19identity_decomposerEEEvT1_T2_T3_T4_jPT5_SO_PNS1_23onesweep_lookback_stateET6_jjj.numbered_sgpr, 78
	.set _ZN7rocprim17ROCPRIM_304000_NS6detail25onesweep_iteration_kernelINS1_34wrapped_radix_sort_onesweep_configINS0_14default_configEdN2at4cuda3cub6detail10OpaqueTypeILi8EEEEELb0EPKdPdPKSA_PSA_mNS0_19identity_decomposerEEEvT1_T2_T3_T4_jPT5_SO_PNS1_23onesweep_lookback_stateET6_jjj.num_named_barrier, 0
	.set _ZN7rocprim17ROCPRIM_304000_NS6detail25onesweep_iteration_kernelINS1_34wrapped_radix_sort_onesweep_configINS0_14default_configEdN2at4cuda3cub6detail10OpaqueTypeILi8EEEEELb0EPKdPdPKSA_PSA_mNS0_19identity_decomposerEEEvT1_T2_T3_T4_jPT5_SO_PNS1_23onesweep_lookback_stateET6_jjj.private_seg_size, 0
	.set _ZN7rocprim17ROCPRIM_304000_NS6detail25onesweep_iteration_kernelINS1_34wrapped_radix_sort_onesweep_configINS0_14default_configEdN2at4cuda3cub6detail10OpaqueTypeILi8EEEEELb0EPKdPdPKSA_PSA_mNS0_19identity_decomposerEEEvT1_T2_T3_T4_jPT5_SO_PNS1_23onesweep_lookback_stateET6_jjj.uses_vcc, 1
	.set _ZN7rocprim17ROCPRIM_304000_NS6detail25onesweep_iteration_kernelINS1_34wrapped_radix_sort_onesweep_configINS0_14default_configEdN2at4cuda3cub6detail10OpaqueTypeILi8EEEEELb0EPKdPdPKSA_PSA_mNS0_19identity_decomposerEEEvT1_T2_T3_T4_jPT5_SO_PNS1_23onesweep_lookback_stateET6_jjj.uses_flat_scratch, 0
	.set _ZN7rocprim17ROCPRIM_304000_NS6detail25onesweep_iteration_kernelINS1_34wrapped_radix_sort_onesweep_configINS0_14default_configEdN2at4cuda3cub6detail10OpaqueTypeILi8EEEEELb0EPKdPdPKSA_PSA_mNS0_19identity_decomposerEEEvT1_T2_T3_T4_jPT5_SO_PNS1_23onesweep_lookback_stateET6_jjj.has_dyn_sized_stack, 0
	.set _ZN7rocprim17ROCPRIM_304000_NS6detail25onesweep_iteration_kernelINS1_34wrapped_radix_sort_onesweep_configINS0_14default_configEdN2at4cuda3cub6detail10OpaqueTypeILi8EEEEELb0EPKdPdPKSA_PSA_mNS0_19identity_decomposerEEEvT1_T2_T3_T4_jPT5_SO_PNS1_23onesweep_lookback_stateET6_jjj.has_recursion, 0
	.set _ZN7rocprim17ROCPRIM_304000_NS6detail25onesweep_iteration_kernelINS1_34wrapped_radix_sort_onesweep_configINS0_14default_configEdN2at4cuda3cub6detail10OpaqueTypeILi8EEEEELb0EPKdPdPKSA_PSA_mNS0_19identity_decomposerEEEvT1_T2_T3_T4_jPT5_SO_PNS1_23onesweep_lookback_stateET6_jjj.has_indirect_call, 0
	.section	.AMDGPU.csdata,"",@progbits
; Kernel info:
; codeLenInByte = 20368
; TotalNumSgprs: 82
; NumVgprs: 78
; ScratchSize: 0
; MemoryBound: 0
; FloatMode: 240
; IeeeMode: 1
; LDSByteSize: 26624 bytes/workgroup (compile time only)
; SGPRBlocks: 12
; VGPRBlocks: 21
; NumSGPRsForWavesPerEU: 102
; NumVGPRsForWavesPerEU: 85
; Occupancy: 2
; WaveLimiterHint : 1
; COMPUTE_PGM_RSRC2:SCRATCH_EN: 0
; COMPUTE_PGM_RSRC2:USER_SGPR: 6
; COMPUTE_PGM_RSRC2:TRAP_HANDLER: 0
; COMPUTE_PGM_RSRC2:TGID_X_EN: 1
; COMPUTE_PGM_RSRC2:TGID_Y_EN: 0
; COMPUTE_PGM_RSRC2:TGID_Z_EN: 0
; COMPUTE_PGM_RSRC2:TIDIG_COMP_CNT: 2
	.section	.text._ZN7rocprim17ROCPRIM_304000_NS6detail25onesweep_iteration_kernelINS1_34wrapped_radix_sort_onesweep_configINS0_14default_configEdN2at4cuda3cub6detail10OpaqueTypeILi8EEEEELb0EPdSC_PSA_SD_mNS0_19identity_decomposerEEEvT1_T2_T3_T4_jPT5_SK_PNS1_23onesweep_lookback_stateET6_jjj,"axG",@progbits,_ZN7rocprim17ROCPRIM_304000_NS6detail25onesweep_iteration_kernelINS1_34wrapped_radix_sort_onesweep_configINS0_14default_configEdN2at4cuda3cub6detail10OpaqueTypeILi8EEEEELb0EPdSC_PSA_SD_mNS0_19identity_decomposerEEEvT1_T2_T3_T4_jPT5_SK_PNS1_23onesweep_lookback_stateET6_jjj,comdat
	.protected	_ZN7rocprim17ROCPRIM_304000_NS6detail25onesweep_iteration_kernelINS1_34wrapped_radix_sort_onesweep_configINS0_14default_configEdN2at4cuda3cub6detail10OpaqueTypeILi8EEEEELb0EPdSC_PSA_SD_mNS0_19identity_decomposerEEEvT1_T2_T3_T4_jPT5_SK_PNS1_23onesweep_lookback_stateET6_jjj ; -- Begin function _ZN7rocprim17ROCPRIM_304000_NS6detail25onesweep_iteration_kernelINS1_34wrapped_radix_sort_onesweep_configINS0_14default_configEdN2at4cuda3cub6detail10OpaqueTypeILi8EEEEELb0EPdSC_PSA_SD_mNS0_19identity_decomposerEEEvT1_T2_T3_T4_jPT5_SK_PNS1_23onesweep_lookback_stateET6_jjj
	.globl	_ZN7rocprim17ROCPRIM_304000_NS6detail25onesweep_iteration_kernelINS1_34wrapped_radix_sort_onesweep_configINS0_14default_configEdN2at4cuda3cub6detail10OpaqueTypeILi8EEEEELb0EPdSC_PSA_SD_mNS0_19identity_decomposerEEEvT1_T2_T3_T4_jPT5_SK_PNS1_23onesweep_lookback_stateET6_jjj
	.p2align	8
	.type	_ZN7rocprim17ROCPRIM_304000_NS6detail25onesweep_iteration_kernelINS1_34wrapped_radix_sort_onesweep_configINS0_14default_configEdN2at4cuda3cub6detail10OpaqueTypeILi8EEEEELb0EPdSC_PSA_SD_mNS0_19identity_decomposerEEEvT1_T2_T3_T4_jPT5_SK_PNS1_23onesweep_lookback_stateET6_jjj,@function
_ZN7rocprim17ROCPRIM_304000_NS6detail25onesweep_iteration_kernelINS1_34wrapped_radix_sort_onesweep_configINS0_14default_configEdN2at4cuda3cub6detail10OpaqueTypeILi8EEEEELb0EPdSC_PSA_SD_mNS0_19identity_decomposerEEEvT1_T2_T3_T4_jPT5_SK_PNS1_23onesweep_lookback_stateET6_jjj: ; @_ZN7rocprim17ROCPRIM_304000_NS6detail25onesweep_iteration_kernelINS1_34wrapped_radix_sort_onesweep_configINS0_14default_configEdN2at4cuda3cub6detail10OpaqueTypeILi8EEEEELb0EPdSC_PSA_SD_mNS0_19identity_decomposerEEEvT1_T2_T3_T4_jPT5_SK_PNS1_23onesweep_lookback_stateET6_jjj
; %bb.0:
	s_load_dwordx8 s[56:63], s[4:5], 0x0
	s_load_dwordx4 s[68:71], s[4:5], 0x44
	s_load_dwordx4 s[64:67], s[4:5], 0x28
	s_load_dwordx2 s[54:55], s[4:5], 0x38
	s_mov_b32 s7, s6
	s_mov_b64 s[0:1], -1
	s_waitcnt lgkmcnt(0)
	s_cmp_ge_u32 s6, s70
	s_mul_i32 s72, s6, 0xc00
	v_mbcnt_lo_u32_b32 v31, -1, 0
	s_cbranch_scc0 .LBB157_152
; %bb.1:
	s_load_dword s0, s[4:5], 0x20
	s_mul_i32 s74, s70, 0xfffff400
	s_mov_b32 s73, 0
	s_lshl_b64 s[70:71], s[72:73], 3
	v_mbcnt_hi_u32_b32 v34, -1, v31
	s_waitcnt lgkmcnt(0)
	s_add_i32 s74, s74, s0
	s_add_u32 s0, s56, s70
	s_addc_u32 s1, s57, s71
	v_and_b32_e32 v35, 0xc0, v0
	v_lshlrev_b32_e32 v32, 3, v34
	v_mul_u32_u24_e32 v3, 12, v35
	v_mov_b32_e32 v4, s1
	v_add_co_u32_e32 v5, vcc, s0, v32
	v_addc_co_u32_e32 v4, vcc, 0, v4, vcc
	v_lshlrev_b32_e32 v33, 3, v3
	v_add_co_u32_e32 v27, vcc, v5, v33
	v_mov_b32_e32 v5, -1
	v_addc_co_u32_e32 v28, vcc, 0, v4, vcc
	v_or_b32_e32 v29, v34, v3
	v_bfrev_b32_e32 v6, -2
	v_mov_b32_e32 v3, v5
	v_cmp_gt_u32_e64 s[0:1], s74, v29
	v_mov_b32_e32 v4, v6
	s_and_saveexec_b64 s[2:3], s[0:1]
	s_cbranch_execz .LBB157_3
; %bb.2:
	global_load_dwordx2 v[3:4], v[27:28], off
.LBB157_3:
	s_or_b64 exec, exec, s[2:3]
	v_add_u32_e32 v7, 64, v29
	v_cmp_gt_u32_e64 s[2:3], s74, v7
	s_and_saveexec_b64 s[8:9], s[2:3]
	s_cbranch_execz .LBB157_5
; %bb.4:
	global_load_dwordx2 v[5:6], v[27:28], off offset:512
.LBB157_5:
	s_or_b64 exec, exec, s[8:9]
	v_mov_b32_e32 v13, -1
	v_add_u32_e32 v7, 0x80, v29
	v_bfrev_b32_e32 v14, -2
	v_mov_b32_e32 v9, v13
	v_cmp_gt_u32_e64 s[52:53], s74, v7
	v_mov_b32_e32 v10, v14
	s_and_saveexec_b64 s[8:9], s[52:53]
	s_cbranch_execz .LBB157_7
; %bb.6:
	global_load_dwordx2 v[9:10], v[27:28], off offset:1024
.LBB157_7:
	s_or_b64 exec, exec, s[8:9]
	v_add_u32_e32 v7, 0xc0, v29
	v_cmp_gt_u32_e64 s[8:9], s74, v7
	s_and_saveexec_b64 s[10:11], s[8:9]
	s_cbranch_execz .LBB157_9
; %bb.8:
	global_load_dwordx2 v[13:14], v[27:28], off offset:1536
.LBB157_9:
	s_or_b64 exec, exec, s[10:11]
	v_mov_b32_e32 v23, -1
	v_add_u32_e32 v7, 0x100, v29
	v_bfrev_b32_e32 v24, -2
	v_mov_b32_e32 v17, v23
	v_cmp_gt_u32_e64 s[10:11], s74, v7
	v_mov_b32_e32 v18, v24
	s_and_saveexec_b64 s[12:13], s[10:11]
	s_cbranch_execz .LBB157_11
; %bb.10:
	global_load_dwordx2 v[17:18], v[27:28], off offset:2048
.LBB157_11:
	s_or_b64 exec, exec, s[12:13]
	v_add_u32_e32 v7, 0x140, v29
	v_cmp_gt_u32_e64 s[12:13], s74, v7
	s_and_saveexec_b64 s[14:15], s[12:13]
	s_cbranch_execz .LBB157_13
; %bb.12:
	global_load_dwordx2 v[23:24], v[27:28], off offset:2560
.LBB157_13:
	s_or_b64 exec, exec, s[14:15]
	v_bfrev_b32_e32 v22, -2
	v_add_u32_e32 v7, 0x180, v29
	v_mov_b32_e32 v21, -1
	v_mov_b32_e32 v26, v22
	v_cmp_gt_u32_e64 s[14:15], s74, v7
	v_mov_b32_e32 v25, v21
	s_and_saveexec_b64 s[16:17], s[14:15]
	s_cbranch_execz .LBB157_15
; %bb.14:
	global_load_dwordx2 v[25:26], v[27:28], off offset:3072
.LBB157_15:
	s_or_b64 exec, exec, s[16:17]
	v_add_u32_e32 v7, 0x1c0, v29
	v_cmp_gt_u32_e64 s[16:17], s74, v7
	s_and_saveexec_b64 s[18:19], s[16:17]
	s_cbranch_execz .LBB157_17
; %bb.16:
	global_load_dwordx2 v[21:22], v[27:28], off offset:3584
.LBB157_17:
	s_or_b64 exec, exec, s[18:19]
	v_bfrev_b32_e32 v16, -2
	v_add_u32_e32 v7, 0x200, v29
	v_mov_b32_e32 v15, -1
	v_mov_b32_e32 v20, v16
	v_cmp_gt_u32_e64 s[18:19], s74, v7
	v_mov_b32_e32 v19, v15
	s_and_saveexec_b64 s[20:21], s[18:19]
	s_cbranch_execz .LBB157_19
; %bb.18:
	v_add_co_u32_e32 v7, vcc, 0x1000, v27
	v_addc_co_u32_e32 v8, vcc, 0, v28, vcc
	global_load_dwordx2 v[19:20], v[7:8], off
.LBB157_19:
	s_or_b64 exec, exec, s[20:21]
	v_add_u32_e32 v7, 0x240, v29
	v_cmp_gt_u32_e64 s[20:21], s74, v7
	s_and_saveexec_b64 s[22:23], s[20:21]
	s_cbranch_execz .LBB157_21
; %bb.20:
	v_add_co_u32_e32 v7, vcc, 0x1000, v27
	v_addc_co_u32_e32 v8, vcc, 0, v28, vcc
	global_load_dwordx2 v[15:16], v[7:8], off offset:512
.LBB157_21:
	s_or_b64 exec, exec, s[22:23]
	v_add_u32_e32 v7, 0x280, v29
	v_bfrev_b32_e32 v8, -2
	v_cmp_gt_u32_e64 s[22:23], s74, v7
	v_mov_b32_e32 v7, -1
	v_mov_b32_e32 v12, v8
	v_mov_b32_e32 v11, v7
	s_and_saveexec_b64 s[24:25], s[22:23]
	s_cbranch_execz .LBB157_23
; %bb.22:
	v_add_co_u32_e32 v11, vcc, 0x1000, v27
	v_addc_co_u32_e32 v12, vcc, 0, v28, vcc
	global_load_dwordx2 v[11:12], v[11:12], off offset:1024
.LBB157_23:
	s_or_b64 exec, exec, s[24:25]
	v_add_u32_e32 v29, 0x2c0, v29
	s_mov_b32 s26, -1
	v_cmp_gt_u32_e64 s[24:25], s74, v29
	s_brev_b32 s27, -2
	s_and_saveexec_b64 s[28:29], s[24:25]
	s_cbranch_execz .LBB157_25
; %bb.24:
	v_add_co_u32_e32 v7, vcc, 0x1000, v27
	v_addc_co_u32_e32 v8, vcc, 0, v28, vcc
	global_load_dwordx2 v[7:8], v[7:8], off offset:1536
.LBB157_25:
	s_or_b64 exec, exec, s[28:29]
	s_load_dword s28, s[4:5], 0x5c
	s_load_dword s33, s[4:5], 0x50
	s_add_u32 s29, s4, 0x50
	s_addc_u32 s30, s5, 0
	v_mov_b32_e32 v27, 0
	s_waitcnt lgkmcnt(0)
	s_lshr_b32 s31, s28, 16
	s_cmp_lt_u32 s6, s33
	s_cselect_b32 s28, 12, 18
	s_add_u32 s28, s29, s28
	s_addc_u32 s29, s30, 0
	global_load_ushort v30, v27, s[28:29]
	s_waitcnt vmcnt(1)
	v_cmp_lt_i64_e32 vcc, -1, v[3:4]
	v_bfrev_b32_e32 v39, 1
	v_ashrrev_i32_e32 v28, 31, v4
	v_cndmask_b32_e32 v29, -1, v39, vcc
	v_xor_b32_e32 v3, v28, v3
	v_xor_b32_e32 v4, v29, v4
	v_cmp_ne_u64_e32 vcc, s[26:27], v[3:4]
	s_lshl_b32 s26, -1, s69
	v_cndmask_b32_e32 v29, v39, v4, vcc
	v_cndmask_b32_e32 v28, 0, v3, vcc
	v_lshrrev_b64 v[28:29], s68, v[28:29]
	s_not_b32 s73, s26
	v_and_b32_e32 v29, s73, v28
	v_and_b32_e32 v40, 1, v29
	v_add_co_u32_e32 v41, vcc, -1, v40
	v_lshlrev_b32_e32 v28, 30, v29
	v_addc_co_u32_e64 v42, s[26:27], 0, -1, vcc
	v_cmp_ne_u32_e32 vcc, 0, v40
	v_cmp_gt_i64_e64 s[26:27], 0, v[27:28]
	v_not_b32_e32 v40, v28
	v_lshlrev_b32_e32 v28, 29, v29
	v_xor_b32_e32 v42, vcc_hi, v42
	v_xor_b32_e32 v41, vcc_lo, v41
	v_ashrrev_i32_e32 v40, 31, v40
	v_cmp_gt_i64_e32 vcc, 0, v[27:28]
	v_not_b32_e32 v43, v28
	v_lshlrev_b32_e32 v28, 28, v29
	v_and_b32_e32 v42, exec_hi, v42
	v_and_b32_e32 v41, exec_lo, v41
	v_xor_b32_e32 v44, s27, v40
	v_xor_b32_e32 v40, s26, v40
	v_ashrrev_i32_e32 v43, 31, v43
	v_cmp_gt_i64_e64 s[26:27], 0, v[27:28]
	v_not_b32_e32 v45, v28
	v_lshlrev_b32_e32 v28, 27, v29
	v_and_b32_e32 v42, v42, v44
	v_and_b32_e32 v40, v41, v40
	v_xor_b32_e32 v41, vcc_hi, v43
	v_xor_b32_e32 v43, vcc_lo, v43
	v_ashrrev_i32_e32 v44, 31, v45
	v_cmp_gt_i64_e32 vcc, 0, v[27:28]
	v_not_b32_e32 v45, v28
	v_lshlrev_b32_e32 v28, 26, v29
	v_and_b32_e32 v41, v42, v41
	v_and_b32_e32 v40, v40, v43
	v_xor_b32_e32 v42, s27, v44
	v_xor_b32_e32 v43, s26, v44
	v_ashrrev_i32_e32 v44, 31, v45
	v_cmp_gt_i64_e64 s[26:27], 0, v[27:28]
	v_not_b32_e32 v45, v28
	v_lshlrev_b32_e32 v28, 25, v29
	v_and_b32_e32 v41, v41, v42
	v_and_b32_e32 v40, v40, v43
	v_xor_b32_e32 v42, vcc_hi, v44
	v_xor_b32_e32 v43, vcc_lo, v44
	v_ashrrev_i32_e32 v44, 31, v45
	v_mad_u32_u24 v37, v2, s31, v1
	v_mul_lo_u32 v38, v29, 20
	v_cmp_gt_i64_e32 vcc, 0, v[27:28]
	v_not_b32_e32 v45, v28
	v_lshlrev_b32_e32 v28, 24, v29
	v_and_b32_e32 v29, v41, v42
	v_xor_b32_e32 v41, s27, v44
	v_xor_b32_e32 v42, s26, v44
	v_and_b32_e32 v41, v29, v41
	v_and_b32_e32 v40, v40, v43
	v_ashrrev_i32_e32 v43, 31, v45
	v_and_b32_e32 v40, v40, v42
	v_xor_b32_e32 v42, vcc_hi, v43
	v_mul_u32_u24_e32 v36, 20, v0
	ds_write2_b32 v36, v27, v27 offset0:4 offset1:5
	ds_write2_b32 v36, v27, v27 offset0:6 offset1:7
	ds_write_b32 v36, v27 offset:32
	s_waitcnt vmcnt(0) lgkmcnt(0)
	s_barrier
	; wave barrier
	v_mad_u64_u32 v[29:30], s[26:27], v37, v30, v[0:1]
	v_xor_b32_e32 v30, vcc_lo, v43
	v_cmp_gt_i64_e32 vcc, 0, v[27:28]
	v_not_b32_e32 v28, v28
	v_ashrrev_i32_e32 v28, 31, v28
	v_and_b32_e32 v40, v40, v30
	v_lshrrev_b32_e32 v30, 6, v29
	v_xor_b32_e32 v29, vcc_hi, v28
	v_xor_b32_e32 v28, vcc_lo, v28
	v_and_b32_e32 v37, v41, v42
	v_and_b32_e32 v28, v40, v28
	;; [unrolled: 1-line block ×3, first 2 shown]
	v_mbcnt_lo_u32_b32 v37, v28, 0
	v_mbcnt_hi_u32_b32 v37, v29, v37
	v_cmp_ne_u64_e32 vcc, 0, v[28:29]
	v_cmp_eq_u32_e64 s[26:27], 0, v37
	v_lshl_add_u32 v38, v30, 2, v38
	s_and_b64 s[28:29], vcc, s[26:27]
	s_and_saveexec_b64 s[26:27], s[28:29]
; %bb.26:
	v_bcnt_u32_b32 v28, v28, 0
	v_bcnt_u32_b32 v28, v29, v28
	ds_write_b32 v38, v28 offset:16
; %bb.27:
	s_or_b64 exec, exec, s[26:27]
	v_cmp_lt_i64_e32 vcc, -1, v[5:6]
	s_mov_b32 s28, -1
	v_cndmask_b32_e32 v28, -1, v39, vcc
	v_ashrrev_i32_e32 v29, 31, v6
	s_brev_b32 s29, -2
	v_xor_b32_e32 v6, v28, v6
	v_xor_b32_e32 v5, v29, v5
	v_cmp_ne_u64_e32 vcc, s[28:29], v[5:6]
	v_cndmask_b32_e32 v29, v39, v6, vcc
	v_cndmask_b32_e32 v28, 0, v5, vcc
	v_lshrrev_b64 v[28:29], s68, v[28:29]
	; wave barrier
	v_and_b32_e32 v29, s73, v28
	v_mul_lo_u32 v28, v29, 20
	v_lshl_add_u32 v40, v30, 2, v28
	v_and_b32_e32 v28, 1, v29
	v_add_co_u32_e32 v41, vcc, -1, v28
	v_addc_co_u32_e64 v42, s[26:27], 0, -1, vcc
	v_cmp_ne_u32_e32 vcc, 0, v28
	v_xor_b32_e32 v28, vcc_hi, v42
	v_and_b32_e32 v42, exec_hi, v28
	v_lshlrev_b32_e32 v28, 30, v29
	v_xor_b32_e32 v41, vcc_lo, v41
	v_cmp_gt_i64_e32 vcc, 0, v[27:28]
	v_not_b32_e32 v28, v28
	v_ashrrev_i32_e32 v28, 31, v28
	v_and_b32_e32 v41, exec_lo, v41
	v_xor_b32_e32 v43, vcc_hi, v28
	v_xor_b32_e32 v28, vcc_lo, v28
	v_and_b32_e32 v41, v41, v28
	v_lshlrev_b32_e32 v28, 29, v29
	v_cmp_gt_i64_e32 vcc, 0, v[27:28]
	v_not_b32_e32 v28, v28
	v_ashrrev_i32_e32 v28, 31, v28
	v_and_b32_e32 v42, v42, v43
	v_xor_b32_e32 v43, vcc_hi, v28
	v_xor_b32_e32 v28, vcc_lo, v28
	v_and_b32_e32 v41, v41, v28
	v_lshlrev_b32_e32 v28, 28, v29
	v_cmp_gt_i64_e32 vcc, 0, v[27:28]
	v_not_b32_e32 v28, v28
	v_ashrrev_i32_e32 v28, 31, v28
	v_and_b32_e32 v42, v42, v43
	;; [unrolled: 8-line block ×5, first 2 shown]
	v_xor_b32_e32 v43, vcc_hi, v28
	v_xor_b32_e32 v28, vcc_lo, v28
	v_and_b32_e32 v41, v41, v28
	v_lshlrev_b32_e32 v28, 24, v29
	v_cmp_gt_i64_e32 vcc, 0, v[27:28]
	v_not_b32_e32 v27, v28
	v_ashrrev_i32_e32 v27, 31, v27
	v_xor_b32_e32 v28, vcc_hi, v27
	v_xor_b32_e32 v27, vcc_lo, v27
	ds_read_b32 v39, v40 offset:16
	v_and_b32_e32 v42, v42, v43
	v_and_b32_e32 v27, v41, v27
	;; [unrolled: 1-line block ×3, first 2 shown]
	v_mbcnt_lo_u32_b32 v29, v27, 0
	v_mbcnt_hi_u32_b32 v41, v28, v29
	v_cmp_ne_u64_e32 vcc, 0, v[27:28]
	v_cmp_eq_u32_e64 s[26:27], 0, v41
	s_and_b64 s[30:31], vcc, s[26:27]
	; wave barrier
	s_and_saveexec_b64 s[26:27], s[30:31]
	s_cbranch_execz .LBB157_29
; %bb.28:
	v_bcnt_u32_b32 v27, v27, 0
	v_bcnt_u32_b32 v27, v28, v27
	s_waitcnt lgkmcnt(0)
	v_add_u32_e32 v27, v39, v27
	ds_write_b32 v40, v27 offset:16
.LBB157_29:
	s_or_b64 exec, exec, s[26:27]
	v_cmp_lt_i64_e32 vcc, -1, v[9:10]
	v_bfrev_b32_e32 v45, 1
	v_cndmask_b32_e32 v27, -1, v45, vcc
	v_ashrrev_i32_e32 v28, 31, v10
	v_xor_b32_e32 v10, v27, v10
	v_xor_b32_e32 v9, v28, v9
	v_cmp_ne_u64_e32 vcc, s[28:29], v[9:10]
	v_cndmask_b32_e32 v28, v45, v10, vcc
	v_cndmask_b32_e32 v27, 0, v9, vcc
	v_lshrrev_b64 v[27:28], s68, v[27:28]
	; wave barrier
	v_and_b32_e32 v29, s73, v27
	v_mul_lo_u32 v27, v29, 20
	v_and_b32_e32 v28, 1, v29
	v_add_co_u32_e32 v44, vcc, -1, v28
	v_addc_co_u32_e64 v46, s[26:27], 0, -1, vcc
	v_cmp_ne_u32_e32 vcc, 0, v28
	v_xor_b32_e32 v28, vcc_hi, v46
	v_lshl_add_u32 v43, v30, 2, v27
	v_mov_b32_e32 v27, 0
	v_and_b32_e32 v46, exec_hi, v28
	v_lshlrev_b32_e32 v28, 30, v29
	v_xor_b32_e32 v44, vcc_lo, v44
	v_cmp_gt_i64_e32 vcc, 0, v[27:28]
	v_not_b32_e32 v28, v28
	v_ashrrev_i32_e32 v28, 31, v28
	v_and_b32_e32 v44, exec_lo, v44
	v_xor_b32_e32 v47, vcc_hi, v28
	v_xor_b32_e32 v28, vcc_lo, v28
	v_and_b32_e32 v44, v44, v28
	v_lshlrev_b32_e32 v28, 29, v29
	v_cmp_gt_i64_e32 vcc, 0, v[27:28]
	v_not_b32_e32 v28, v28
	v_ashrrev_i32_e32 v28, 31, v28
	v_and_b32_e32 v46, v46, v47
	v_xor_b32_e32 v47, vcc_hi, v28
	v_xor_b32_e32 v28, vcc_lo, v28
	v_and_b32_e32 v44, v44, v28
	v_lshlrev_b32_e32 v28, 28, v29
	v_cmp_gt_i64_e32 vcc, 0, v[27:28]
	v_not_b32_e32 v28, v28
	v_ashrrev_i32_e32 v28, 31, v28
	v_and_b32_e32 v46, v46, v47
	;; [unrolled: 8-line block ×5, first 2 shown]
	v_xor_b32_e32 v47, vcc_hi, v28
	v_xor_b32_e32 v28, vcc_lo, v28
	v_and_b32_e32 v44, v44, v28
	v_lshlrev_b32_e32 v28, 24, v29
	v_cmp_gt_i64_e32 vcc, 0, v[27:28]
	v_not_b32_e32 v28, v28
	v_ashrrev_i32_e32 v28, 31, v28
	v_xor_b32_e32 v29, vcc_hi, v28
	v_xor_b32_e32 v28, vcc_lo, v28
	ds_read_b32 v42, v43 offset:16
	v_and_b32_e32 v46, v46, v47
	v_and_b32_e32 v28, v44, v28
	;; [unrolled: 1-line block ×3, first 2 shown]
	v_mbcnt_lo_u32_b32 v44, v28, 0
	v_mbcnt_hi_u32_b32 v44, v29, v44
	v_cmp_ne_u64_e32 vcc, 0, v[28:29]
	v_cmp_eq_u32_e64 s[26:27], 0, v44
	s_and_b64 s[28:29], vcc, s[26:27]
	; wave barrier
	s_and_saveexec_b64 s[26:27], s[28:29]
	s_cbranch_execz .LBB157_31
; %bb.30:
	v_bcnt_u32_b32 v28, v28, 0
	v_bcnt_u32_b32 v28, v29, v28
	s_waitcnt lgkmcnt(0)
	v_add_u32_e32 v28, v42, v28
	ds_write_b32 v43, v28 offset:16
.LBB157_31:
	s_or_b64 exec, exec, s[26:27]
	v_cmp_lt_i64_e32 vcc, -1, v[13:14]
	s_mov_b32 s28, -1
	v_cndmask_b32_e32 v28, -1, v45, vcc
	v_ashrrev_i32_e32 v29, 31, v14
	s_brev_b32 s29, -2
	v_xor_b32_e32 v14, v28, v14
	v_xor_b32_e32 v13, v29, v13
	v_cmp_ne_u64_e32 vcc, s[28:29], v[13:14]
	v_cndmask_b32_e32 v29, v45, v14, vcc
	v_cndmask_b32_e32 v28, 0, v13, vcc
	v_lshrrev_b64 v[28:29], s68, v[28:29]
	; wave barrier
	v_and_b32_e32 v29, s73, v28
	v_mul_lo_u32 v28, v29, 20
	v_lshl_add_u32 v46, v30, 2, v28
	v_and_b32_e32 v28, 1, v29
	v_add_co_u32_e32 v47, vcc, -1, v28
	v_addc_co_u32_e64 v48, s[26:27], 0, -1, vcc
	v_cmp_ne_u32_e32 vcc, 0, v28
	v_xor_b32_e32 v28, vcc_hi, v48
	v_and_b32_e32 v48, exec_hi, v28
	v_lshlrev_b32_e32 v28, 30, v29
	v_xor_b32_e32 v47, vcc_lo, v47
	v_cmp_gt_i64_e32 vcc, 0, v[27:28]
	v_not_b32_e32 v28, v28
	v_ashrrev_i32_e32 v28, 31, v28
	v_and_b32_e32 v47, exec_lo, v47
	v_xor_b32_e32 v49, vcc_hi, v28
	v_xor_b32_e32 v28, vcc_lo, v28
	v_and_b32_e32 v47, v47, v28
	v_lshlrev_b32_e32 v28, 29, v29
	v_cmp_gt_i64_e32 vcc, 0, v[27:28]
	v_not_b32_e32 v28, v28
	v_ashrrev_i32_e32 v28, 31, v28
	v_and_b32_e32 v48, v48, v49
	v_xor_b32_e32 v49, vcc_hi, v28
	v_xor_b32_e32 v28, vcc_lo, v28
	v_and_b32_e32 v47, v47, v28
	v_lshlrev_b32_e32 v28, 28, v29
	v_cmp_gt_i64_e32 vcc, 0, v[27:28]
	v_not_b32_e32 v28, v28
	v_ashrrev_i32_e32 v28, 31, v28
	v_and_b32_e32 v48, v48, v49
	;; [unrolled: 8-line block ×5, first 2 shown]
	v_xor_b32_e32 v49, vcc_hi, v28
	v_xor_b32_e32 v28, vcc_lo, v28
	v_and_b32_e32 v47, v47, v28
	v_lshlrev_b32_e32 v28, 24, v29
	v_cmp_gt_i64_e32 vcc, 0, v[27:28]
	v_not_b32_e32 v27, v28
	v_ashrrev_i32_e32 v27, 31, v27
	v_xor_b32_e32 v28, vcc_hi, v27
	v_xor_b32_e32 v27, vcc_lo, v27
	ds_read_b32 v45, v46 offset:16
	v_and_b32_e32 v48, v48, v49
	v_and_b32_e32 v27, v47, v27
	;; [unrolled: 1-line block ×3, first 2 shown]
	v_mbcnt_lo_u32_b32 v29, v27, 0
	v_mbcnt_hi_u32_b32 v47, v28, v29
	v_cmp_ne_u64_e32 vcc, 0, v[27:28]
	v_cmp_eq_u32_e64 s[26:27], 0, v47
	s_and_b64 s[30:31], vcc, s[26:27]
	; wave barrier
	s_and_saveexec_b64 s[26:27], s[30:31]
	s_cbranch_execz .LBB157_33
; %bb.32:
	v_bcnt_u32_b32 v27, v27, 0
	v_bcnt_u32_b32 v27, v28, v27
	s_waitcnt lgkmcnt(0)
	v_add_u32_e32 v27, v45, v27
	ds_write_b32 v46, v27 offset:16
.LBB157_33:
	s_or_b64 exec, exec, s[26:27]
	v_cmp_lt_i64_e32 vcc, -1, v[17:18]
	v_bfrev_b32_e32 v51, 1
	v_cndmask_b32_e32 v27, -1, v51, vcc
	v_ashrrev_i32_e32 v28, 31, v18
	v_xor_b32_e32 v18, v27, v18
	v_xor_b32_e32 v17, v28, v17
	v_cmp_ne_u64_e32 vcc, s[28:29], v[17:18]
	v_cndmask_b32_e32 v28, v51, v18, vcc
	v_cndmask_b32_e32 v27, 0, v17, vcc
	v_lshrrev_b64 v[27:28], s68, v[27:28]
	; wave barrier
	v_and_b32_e32 v29, s73, v27
	v_mul_lo_u32 v27, v29, 20
	v_and_b32_e32 v28, 1, v29
	v_add_co_u32_e32 v50, vcc, -1, v28
	v_addc_co_u32_e64 v52, s[26:27], 0, -1, vcc
	v_cmp_ne_u32_e32 vcc, 0, v28
	v_xor_b32_e32 v28, vcc_hi, v52
	v_lshl_add_u32 v49, v30, 2, v27
	v_mov_b32_e32 v27, 0
	v_and_b32_e32 v52, exec_hi, v28
	v_lshlrev_b32_e32 v28, 30, v29
	v_xor_b32_e32 v50, vcc_lo, v50
	v_cmp_gt_i64_e32 vcc, 0, v[27:28]
	v_not_b32_e32 v28, v28
	v_ashrrev_i32_e32 v28, 31, v28
	v_and_b32_e32 v50, exec_lo, v50
	v_xor_b32_e32 v53, vcc_hi, v28
	v_xor_b32_e32 v28, vcc_lo, v28
	v_and_b32_e32 v50, v50, v28
	v_lshlrev_b32_e32 v28, 29, v29
	v_cmp_gt_i64_e32 vcc, 0, v[27:28]
	v_not_b32_e32 v28, v28
	v_ashrrev_i32_e32 v28, 31, v28
	v_and_b32_e32 v52, v52, v53
	v_xor_b32_e32 v53, vcc_hi, v28
	v_xor_b32_e32 v28, vcc_lo, v28
	v_and_b32_e32 v50, v50, v28
	v_lshlrev_b32_e32 v28, 28, v29
	v_cmp_gt_i64_e32 vcc, 0, v[27:28]
	v_not_b32_e32 v28, v28
	v_ashrrev_i32_e32 v28, 31, v28
	v_and_b32_e32 v52, v52, v53
	;; [unrolled: 8-line block ×5, first 2 shown]
	v_xor_b32_e32 v53, vcc_hi, v28
	v_xor_b32_e32 v28, vcc_lo, v28
	v_and_b32_e32 v50, v50, v28
	v_lshlrev_b32_e32 v28, 24, v29
	v_cmp_gt_i64_e32 vcc, 0, v[27:28]
	v_not_b32_e32 v28, v28
	v_ashrrev_i32_e32 v28, 31, v28
	v_xor_b32_e32 v29, vcc_hi, v28
	v_xor_b32_e32 v28, vcc_lo, v28
	ds_read_b32 v48, v49 offset:16
	v_and_b32_e32 v52, v52, v53
	v_and_b32_e32 v28, v50, v28
	;; [unrolled: 1-line block ×3, first 2 shown]
	v_mbcnt_lo_u32_b32 v50, v28, 0
	v_mbcnt_hi_u32_b32 v50, v29, v50
	v_cmp_ne_u64_e32 vcc, 0, v[28:29]
	v_cmp_eq_u32_e64 s[26:27], 0, v50
	s_and_b64 s[28:29], vcc, s[26:27]
	; wave barrier
	s_and_saveexec_b64 s[26:27], s[28:29]
	s_cbranch_execz .LBB157_35
; %bb.34:
	v_bcnt_u32_b32 v28, v28, 0
	v_bcnt_u32_b32 v28, v29, v28
	s_waitcnt lgkmcnt(0)
	v_add_u32_e32 v28, v48, v28
	ds_write_b32 v49, v28 offset:16
.LBB157_35:
	s_or_b64 exec, exec, s[26:27]
	v_cmp_lt_i64_e32 vcc, -1, v[23:24]
	s_mov_b32 s28, -1
	v_cndmask_b32_e32 v28, -1, v51, vcc
	v_ashrrev_i32_e32 v29, 31, v24
	s_brev_b32 s29, -2
	v_xor_b32_e32 v24, v28, v24
	v_xor_b32_e32 v23, v29, v23
	v_cmp_ne_u64_e32 vcc, s[28:29], v[23:24]
	v_cndmask_b32_e32 v29, v51, v24, vcc
	v_cndmask_b32_e32 v28, 0, v23, vcc
	v_lshrrev_b64 v[28:29], s68, v[28:29]
	; wave barrier
	v_and_b32_e32 v29, s73, v28
	v_mul_lo_u32 v28, v29, 20
	v_lshl_add_u32 v52, v30, 2, v28
	v_and_b32_e32 v28, 1, v29
	v_add_co_u32_e32 v53, vcc, -1, v28
	v_addc_co_u32_e64 v54, s[26:27], 0, -1, vcc
	v_cmp_ne_u32_e32 vcc, 0, v28
	v_xor_b32_e32 v28, vcc_hi, v54
	v_and_b32_e32 v54, exec_hi, v28
	v_lshlrev_b32_e32 v28, 30, v29
	v_xor_b32_e32 v53, vcc_lo, v53
	v_cmp_gt_i64_e32 vcc, 0, v[27:28]
	v_not_b32_e32 v28, v28
	v_ashrrev_i32_e32 v28, 31, v28
	v_and_b32_e32 v53, exec_lo, v53
	v_xor_b32_e32 v55, vcc_hi, v28
	v_xor_b32_e32 v28, vcc_lo, v28
	v_and_b32_e32 v53, v53, v28
	v_lshlrev_b32_e32 v28, 29, v29
	v_cmp_gt_i64_e32 vcc, 0, v[27:28]
	v_not_b32_e32 v28, v28
	v_ashrrev_i32_e32 v28, 31, v28
	v_and_b32_e32 v54, v54, v55
	v_xor_b32_e32 v55, vcc_hi, v28
	v_xor_b32_e32 v28, vcc_lo, v28
	v_and_b32_e32 v53, v53, v28
	v_lshlrev_b32_e32 v28, 28, v29
	v_cmp_gt_i64_e32 vcc, 0, v[27:28]
	v_not_b32_e32 v28, v28
	v_ashrrev_i32_e32 v28, 31, v28
	v_and_b32_e32 v54, v54, v55
	;; [unrolled: 8-line block ×5, first 2 shown]
	v_xor_b32_e32 v55, vcc_hi, v28
	v_xor_b32_e32 v28, vcc_lo, v28
	v_and_b32_e32 v53, v53, v28
	v_lshlrev_b32_e32 v28, 24, v29
	v_cmp_gt_i64_e32 vcc, 0, v[27:28]
	v_not_b32_e32 v27, v28
	v_ashrrev_i32_e32 v27, 31, v27
	v_xor_b32_e32 v28, vcc_hi, v27
	v_xor_b32_e32 v27, vcc_lo, v27
	ds_read_b32 v51, v52 offset:16
	v_and_b32_e32 v54, v54, v55
	v_and_b32_e32 v27, v53, v27
	v_and_b32_e32 v28, v54, v28
	v_mbcnt_lo_u32_b32 v29, v27, 0
	v_mbcnt_hi_u32_b32 v53, v28, v29
	v_cmp_ne_u64_e32 vcc, 0, v[27:28]
	v_cmp_eq_u32_e64 s[26:27], 0, v53
	s_and_b64 s[30:31], vcc, s[26:27]
	; wave barrier
	s_and_saveexec_b64 s[26:27], s[30:31]
	s_cbranch_execz .LBB157_37
; %bb.36:
	v_bcnt_u32_b32 v27, v27, 0
	v_bcnt_u32_b32 v27, v28, v27
	s_waitcnt lgkmcnt(0)
	v_add_u32_e32 v27, v51, v27
	ds_write_b32 v52, v27 offset:16
.LBB157_37:
	s_or_b64 exec, exec, s[26:27]
	v_cmp_lt_i64_e32 vcc, -1, v[25:26]
	v_bfrev_b32_e32 v57, 1
	v_cndmask_b32_e32 v27, -1, v57, vcc
	v_ashrrev_i32_e32 v28, 31, v26
	v_xor_b32_e32 v26, v27, v26
	v_xor_b32_e32 v25, v28, v25
	v_cmp_ne_u64_e32 vcc, s[28:29], v[25:26]
	v_cndmask_b32_e32 v28, v57, v26, vcc
	v_cndmask_b32_e32 v27, 0, v25, vcc
	v_lshrrev_b64 v[27:28], s68, v[27:28]
	; wave barrier
	v_and_b32_e32 v29, s73, v27
	v_mul_lo_u32 v27, v29, 20
	v_and_b32_e32 v28, 1, v29
	v_add_co_u32_e32 v56, vcc, -1, v28
	v_addc_co_u32_e64 v58, s[26:27], 0, -1, vcc
	v_cmp_ne_u32_e32 vcc, 0, v28
	v_xor_b32_e32 v28, vcc_hi, v58
	v_lshl_add_u32 v55, v30, 2, v27
	v_mov_b32_e32 v27, 0
	v_and_b32_e32 v58, exec_hi, v28
	v_lshlrev_b32_e32 v28, 30, v29
	v_xor_b32_e32 v56, vcc_lo, v56
	v_cmp_gt_i64_e32 vcc, 0, v[27:28]
	v_not_b32_e32 v28, v28
	v_ashrrev_i32_e32 v28, 31, v28
	v_and_b32_e32 v56, exec_lo, v56
	v_xor_b32_e32 v59, vcc_hi, v28
	v_xor_b32_e32 v28, vcc_lo, v28
	v_and_b32_e32 v56, v56, v28
	v_lshlrev_b32_e32 v28, 29, v29
	v_cmp_gt_i64_e32 vcc, 0, v[27:28]
	v_not_b32_e32 v28, v28
	v_ashrrev_i32_e32 v28, 31, v28
	v_and_b32_e32 v58, v58, v59
	v_xor_b32_e32 v59, vcc_hi, v28
	v_xor_b32_e32 v28, vcc_lo, v28
	v_and_b32_e32 v56, v56, v28
	v_lshlrev_b32_e32 v28, 28, v29
	v_cmp_gt_i64_e32 vcc, 0, v[27:28]
	v_not_b32_e32 v28, v28
	v_ashrrev_i32_e32 v28, 31, v28
	v_and_b32_e32 v58, v58, v59
	;; [unrolled: 8-line block ×5, first 2 shown]
	v_xor_b32_e32 v59, vcc_hi, v28
	v_xor_b32_e32 v28, vcc_lo, v28
	v_and_b32_e32 v56, v56, v28
	v_lshlrev_b32_e32 v28, 24, v29
	v_cmp_gt_i64_e32 vcc, 0, v[27:28]
	v_not_b32_e32 v28, v28
	v_ashrrev_i32_e32 v28, 31, v28
	v_xor_b32_e32 v29, vcc_hi, v28
	v_xor_b32_e32 v28, vcc_lo, v28
	ds_read_b32 v54, v55 offset:16
	v_and_b32_e32 v58, v58, v59
	v_and_b32_e32 v28, v56, v28
	;; [unrolled: 1-line block ×3, first 2 shown]
	v_mbcnt_lo_u32_b32 v56, v28, 0
	v_mbcnt_hi_u32_b32 v56, v29, v56
	v_cmp_ne_u64_e32 vcc, 0, v[28:29]
	v_cmp_eq_u32_e64 s[26:27], 0, v56
	s_and_b64 s[28:29], vcc, s[26:27]
	; wave barrier
	s_and_saveexec_b64 s[26:27], s[28:29]
	s_cbranch_execz .LBB157_39
; %bb.38:
	v_bcnt_u32_b32 v28, v28, 0
	v_bcnt_u32_b32 v28, v29, v28
	s_waitcnt lgkmcnt(0)
	v_add_u32_e32 v28, v54, v28
	ds_write_b32 v55, v28 offset:16
.LBB157_39:
	s_or_b64 exec, exec, s[26:27]
	v_cmp_lt_i64_e32 vcc, -1, v[21:22]
	s_mov_b32 s28, -1
	v_cndmask_b32_e32 v28, -1, v57, vcc
	v_ashrrev_i32_e32 v29, 31, v22
	s_brev_b32 s29, -2
	v_xor_b32_e32 v22, v28, v22
	v_xor_b32_e32 v21, v29, v21
	v_cmp_ne_u64_e32 vcc, s[28:29], v[21:22]
	v_cndmask_b32_e32 v29, v57, v22, vcc
	v_cndmask_b32_e32 v28, 0, v21, vcc
	v_lshrrev_b64 v[28:29], s68, v[28:29]
	; wave barrier
	v_and_b32_e32 v29, s73, v28
	v_mul_lo_u32 v28, v29, 20
	v_lshl_add_u32 v58, v30, 2, v28
	v_and_b32_e32 v28, 1, v29
	v_add_co_u32_e32 v59, vcc, -1, v28
	v_addc_co_u32_e64 v60, s[26:27], 0, -1, vcc
	v_cmp_ne_u32_e32 vcc, 0, v28
	v_xor_b32_e32 v28, vcc_hi, v60
	v_and_b32_e32 v60, exec_hi, v28
	v_lshlrev_b32_e32 v28, 30, v29
	v_xor_b32_e32 v59, vcc_lo, v59
	v_cmp_gt_i64_e32 vcc, 0, v[27:28]
	v_not_b32_e32 v28, v28
	v_ashrrev_i32_e32 v28, 31, v28
	v_and_b32_e32 v59, exec_lo, v59
	v_xor_b32_e32 v61, vcc_hi, v28
	v_xor_b32_e32 v28, vcc_lo, v28
	v_and_b32_e32 v59, v59, v28
	v_lshlrev_b32_e32 v28, 29, v29
	v_cmp_gt_i64_e32 vcc, 0, v[27:28]
	v_not_b32_e32 v28, v28
	v_ashrrev_i32_e32 v28, 31, v28
	v_and_b32_e32 v60, v60, v61
	v_xor_b32_e32 v61, vcc_hi, v28
	v_xor_b32_e32 v28, vcc_lo, v28
	v_and_b32_e32 v59, v59, v28
	v_lshlrev_b32_e32 v28, 28, v29
	v_cmp_gt_i64_e32 vcc, 0, v[27:28]
	v_not_b32_e32 v28, v28
	v_ashrrev_i32_e32 v28, 31, v28
	v_and_b32_e32 v60, v60, v61
	v_xor_b32_e32 v61, vcc_hi, v28
	v_xor_b32_e32 v28, vcc_lo, v28
	v_and_b32_e32 v59, v59, v28
	v_lshlrev_b32_e32 v28, 27, v29
	v_cmp_gt_i64_e32 vcc, 0, v[27:28]
	v_not_b32_e32 v28, v28
	v_ashrrev_i32_e32 v28, 31, v28
	v_and_b32_e32 v60, v60, v61
	v_xor_b32_e32 v61, vcc_hi, v28
	v_xor_b32_e32 v28, vcc_lo, v28
	v_and_b32_e32 v59, v59, v28
	v_lshlrev_b32_e32 v28, 26, v29
	v_cmp_gt_i64_e32 vcc, 0, v[27:28]
	v_not_b32_e32 v28, v28
	v_ashrrev_i32_e32 v28, 31, v28
	v_and_b32_e32 v60, v60, v61
	v_xor_b32_e32 v61, vcc_hi, v28
	v_xor_b32_e32 v28, vcc_lo, v28
	v_and_b32_e32 v59, v59, v28
	v_lshlrev_b32_e32 v28, 25, v29
	v_cmp_gt_i64_e32 vcc, 0, v[27:28]
	v_not_b32_e32 v28, v28
	v_ashrrev_i32_e32 v28, 31, v28
	v_and_b32_e32 v60, v60, v61
	v_xor_b32_e32 v61, vcc_hi, v28
	v_xor_b32_e32 v28, vcc_lo, v28
	v_and_b32_e32 v59, v59, v28
	v_lshlrev_b32_e32 v28, 24, v29
	v_cmp_gt_i64_e32 vcc, 0, v[27:28]
	v_not_b32_e32 v27, v28
	v_ashrrev_i32_e32 v27, 31, v27
	v_xor_b32_e32 v28, vcc_hi, v27
	v_xor_b32_e32 v27, vcc_lo, v27
	ds_read_b32 v57, v58 offset:16
	v_and_b32_e32 v60, v60, v61
	v_and_b32_e32 v27, v59, v27
	;; [unrolled: 1-line block ×3, first 2 shown]
	v_mbcnt_lo_u32_b32 v29, v27, 0
	v_mbcnt_hi_u32_b32 v59, v28, v29
	v_cmp_ne_u64_e32 vcc, 0, v[27:28]
	v_cmp_eq_u32_e64 s[26:27], 0, v59
	s_and_b64 s[30:31], vcc, s[26:27]
	; wave barrier
	s_and_saveexec_b64 s[26:27], s[30:31]
	s_cbranch_execz .LBB157_41
; %bb.40:
	v_bcnt_u32_b32 v27, v27, 0
	v_bcnt_u32_b32 v27, v28, v27
	s_waitcnt lgkmcnt(0)
	v_add_u32_e32 v27, v57, v27
	ds_write_b32 v58, v27 offset:16
.LBB157_41:
	s_or_b64 exec, exec, s[26:27]
	v_cmp_lt_i64_e32 vcc, -1, v[19:20]
	v_bfrev_b32_e32 v63, 1
	v_cndmask_b32_e32 v27, -1, v63, vcc
	v_ashrrev_i32_e32 v28, 31, v20
	v_xor_b32_e32 v20, v27, v20
	v_xor_b32_e32 v19, v28, v19
	v_cmp_ne_u64_e32 vcc, s[28:29], v[19:20]
	v_cndmask_b32_e32 v28, v63, v20, vcc
	v_cndmask_b32_e32 v27, 0, v19, vcc
	v_lshrrev_b64 v[27:28], s68, v[27:28]
	; wave barrier
	v_and_b32_e32 v29, s73, v27
	v_mul_lo_u32 v27, v29, 20
	v_and_b32_e32 v28, 1, v29
	v_add_co_u32_e32 v62, vcc, -1, v28
	v_addc_co_u32_e64 v64, s[26:27], 0, -1, vcc
	v_cmp_ne_u32_e32 vcc, 0, v28
	v_xor_b32_e32 v28, vcc_hi, v64
	v_lshl_add_u32 v61, v30, 2, v27
	v_mov_b32_e32 v27, 0
	v_and_b32_e32 v64, exec_hi, v28
	v_lshlrev_b32_e32 v28, 30, v29
	v_xor_b32_e32 v62, vcc_lo, v62
	v_cmp_gt_i64_e32 vcc, 0, v[27:28]
	v_not_b32_e32 v28, v28
	v_ashrrev_i32_e32 v28, 31, v28
	v_and_b32_e32 v62, exec_lo, v62
	v_xor_b32_e32 v65, vcc_hi, v28
	v_xor_b32_e32 v28, vcc_lo, v28
	v_and_b32_e32 v62, v62, v28
	v_lshlrev_b32_e32 v28, 29, v29
	v_cmp_gt_i64_e32 vcc, 0, v[27:28]
	v_not_b32_e32 v28, v28
	v_ashrrev_i32_e32 v28, 31, v28
	v_and_b32_e32 v64, v64, v65
	v_xor_b32_e32 v65, vcc_hi, v28
	v_xor_b32_e32 v28, vcc_lo, v28
	v_and_b32_e32 v62, v62, v28
	v_lshlrev_b32_e32 v28, 28, v29
	v_cmp_gt_i64_e32 vcc, 0, v[27:28]
	v_not_b32_e32 v28, v28
	v_ashrrev_i32_e32 v28, 31, v28
	v_and_b32_e32 v64, v64, v65
	v_xor_b32_e32 v65, vcc_hi, v28
	v_xor_b32_e32 v28, vcc_lo, v28
	v_and_b32_e32 v62, v62, v28
	v_lshlrev_b32_e32 v28, 27, v29
	v_cmp_gt_i64_e32 vcc, 0, v[27:28]
	v_not_b32_e32 v28, v28
	v_ashrrev_i32_e32 v28, 31, v28
	v_and_b32_e32 v64, v64, v65
	v_xor_b32_e32 v65, vcc_hi, v28
	v_xor_b32_e32 v28, vcc_lo, v28
	v_and_b32_e32 v62, v62, v28
	v_lshlrev_b32_e32 v28, 26, v29
	v_cmp_gt_i64_e32 vcc, 0, v[27:28]
	v_not_b32_e32 v28, v28
	v_ashrrev_i32_e32 v28, 31, v28
	v_and_b32_e32 v64, v64, v65
	v_xor_b32_e32 v65, vcc_hi, v28
	v_xor_b32_e32 v28, vcc_lo, v28
	v_and_b32_e32 v62, v62, v28
	v_lshlrev_b32_e32 v28, 25, v29
	v_cmp_gt_i64_e32 vcc, 0, v[27:28]
	v_not_b32_e32 v28, v28
	v_ashrrev_i32_e32 v28, 31, v28
	v_and_b32_e32 v64, v64, v65
	v_xor_b32_e32 v65, vcc_hi, v28
	v_xor_b32_e32 v28, vcc_lo, v28
	v_and_b32_e32 v62, v62, v28
	v_lshlrev_b32_e32 v28, 24, v29
	v_cmp_gt_i64_e32 vcc, 0, v[27:28]
	v_not_b32_e32 v28, v28
	v_ashrrev_i32_e32 v28, 31, v28
	v_xor_b32_e32 v29, vcc_hi, v28
	v_xor_b32_e32 v28, vcc_lo, v28
	ds_read_b32 v60, v61 offset:16
	v_and_b32_e32 v64, v64, v65
	v_and_b32_e32 v28, v62, v28
	;; [unrolled: 1-line block ×3, first 2 shown]
	v_mbcnt_lo_u32_b32 v62, v28, 0
	v_mbcnt_hi_u32_b32 v62, v29, v62
	v_cmp_ne_u64_e32 vcc, 0, v[28:29]
	v_cmp_eq_u32_e64 s[26:27], 0, v62
	s_and_b64 s[28:29], vcc, s[26:27]
	; wave barrier
	s_and_saveexec_b64 s[26:27], s[28:29]
	s_cbranch_execz .LBB157_43
; %bb.42:
	v_bcnt_u32_b32 v28, v28, 0
	v_bcnt_u32_b32 v28, v29, v28
	s_waitcnt lgkmcnt(0)
	v_add_u32_e32 v28, v60, v28
	ds_write_b32 v61, v28 offset:16
.LBB157_43:
	s_or_b64 exec, exec, s[26:27]
	v_cmp_lt_i64_e32 vcc, -1, v[15:16]
	s_mov_b32 s28, -1
	v_cndmask_b32_e32 v28, -1, v63, vcc
	v_ashrrev_i32_e32 v29, 31, v16
	s_brev_b32 s29, -2
	v_xor_b32_e32 v16, v28, v16
	v_xor_b32_e32 v15, v29, v15
	v_cmp_ne_u64_e32 vcc, s[28:29], v[15:16]
	v_cndmask_b32_e32 v29, v63, v16, vcc
	v_cndmask_b32_e32 v28, 0, v15, vcc
	v_lshrrev_b64 v[28:29], s68, v[28:29]
	; wave barrier
	v_and_b32_e32 v29, s73, v28
	v_mul_lo_u32 v28, v29, 20
	v_lshl_add_u32 v64, v30, 2, v28
	v_and_b32_e32 v28, 1, v29
	v_add_co_u32_e32 v65, vcc, -1, v28
	v_addc_co_u32_e64 v66, s[26:27], 0, -1, vcc
	v_cmp_ne_u32_e32 vcc, 0, v28
	v_xor_b32_e32 v28, vcc_hi, v66
	v_and_b32_e32 v66, exec_hi, v28
	v_lshlrev_b32_e32 v28, 30, v29
	v_xor_b32_e32 v65, vcc_lo, v65
	v_cmp_gt_i64_e32 vcc, 0, v[27:28]
	v_not_b32_e32 v28, v28
	v_ashrrev_i32_e32 v28, 31, v28
	v_and_b32_e32 v65, exec_lo, v65
	v_xor_b32_e32 v67, vcc_hi, v28
	v_xor_b32_e32 v28, vcc_lo, v28
	v_and_b32_e32 v65, v65, v28
	v_lshlrev_b32_e32 v28, 29, v29
	v_cmp_gt_i64_e32 vcc, 0, v[27:28]
	v_not_b32_e32 v28, v28
	v_ashrrev_i32_e32 v28, 31, v28
	v_and_b32_e32 v66, v66, v67
	v_xor_b32_e32 v67, vcc_hi, v28
	v_xor_b32_e32 v28, vcc_lo, v28
	v_and_b32_e32 v65, v65, v28
	v_lshlrev_b32_e32 v28, 28, v29
	v_cmp_gt_i64_e32 vcc, 0, v[27:28]
	v_not_b32_e32 v28, v28
	v_ashrrev_i32_e32 v28, 31, v28
	v_and_b32_e32 v66, v66, v67
	;; [unrolled: 8-line block ×5, first 2 shown]
	v_xor_b32_e32 v67, vcc_hi, v28
	v_xor_b32_e32 v28, vcc_lo, v28
	v_and_b32_e32 v65, v65, v28
	v_lshlrev_b32_e32 v28, 24, v29
	v_cmp_gt_i64_e32 vcc, 0, v[27:28]
	v_not_b32_e32 v27, v28
	v_ashrrev_i32_e32 v27, 31, v27
	v_xor_b32_e32 v28, vcc_hi, v27
	v_xor_b32_e32 v27, vcc_lo, v27
	ds_read_b32 v63, v64 offset:16
	v_and_b32_e32 v66, v66, v67
	v_and_b32_e32 v27, v65, v27
	;; [unrolled: 1-line block ×3, first 2 shown]
	v_mbcnt_lo_u32_b32 v29, v27, 0
	v_mbcnt_hi_u32_b32 v65, v28, v29
	v_cmp_ne_u64_e32 vcc, 0, v[27:28]
	v_cmp_eq_u32_e64 s[26:27], 0, v65
	s_and_b64 s[30:31], vcc, s[26:27]
	; wave barrier
	s_and_saveexec_b64 s[26:27], s[30:31]
	s_cbranch_execz .LBB157_45
; %bb.44:
	v_bcnt_u32_b32 v27, v27, 0
	v_bcnt_u32_b32 v27, v28, v27
	s_waitcnt lgkmcnt(0)
	v_add_u32_e32 v27, v63, v27
	ds_write_b32 v64, v27 offset:16
.LBB157_45:
	s_or_b64 exec, exec, s[26:27]
	v_cmp_lt_i64_e32 vcc, -1, v[11:12]
	v_bfrev_b32_e32 v69, 1
	v_cndmask_b32_e32 v27, -1, v69, vcc
	v_ashrrev_i32_e32 v28, 31, v12
	v_xor_b32_e32 v12, v27, v12
	v_xor_b32_e32 v11, v28, v11
	v_cmp_ne_u64_e32 vcc, s[28:29], v[11:12]
	v_cndmask_b32_e32 v28, v69, v12, vcc
	v_cndmask_b32_e32 v27, 0, v11, vcc
	v_lshrrev_b64 v[27:28], s68, v[27:28]
	; wave barrier
	v_and_b32_e32 v29, s73, v27
	v_mul_lo_u32 v27, v29, 20
	v_and_b32_e32 v28, 1, v29
	v_add_co_u32_e32 v68, vcc, -1, v28
	v_addc_co_u32_e64 v70, s[26:27], 0, -1, vcc
	v_cmp_ne_u32_e32 vcc, 0, v28
	v_xor_b32_e32 v28, vcc_hi, v70
	v_lshl_add_u32 v67, v30, 2, v27
	v_mov_b32_e32 v27, 0
	v_and_b32_e32 v70, exec_hi, v28
	v_lshlrev_b32_e32 v28, 30, v29
	v_xor_b32_e32 v68, vcc_lo, v68
	v_cmp_gt_i64_e32 vcc, 0, v[27:28]
	v_not_b32_e32 v28, v28
	v_ashrrev_i32_e32 v28, 31, v28
	v_and_b32_e32 v68, exec_lo, v68
	v_xor_b32_e32 v71, vcc_hi, v28
	v_xor_b32_e32 v28, vcc_lo, v28
	v_and_b32_e32 v68, v68, v28
	v_lshlrev_b32_e32 v28, 29, v29
	v_cmp_gt_i64_e32 vcc, 0, v[27:28]
	v_not_b32_e32 v28, v28
	v_ashrrev_i32_e32 v28, 31, v28
	v_and_b32_e32 v70, v70, v71
	v_xor_b32_e32 v71, vcc_hi, v28
	v_xor_b32_e32 v28, vcc_lo, v28
	v_and_b32_e32 v68, v68, v28
	v_lshlrev_b32_e32 v28, 28, v29
	v_cmp_gt_i64_e32 vcc, 0, v[27:28]
	v_not_b32_e32 v28, v28
	v_ashrrev_i32_e32 v28, 31, v28
	v_and_b32_e32 v70, v70, v71
	;; [unrolled: 8-line block ×5, first 2 shown]
	v_xor_b32_e32 v71, vcc_hi, v28
	v_xor_b32_e32 v28, vcc_lo, v28
	v_and_b32_e32 v68, v68, v28
	v_lshlrev_b32_e32 v28, 24, v29
	v_cmp_gt_i64_e32 vcc, 0, v[27:28]
	v_not_b32_e32 v28, v28
	v_ashrrev_i32_e32 v28, 31, v28
	v_xor_b32_e32 v29, vcc_hi, v28
	v_xor_b32_e32 v28, vcc_lo, v28
	ds_read_b32 v66, v67 offset:16
	v_and_b32_e32 v70, v70, v71
	v_and_b32_e32 v28, v68, v28
	;; [unrolled: 1-line block ×3, first 2 shown]
	v_mbcnt_lo_u32_b32 v68, v28, 0
	v_mbcnt_hi_u32_b32 v68, v29, v68
	v_cmp_ne_u64_e32 vcc, 0, v[28:29]
	v_cmp_eq_u32_e64 s[26:27], 0, v68
	s_and_b64 s[28:29], vcc, s[26:27]
	; wave barrier
	s_and_saveexec_b64 s[26:27], s[28:29]
	s_cbranch_execz .LBB157_47
; %bb.46:
	v_bcnt_u32_b32 v28, v28, 0
	v_bcnt_u32_b32 v28, v29, v28
	s_waitcnt lgkmcnt(0)
	v_add_u32_e32 v28, v66, v28
	ds_write_b32 v67, v28 offset:16
.LBB157_47:
	s_or_b64 exec, exec, s[26:27]
	v_cmp_lt_i64_e32 vcc, -1, v[7:8]
	s_mov_b32 s26, -1
	v_cndmask_b32_e32 v28, -1, v69, vcc
	v_ashrrev_i32_e32 v29, 31, v8
	s_brev_b32 s27, -2
	v_xor_b32_e32 v8, v28, v8
	v_xor_b32_e32 v7, v29, v7
	v_cmp_ne_u64_e32 vcc, s[26:27], v[7:8]
	v_cndmask_b32_e32 v29, v69, v8, vcc
	v_cndmask_b32_e32 v28, 0, v7, vcc
	v_lshrrev_b64 v[28:29], s68, v[28:29]
	; wave barrier
	v_and_b32_e32 v29, s73, v28
	v_mul_lo_u32 v28, v29, 20
	v_lshl_add_u32 v70, v30, 2, v28
	v_and_b32_e32 v28, 1, v29
	v_add_co_u32_e32 v30, vcc, -1, v28
	v_addc_co_u32_e64 v71, s[26:27], 0, -1, vcc
	v_cmp_ne_u32_e32 vcc, 0, v28
	v_xor_b32_e32 v28, vcc_hi, v71
	v_and_b32_e32 v71, exec_hi, v28
	v_lshlrev_b32_e32 v28, 30, v29
	v_xor_b32_e32 v30, vcc_lo, v30
	v_cmp_gt_i64_e32 vcc, 0, v[27:28]
	v_not_b32_e32 v28, v28
	v_ashrrev_i32_e32 v28, 31, v28
	v_and_b32_e32 v30, exec_lo, v30
	v_xor_b32_e32 v72, vcc_hi, v28
	v_xor_b32_e32 v28, vcc_lo, v28
	v_and_b32_e32 v30, v30, v28
	v_lshlrev_b32_e32 v28, 29, v29
	v_cmp_gt_i64_e32 vcc, 0, v[27:28]
	v_not_b32_e32 v28, v28
	v_ashrrev_i32_e32 v28, 31, v28
	v_and_b32_e32 v71, v71, v72
	v_xor_b32_e32 v72, vcc_hi, v28
	v_xor_b32_e32 v28, vcc_lo, v28
	v_and_b32_e32 v30, v30, v28
	v_lshlrev_b32_e32 v28, 28, v29
	v_cmp_gt_i64_e32 vcc, 0, v[27:28]
	v_not_b32_e32 v28, v28
	v_ashrrev_i32_e32 v28, 31, v28
	v_and_b32_e32 v71, v71, v72
	;; [unrolled: 8-line block ×5, first 2 shown]
	v_xor_b32_e32 v72, vcc_hi, v28
	v_xor_b32_e32 v28, vcc_lo, v28
	v_and_b32_e32 v30, v30, v28
	v_lshlrev_b32_e32 v28, 24, v29
	v_cmp_gt_i64_e32 vcc, 0, v[27:28]
	v_not_b32_e32 v27, v28
	v_ashrrev_i32_e32 v27, 31, v27
	v_xor_b32_e32 v28, vcc_hi, v27
	v_xor_b32_e32 v27, vcc_lo, v27
	ds_read_b32 v69, v70 offset:16
	v_and_b32_e32 v71, v71, v72
	v_and_b32_e32 v27, v30, v27
	;; [unrolled: 1-line block ×3, first 2 shown]
	v_mbcnt_lo_u32_b32 v29, v27, 0
	v_mbcnt_hi_u32_b32 v71, v28, v29
	v_cmp_ne_u64_e32 vcc, 0, v[27:28]
	v_cmp_eq_u32_e64 s[26:27], 0, v71
	s_and_b64 s[28:29], vcc, s[26:27]
	; wave barrier
	s_and_saveexec_b64 s[26:27], s[28:29]
	s_cbranch_execz .LBB157_49
; %bb.48:
	v_bcnt_u32_b32 v27, v27, 0
	v_bcnt_u32_b32 v27, v28, v27
	s_waitcnt lgkmcnt(0)
	v_add_u32_e32 v27, v69, v27
	ds_write_b32 v70, v27 offset:16
.LBB157_49:
	s_or_b64 exec, exec, s[26:27]
	; wave barrier
	s_waitcnt lgkmcnt(0)
	s_barrier
	ds_read2_b32 v[29:30], v36 offset0:4 offset1:5
	ds_read2_b32 v[27:28], v36 offset0:6 offset1:7
	ds_read_b32 v72, v36 offset:32
	v_min_u32_e32 v35, 0xc0, v35
	v_or_b32_e32 v35, 63, v35
	s_waitcnt lgkmcnt(1)
	v_add3_u32 v73, v30, v29, v27
	s_waitcnt lgkmcnt(0)
	v_add3_u32 v72, v73, v28, v72
	v_and_b32_e32 v73, 15, v34
	v_cmp_ne_u32_e32 vcc, 0, v73
	v_mov_b32_dpp v74, v72 row_shr:1 row_mask:0xf bank_mask:0xf
	v_cndmask_b32_e32 v74, 0, v74, vcc
	v_add_u32_e32 v72, v74, v72
	v_cmp_lt_u32_e32 vcc, 1, v73
	s_nop 0
	v_mov_b32_dpp v74, v72 row_shr:2 row_mask:0xf bank_mask:0xf
	v_cndmask_b32_e32 v74, 0, v74, vcc
	v_add_u32_e32 v72, v72, v74
	v_cmp_lt_u32_e32 vcc, 3, v73
	s_nop 0
	;; [unrolled: 5-line block ×3, first 2 shown]
	v_mov_b32_dpp v74, v72 row_shr:8 row_mask:0xf bank_mask:0xf
	v_cndmask_b32_e32 v73, 0, v74, vcc
	v_add_u32_e32 v72, v72, v73
	v_bfe_i32 v74, v34, 4, 1
	v_cmp_lt_u32_e32 vcc, 31, v34
	v_mov_b32_dpp v73, v72 row_bcast:15 row_mask:0xf bank_mask:0xf
	v_and_b32_e32 v73, v74, v73
	v_add_u32_e32 v72, v72, v73
	s_nop 1
	v_mov_b32_dpp v73, v72 row_bcast:31 row_mask:0xf bank_mask:0xf
	v_cndmask_b32_e32 v73, 0, v73, vcc
	v_add_u32_e32 v72, v72, v73
	v_lshrrev_b32_e32 v73, 6, v0
	v_cmp_eq_u32_e32 vcc, v0, v35
	s_and_saveexec_b64 s[26:27], vcc
; %bb.50:
	v_lshlrev_b32_e32 v35, 2, v73
	ds_write_b32 v35, v72
; %bb.51:
	s_or_b64 exec, exec, s[26:27]
	v_cmp_gt_u32_e32 vcc, 4, v0
	s_waitcnt lgkmcnt(0)
	s_barrier
	s_and_saveexec_b64 s[26:27], vcc
	s_cbranch_execz .LBB157_53
; %bb.52:
	v_lshlrev_b32_e32 v35, 2, v0
	ds_read_b32 v74, v35
	v_and_b32_e32 v75, 3, v34
	v_cmp_ne_u32_e32 vcc, 0, v75
	s_waitcnt lgkmcnt(0)
	v_mov_b32_dpp v76, v74 row_shr:1 row_mask:0xf bank_mask:0xf
	v_cndmask_b32_e32 v76, 0, v76, vcc
	v_add_u32_e32 v74, v76, v74
	v_cmp_lt_u32_e32 vcc, 1, v75
	s_nop 0
	v_mov_b32_dpp v76, v74 row_shr:2 row_mask:0xf bank_mask:0xf
	v_cndmask_b32_e32 v75, 0, v76, vcc
	v_add_u32_e32 v74, v74, v75
	ds_write_b32 v35, v74
.LBB157_53:
	s_or_b64 exec, exec, s[26:27]
	v_cmp_lt_u32_e32 vcc, 63, v0
	v_mov_b32_e32 v35, 0
	s_waitcnt lgkmcnt(0)
	s_barrier
	s_and_saveexec_b64 s[26:27], vcc
; %bb.54:
	v_lshl_add_u32 v35, v73, 2, -4
	ds_read_b32 v35, v35
; %bb.55:
	s_or_b64 exec, exec, s[26:27]
	v_add_u32_e32 v73, -1, v34
	v_and_b32_e32 v74, 64, v34
	v_cmp_lt_i32_e32 vcc, v73, v74
	v_cndmask_b32_e32 v73, v73, v34, vcc
	s_waitcnt lgkmcnt(0)
	v_add_u32_e32 v72, v35, v72
	v_lshlrev_b32_e32 v73, 2, v73
	ds_bpermute_b32 v72, v73, v72
	v_cmp_eq_u32_e32 vcc, 0, v34
	s_movk_i32 s26, 0x100
	s_waitcnt lgkmcnt(0)
	v_cndmask_b32_e32 v34, v72, v35, vcc
	v_cmp_ne_u32_e32 vcc, 0, v0
	v_cndmask_b32_e32 v34, 0, v34, vcc
	v_add_u32_e32 v29, v34, v29
	v_add_u32_e32 v30, v29, v30
	;; [unrolled: 1-line block ×4, first 2 shown]
	ds_write2_b32 v36, v34, v29 offset0:4 offset1:5
	ds_write2_b32 v36, v30, v27 offset0:6 offset1:7
	ds_write_b32 v36, v28 offset:32
	s_waitcnt lgkmcnt(0)
	s_barrier
	ds_read_b32 v58, v58 offset:16
	ds_read_b32 v34, v61 offset:16
	;; [unrolled: 1-line block ×13, first 2 shown]
	v_add_u32_e32 v36, 1, v0
	v_cmp_ne_u32_e32 vcc, s26, v36
	v_mov_b32_e32 v49, 0xc00
	s_and_saveexec_b64 s[26:27], vcc
; %bb.56:
	v_mul_u32_u24_e32 v36, 20, v36
	ds_read_b32 v49, v36 offset:16
; %bb.57:
	s_or_b64 exec, exec, s[26:27]
	v_lshlrev_b32_e32 v36, 3, v37
	s_waitcnt lgkmcnt(7)
	v_lshl_add_u32 v35, v35, 3, v36
	s_waitcnt lgkmcnt(0)
	s_barrier
	ds_write_b64 v35, v[3:4] offset:2048
	v_lshlrev_b32_e32 v3, 3, v64
	v_lshlrev_b32_e32 v4, 3, v41
	;; [unrolled: 1-line block ×3, first 2 shown]
	v_add3_u32 v36, v3, v4, v36
	ds_write_b64 v36, v[5:6] offset:2048
	v_lshlrev_b32_e32 v3, 3, v61
	v_lshlrev_b32_e32 v4, 3, v44
	v_lshlrev_b32_e32 v5, 3, v42
	v_add3_u32 v37, v3, v4, v5
	v_lshlrev_b32_e32 v3, 3, v38
	v_lshlrev_b32_e32 v4, 3, v47
	v_lshlrev_b32_e32 v5, 3, v45
	v_add3_u32 v38, v3, v4, v5
	;; [unrolled: 4-line block ×10, first 2 shown]
	v_lshl_or_b32 v3, s6, 8, v0
	v_mov_b32_e32 v4, 0
	v_lshlrev_b64 v[5:6], 2, v[3:4]
	ds_write_b64 v37, v[9:10] offset:2048
	v_sub_u32_e32 v30, v49, v29
	v_mov_b32_e32 v9, s55
	v_add_co_u32_e32 v5, vcc, s54, v5
	v_addc_co_u32_e32 v6, vcc, v9, v6, vcc
	v_or_b32_e32 v3, 2.0, v30
	s_mov_b64 s[26:27], 0
	s_brev_b32 s34, -4
	s_mov_b32 s35, s7
	v_mov_b32_e32 v10, 0
	ds_write_b64 v38, v[13:14] offset:2048
	ds_write_b64 v39, v[17:18] offset:2048
	;; [unrolled: 1-line block ×9, first 2 shown]
	s_waitcnt lgkmcnt(0)
	s_barrier
	global_store_dword v[5:6], v3, off
                                        ; implicit-def: $sgpr28_sgpr29
	s_branch .LBB157_60
.LBB157_58:                             ;   in Loop: Header=BB157_60 Depth=1
	s_or_b64 exec, exec, s[30:31]
.LBB157_59:                             ;   in Loop: Header=BB157_60 Depth=1
	s_or_b64 exec, exec, s[28:29]
	v_and_b32_e32 v7, 0x3fffffff, v3
	v_add_u32_e32 v10, v7, v10
	v_cmp_gt_i32_e64 s[28:29], -2.0, v3
	s_and_b64 s[30:31], exec, s[28:29]
	s_or_b64 s[26:27], s[30:31], s[26:27]
	s_andn2_b64 exec, exec, s[26:27]
	s_cbranch_execz .LBB157_65
.LBB157_60:                             ; =>This Loop Header: Depth=1
                                        ;     Child Loop BB157_63 Depth 2
	s_or_b64 s[28:29], s[28:29], exec
	s_cmp_eq_u32 s35, 0
	s_cbranch_scc1 .LBB157_64
; %bb.61:                               ;   in Loop: Header=BB157_60 Depth=1
	s_add_i32 s35, s35, -1
	v_lshl_or_b32 v3, s35, 8, v0
	v_lshlrev_b64 v[7:8], 2, v[3:4]
	v_add_co_u32_e32 v7, vcc, s54, v7
	v_addc_co_u32_e32 v8, vcc, v9, v8, vcc
	global_load_dword v3, v[7:8], off glc
	s_waitcnt vmcnt(0)
	v_cmp_gt_u32_e32 vcc, 2.0, v3
	s_and_saveexec_b64 s[28:29], vcc
	s_cbranch_execz .LBB157_59
; %bb.62:                               ;   in Loop: Header=BB157_60 Depth=1
	s_mov_b64 s[30:31], 0
.LBB157_63:                             ;   Parent Loop BB157_60 Depth=1
                                        ; =>  This Inner Loop Header: Depth=2
	global_load_dword v3, v[7:8], off glc
	s_waitcnt vmcnt(0)
	v_cmp_lt_u32_e32 vcc, s34, v3
	s_or_b64 s[30:31], vcc, s[30:31]
	s_andn2_b64 exec, exec, s[30:31]
	s_cbranch_execnz .LBB157_63
	s_branch .LBB157_58
.LBB157_64:                             ;   in Loop: Header=BB157_60 Depth=1
                                        ; implicit-def: $sgpr35
	s_and_b64 s[30:31], exec, s[28:29]
	s_or_b64 s[26:27], s[30:31], s[26:27]
	s_andn2_b64 exec, exec, s[26:27]
	s_cbranch_execnz .LBB157_60
.LBB157_65:
	s_or_b64 exec, exec, s[26:27]
	v_add_u32_e32 v3, v10, v30
	v_or_b32_e32 v3, 0x80000000, v3
	v_lshlrev_b32_e32 v34, 3, v0
	global_store_dword v[5:6], v3, off
	global_load_dwordx2 v[3:4], v34, s[64:65]
	v_sub_co_u32_e32 v5, vcc, v10, v29
	v_subb_co_u32_e64 v6, s[26:27], 0, 0, vcc
	v_cmp_gt_u32_e64 s[26:27], s74, v0
	s_waitcnt vmcnt(0)
	v_add_co_u32_e32 v3, vcc, v5, v3
	v_addc_co_u32_e32 v4, vcc, v6, v4, vcc
	ds_write_b64 v34, v[3:4]
	s_waitcnt lgkmcnt(0)
	s_barrier
	s_and_saveexec_b64 s[28:29], s[26:27]
	s_cbranch_execz .LBB157_67
; %bb.66:
	ds_read_b64 v[3:4], v34 offset:2048
	s_mov_b32 s30, -1
	s_brev_b32 s31, -2
	v_bfrev_b32_e32 v7, 1
	s_waitcnt lgkmcnt(0)
	v_cmp_ne_u64_e32 vcc, s[30:31], v[3:4]
	v_ashrrev_i32_e32 v8, 31, v4
	v_cndmask_b32_e32 v6, v7, v4, vcc
	v_cndmask_b32_e32 v5, 0, v3, vcc
	v_lshrrev_b64 v[5:6], s68, v[5:6]
	v_cmp_lt_i64_e32 vcc, -1, v[3:4]
	v_and_b32_e32 v5, s73, v5
	v_lshlrev_b32_e32 v5, 3, v5
	ds_read_b64 v[5:6], v5
	v_cndmask_b32_e64 v7, v7, -1, vcc
	v_xor_b32_e32 v4, v7, v4
	v_mov_b32_e32 v7, s59
	v_not_b32_e32 v8, v8
	s_waitcnt lgkmcnt(0)
	v_lshlrev_b64 v[5:6], 3, v[5:6]
	v_xor_b32_e32 v3, v8, v3
	v_add_co_u32_e32 v5, vcc, s58, v5
	v_addc_co_u32_e32 v6, vcc, v7, v6, vcc
	v_add_co_u32_e32 v5, vcc, v5, v34
	v_addc_co_u32_e32 v6, vcc, 0, v6, vcc
	global_store_dwordx2 v[5:6], v[3:4], off
.LBB157_67:
	s_or_b64 exec, exec, s[28:29]
	v_or_b32_e32 v3, 0x100, v0
	v_cmp_gt_u32_e64 s[28:29], s74, v3
	s_and_saveexec_b64 s[30:31], s[28:29]
	s_cbranch_execz .LBB157_69
; %bb.68:
	ds_read_b64 v[3:4], v34 offset:4096
	s_mov_b32 s34, -1
	s_brev_b32 s35, -2
	v_bfrev_b32_e32 v7, 1
	s_waitcnt lgkmcnt(0)
	v_cmp_ne_u64_e32 vcc, s[34:35], v[3:4]
	v_ashrrev_i32_e32 v8, 31, v4
	v_cndmask_b32_e32 v6, v7, v4, vcc
	v_cndmask_b32_e32 v5, 0, v3, vcc
	v_lshrrev_b64 v[5:6], s68, v[5:6]
	v_cmp_lt_i64_e32 vcc, -1, v[3:4]
	v_and_b32_e32 v5, s73, v5
	v_lshlrev_b32_e32 v5, 3, v5
	ds_read_b64 v[5:6], v5
	v_cndmask_b32_e64 v7, v7, -1, vcc
	v_xor_b32_e32 v4, v7, v4
	v_mov_b32_e32 v7, s59
	v_not_b32_e32 v8, v8
	s_waitcnt lgkmcnt(0)
	v_lshlrev_b64 v[5:6], 3, v[5:6]
	v_xor_b32_e32 v3, v8, v3
	v_add_co_u32_e32 v5, vcc, s58, v5
	v_addc_co_u32_e32 v6, vcc, v7, v6, vcc
	v_add_co_u32_e32 v5, vcc, v5, v34
	v_addc_co_u32_e32 v6, vcc, 0, v6, vcc
	global_store_dwordx2 v[5:6], v[3:4], off offset:2048
.LBB157_69:
	s_or_b64 exec, exec, s[30:31]
	v_or_b32_e32 v47, 0x200, v0
	v_cmp_gt_u32_e64 s[30:31], s74, v47
	s_and_saveexec_b64 s[34:35], s[30:31]
	s_cbranch_execz .LBB157_71
; %bb.70:
	ds_read_b64 v[3:4], v34 offset:6144
	s_mov_b32 s36, -1
	s_brev_b32 s37, -2
	v_bfrev_b32_e32 v7, 1
	s_waitcnt lgkmcnt(0)
	v_cmp_ne_u64_e32 vcc, s[36:37], v[3:4]
	v_ashrrev_i32_e32 v8, 31, v4
	v_cndmask_b32_e32 v6, v7, v4, vcc
	v_cndmask_b32_e32 v5, 0, v3, vcc
	v_lshrrev_b64 v[5:6], s68, v[5:6]
	v_cmp_lt_i64_e32 vcc, -1, v[3:4]
	v_and_b32_e32 v5, s73, v5
	v_lshlrev_b32_e32 v5, 3, v5
	ds_read_b64 v[5:6], v5
	v_cndmask_b32_e64 v7, v7, -1, vcc
	v_xor_b32_e32 v4, v7, v4
	v_mov_b32_e32 v7, s59
	v_not_b32_e32 v8, v8
	s_waitcnt lgkmcnt(0)
	v_lshlrev_b64 v[5:6], 3, v[5:6]
	v_xor_b32_e32 v3, v8, v3
	v_add_co_u32_e32 v5, vcc, s58, v5
	v_addc_co_u32_e32 v6, vcc, v7, v6, vcc
	v_lshlrev_b32_e32 v7, 3, v47
	v_add_co_u32_e32 v5, vcc, v5, v7
	v_addc_co_u32_e32 v6, vcc, 0, v6, vcc
	global_store_dwordx2 v[5:6], v[3:4], off
.LBB157_71:
	s_or_b64 exec, exec, s[34:35]
	v_or_b32_e32 v48, 0x300, v0
	v_cmp_gt_u32_e64 s[34:35], s74, v48
	s_and_saveexec_b64 s[36:37], s[34:35]
	s_cbranch_execz .LBB157_73
; %bb.72:
	ds_read_b64 v[3:4], v34 offset:8192
	s_mov_b32 s38, -1
	s_brev_b32 s39, -2
	v_bfrev_b32_e32 v7, 1
	s_waitcnt lgkmcnt(0)
	v_cmp_ne_u64_e32 vcc, s[38:39], v[3:4]
	v_ashrrev_i32_e32 v8, 31, v4
	v_cndmask_b32_e32 v6, v7, v4, vcc
	v_cndmask_b32_e32 v5, 0, v3, vcc
	v_lshrrev_b64 v[5:6], s68, v[5:6]
	v_cmp_lt_i64_e32 vcc, -1, v[3:4]
	v_and_b32_e32 v5, s73, v5
	v_lshlrev_b32_e32 v5, 3, v5
	ds_read_b64 v[5:6], v5
	v_cndmask_b32_e64 v7, v7, -1, vcc
	v_xor_b32_e32 v4, v7, v4
	v_mov_b32_e32 v7, s59
	v_not_b32_e32 v8, v8
	s_waitcnt lgkmcnt(0)
	v_lshlrev_b64 v[5:6], 3, v[5:6]
	v_xor_b32_e32 v3, v8, v3
	v_add_co_u32_e32 v5, vcc, s58, v5
	v_addc_co_u32_e32 v6, vcc, v7, v6, vcc
	v_lshlrev_b32_e32 v7, 3, v48
	v_add_co_u32_e32 v5, vcc, v5, v7
	v_addc_co_u32_e32 v6, vcc, 0, v6, vcc
	global_store_dwordx2 v[5:6], v[3:4], off
.LBB157_73:
	;; [unrolled: 34-line block ×10, first 2 shown]
	s_or_b64 exec, exec, s[74:75]
	s_add_u32 s70, s60, s70
	s_addc_u32 s71, s61, s71
	v_mov_b32_e32 v3, s71
	v_add_co_u32_e32 v4, vcc, s70, v32
	v_addc_co_u32_e32 v3, vcc, 0, v3, vcc
	v_add_co_u32_e32 v27, vcc, v4, v33
	v_addc_co_u32_e32 v28, vcc, 0, v3, vcc
                                        ; implicit-def: $vgpr3_vgpr4
	s_and_saveexec_b64 s[70:71], s[0:1]
	s_xor_b64 s[0:1], exec, s[70:71]
	s_cbranch_execz .LBB157_101
; %bb.90:
	global_load_dwordx2 v[3:4], v[27:28], off
	s_or_b64 exec, exec, s[0:1]
                                        ; implicit-def: $vgpr5_vgpr6
	s_and_saveexec_b64 s[0:1], s[2:3]
	s_cbranch_execnz .LBB157_102
.LBB157_91:
	s_or_b64 exec, exec, s[0:1]
                                        ; implicit-def: $vgpr7_vgpr8
	s_and_saveexec_b64 s[0:1], s[52:53]
	s_cbranch_execz .LBB157_103
.LBB157_92:
	global_load_dwordx2 v[7:8], v[27:28], off offset:1024
	s_or_b64 exec, exec, s[0:1]
                                        ; implicit-def: $vgpr9_vgpr10
	s_and_saveexec_b64 s[0:1], s[8:9]
	s_cbranch_execnz .LBB157_104
.LBB157_93:
	s_or_b64 exec, exec, s[0:1]
                                        ; implicit-def: $vgpr11_vgpr12
	s_and_saveexec_b64 s[0:1], s[10:11]
	s_cbranch_execz .LBB157_105
.LBB157_94:
	global_load_dwordx2 v[11:12], v[27:28], off offset:2048
	s_or_b64 exec, exec, s[0:1]
                                        ; implicit-def: $vgpr13_vgpr14
	s_and_saveexec_b64 s[0:1], s[12:13]
	s_cbranch_execnz .LBB157_106
.LBB157_95:
	s_or_b64 exec, exec, s[0:1]
                                        ; implicit-def: $vgpr15_vgpr16
	s_and_saveexec_b64 s[0:1], s[14:15]
	s_cbranch_execz .LBB157_107
.LBB157_96:
	global_load_dwordx2 v[15:16], v[27:28], off offset:3072
	s_or_b64 exec, exec, s[0:1]
                                        ; implicit-def: $vgpr17_vgpr18
	s_and_saveexec_b64 s[0:1], s[16:17]
	s_cbranch_execnz .LBB157_108
.LBB157_97:
	s_or_b64 exec, exec, s[0:1]
                                        ; implicit-def: $vgpr19_vgpr20
	s_and_saveexec_b64 s[0:1], s[18:19]
	s_cbranch_execz .LBB157_109
.LBB157_98:
	v_add_co_u32_e32 v19, vcc, 0x1000, v27
	v_addc_co_u32_e32 v20, vcc, 0, v28, vcc
	global_load_dwordx2 v[19:20], v[19:20], off
	s_or_b64 exec, exec, s[0:1]
                                        ; implicit-def: $vgpr21_vgpr22
	s_and_saveexec_b64 s[0:1], s[20:21]
	s_cbranch_execnz .LBB157_110
.LBB157_99:
	s_or_b64 exec, exec, s[0:1]
                                        ; implicit-def: $vgpr23_vgpr24
	s_and_saveexec_b64 s[0:1], s[22:23]
	s_cbranch_execz .LBB157_111
.LBB157_100:
	v_add_co_u32_e32 v23, vcc, 0x1000, v27
	v_addc_co_u32_e32 v24, vcc, 0, v28, vcc
	global_load_dwordx2 v[23:24], v[23:24], off offset:1024
	s_or_b64 exec, exec, s[0:1]
                                        ; implicit-def: $vgpr25_vgpr26
	s_and_saveexec_b64 s[0:1], s[24:25]
	s_cbranch_execnz .LBB157_112
	s_branch .LBB157_113
.LBB157_101:
	s_or_b64 exec, exec, s[0:1]
                                        ; implicit-def: $vgpr5_vgpr6
	s_and_saveexec_b64 s[0:1], s[2:3]
	s_cbranch_execz .LBB157_91
.LBB157_102:
	global_load_dwordx2 v[5:6], v[27:28], off offset:512
	s_or_b64 exec, exec, s[0:1]
                                        ; implicit-def: $vgpr7_vgpr8
	s_and_saveexec_b64 s[0:1], s[52:53]
	s_cbranch_execnz .LBB157_92
.LBB157_103:
	s_or_b64 exec, exec, s[0:1]
                                        ; implicit-def: $vgpr9_vgpr10
	s_and_saveexec_b64 s[0:1], s[8:9]
	s_cbranch_execz .LBB157_93
.LBB157_104:
	global_load_dwordx2 v[9:10], v[27:28], off offset:1536
	s_or_b64 exec, exec, s[0:1]
                                        ; implicit-def: $vgpr11_vgpr12
	s_and_saveexec_b64 s[0:1], s[10:11]
	s_cbranch_execnz .LBB157_94
.LBB157_105:
	s_or_b64 exec, exec, s[0:1]
                                        ; implicit-def: $vgpr13_vgpr14
	s_and_saveexec_b64 s[0:1], s[12:13]
	s_cbranch_execz .LBB157_95
.LBB157_106:
	global_load_dwordx2 v[13:14], v[27:28], off offset:2560
	s_or_b64 exec, exec, s[0:1]
                                        ; implicit-def: $vgpr15_vgpr16
	s_and_saveexec_b64 s[0:1], s[14:15]
	s_cbranch_execnz .LBB157_96
.LBB157_107:
	s_or_b64 exec, exec, s[0:1]
                                        ; implicit-def: $vgpr17_vgpr18
	s_and_saveexec_b64 s[0:1], s[16:17]
	s_cbranch_execz .LBB157_97
.LBB157_108:
	global_load_dwordx2 v[17:18], v[27:28], off offset:3584
	s_or_b64 exec, exec, s[0:1]
                                        ; implicit-def: $vgpr19_vgpr20
	s_and_saveexec_b64 s[0:1], s[18:19]
	s_cbranch_execnz .LBB157_98
.LBB157_109:
	s_or_b64 exec, exec, s[0:1]
                                        ; implicit-def: $vgpr21_vgpr22
	s_and_saveexec_b64 s[0:1], s[20:21]
	s_cbranch_execz .LBB157_99
.LBB157_110:
	v_add_co_u32_e32 v21, vcc, 0x1000, v27
	v_addc_co_u32_e32 v22, vcc, 0, v28, vcc
	global_load_dwordx2 v[21:22], v[21:22], off offset:512
	s_or_b64 exec, exec, s[0:1]
                                        ; implicit-def: $vgpr23_vgpr24
	s_and_saveexec_b64 s[0:1], s[22:23]
	s_cbranch_execnz .LBB157_100
.LBB157_111:
	s_or_b64 exec, exec, s[0:1]
                                        ; implicit-def: $vgpr25_vgpr26
	s_and_saveexec_b64 s[0:1], s[24:25]
	s_cbranch_execz .LBB157_113
.LBB157_112:
	v_add_co_u32_e32 v25, vcc, 0x1000, v27
	v_addc_co_u32_e32 v26, vcc, 0, v28, vcc
	global_load_dwordx2 v[25:26], v[25:26], off offset:1536
.LBB157_113:
	s_or_b64 exec, exec, s[0:1]
	v_mov_b32_e32 v27, 0
	v_mov_b32_e32 v58, 0
	s_and_saveexec_b64 s[0:1], s[26:27]
	s_cbranch_execz .LBB157_115
; %bb.114:
	ds_read_b64 v[32:33], v34 offset:2048
	s_mov_b32 s2, -1
	s_brev_b32 s3, -2
	v_bfrev_b32_e32 v28, 1
	s_waitcnt lgkmcnt(0)
	v_cmp_ne_u64_e32 vcc, s[2:3], v[32:33]
	v_cndmask_b32_e32 v33, v28, v33, vcc
	v_cndmask_b32_e32 v32, 0, v32, vcc
	v_lshrrev_b64 v[32:33], s68, v[32:33]
	v_and_b32_e32 v58, s73, v32
.LBB157_115:
	s_or_b64 exec, exec, s[0:1]
	s_and_saveexec_b64 s[0:1], s[28:29]
	s_cbranch_execz .LBB157_117
; %bb.116:
	ds_read_b64 v[27:28], v34 offset:4096
	s_mov_b32 s2, -1
	s_brev_b32 s3, -2
	v_bfrev_b32_e32 v32, 1
	s_waitcnt lgkmcnt(0)
	v_cmp_ne_u64_e32 vcc, s[2:3], v[27:28]
	v_cndmask_b32_e32 v28, v32, v28, vcc
	v_cndmask_b32_e32 v27, 0, v27, vcc
	v_lshrrev_b64 v[27:28], s68, v[27:28]
	v_and_b32_e32 v27, s73, v27
.LBB157_117:
	s_or_b64 exec, exec, s[0:1]
	v_mov_b32_e32 v28, 0
	v_mov_b32_e32 v60, 0
	s_and_saveexec_b64 s[0:1], s[30:31]
	s_cbranch_execz .LBB157_119
; %bb.118:
	ds_read_b64 v[32:33], v34 offset:6144
	s_mov_b32 s2, -1
	s_brev_b32 s3, -2
	v_bfrev_b32_e32 v57, 1
	s_waitcnt lgkmcnt(0)
	v_cmp_ne_u64_e32 vcc, s[2:3], v[32:33]
	v_cndmask_b32_e32 v33, v57, v33, vcc
	v_cndmask_b32_e32 v32, 0, v32, vcc
	v_lshrrev_b64 v[32:33], s68, v[32:33]
	v_and_b32_e32 v60, s73, v32
.LBB157_119:
	s_or_b64 exec, exec, s[0:1]
	s_and_saveexec_b64 s[0:1], s[34:35]
	s_cbranch_execz .LBB157_121
; %bb.120:
	ds_read_b64 v[32:33], v34 offset:8192
	s_mov_b32 s2, -1
	s_brev_b32 s3, -2
	v_bfrev_b32_e32 v28, 1
	s_waitcnt lgkmcnt(0)
	v_cmp_ne_u64_e32 vcc, s[2:3], v[32:33]
	v_cndmask_b32_e32 v33, v28, v33, vcc
	v_cndmask_b32_e32 v32, 0, v32, vcc
	v_lshrrev_b64 v[32:33], s68, v[32:33]
	v_and_b32_e32 v28, s73, v32
.LBB157_121:
	;; [unrolled: 32-line block ×6, first 2 shown]
	s_or_b64 exec, exec, s[0:1]
	s_waitcnt vmcnt(0)
	s_barrier
	ds_write_b64 v35, v[3:4] offset:2048
	ds_write_b64 v36, v[5:6] offset:2048
	ds_write_b64 v37, v[7:8] offset:2048
	ds_write_b64 v38, v[9:10] offset:2048
	ds_write_b64 v39, v[11:12] offset:2048
	ds_write_b64 v40, v[13:14] offset:2048
	ds_write_b64 v41, v[15:16] offset:2048
	ds_write_b64 v42, v[17:18] offset:2048
	ds_write_b64 v43, v[19:20] offset:2048
	ds_write_b64 v44, v[21:22] offset:2048
	ds_write_b64 v45, v[23:24] offset:2048
	ds_write_b64 v46, v[25:26] offset:2048
	s_waitcnt lgkmcnt(0)
	s_barrier
	s_and_saveexec_b64 s[0:1], s[26:27]
	s_cbranch_execz .LBB157_196
; %bb.138:
	v_lshlrev_b32_e32 v3, 3, v58
	ds_read_b64 v[3:4], v3
	ds_read_b64 v[5:6], v34 offset:2048
	v_mov_b32_e32 v7, s63
	s_waitcnt lgkmcnt(1)
	v_lshlrev_b64 v[3:4], 3, v[3:4]
	v_add_co_u32_e32 v3, vcc, s62, v3
	v_addc_co_u32_e32 v4, vcc, v7, v4, vcc
	v_add_co_u32_e32 v3, vcc, v3, v34
	v_addc_co_u32_e32 v4, vcc, 0, v4, vcc
	s_waitcnt lgkmcnt(0)
	global_store_dwordx2 v[3:4], v[5:6], off
	s_or_b64 exec, exec, s[0:1]
	s_and_saveexec_b64 s[0:1], s[28:29]
	s_cbranch_execnz .LBB157_197
.LBB157_139:
	s_or_b64 exec, exec, s[0:1]
	s_and_saveexec_b64 s[0:1], s[30:31]
	s_cbranch_execz .LBB157_198
.LBB157_140:
	v_lshlrev_b32_e32 v3, 3, v60
	ds_read_b64 v[3:4], v3
	ds_read_b64 v[5:6], v34 offset:6144
	v_mov_b32_e32 v7, s63
	s_waitcnt lgkmcnt(1)
	v_lshlrev_b64 v[3:4], 3, v[3:4]
	v_add_co_u32_e32 v3, vcc, s62, v3
	v_addc_co_u32_e32 v4, vcc, v7, v4, vcc
	v_lshlrev_b32_e32 v7, 3, v47
	v_add_co_u32_e32 v3, vcc, v3, v7
	v_addc_co_u32_e32 v4, vcc, 0, v4, vcc
	s_waitcnt lgkmcnt(0)
	global_store_dwordx2 v[3:4], v[5:6], off
	s_or_b64 exec, exec, s[0:1]
	s_and_saveexec_b64 s[0:1], s[34:35]
	s_cbranch_execnz .LBB157_199
.LBB157_141:
	s_or_b64 exec, exec, s[0:1]
	s_and_saveexec_b64 s[0:1], s[36:37]
	s_cbranch_execz .LBB157_200
.LBB157_142:
	v_lshlrev_b32_e32 v3, 3, v61
	ds_read_b64 v[3:4], v3
	ds_read_b64 v[5:6], v34 offset:10240
	v_mov_b32_e32 v7, s63
	s_waitcnt lgkmcnt(1)
	v_lshlrev_b64 v[3:4], 3, v[3:4]
	v_add_co_u32_e32 v3, vcc, s62, v3
	v_addc_co_u32_e32 v4, vcc, v7, v4, vcc
	v_lshlrev_b32_e32 v7, 3, v49
	v_add_co_u32_e32 v3, vcc, v3, v7
	v_addc_co_u32_e32 v4, vcc, 0, v4, vcc
	s_waitcnt lgkmcnt(0)
	global_store_dwordx2 v[3:4], v[5:6], off
	s_or_b64 exec, exec, s[0:1]
	s_and_saveexec_b64 s[0:1], s[38:39]
	s_cbranch_execnz .LBB157_201
.LBB157_143:
	s_or_b64 exec, exec, s[0:1]
	s_and_saveexec_b64 s[0:1], s[40:41]
	s_cbranch_execz .LBB157_202
.LBB157_144:
	v_lshlrev_b32_e32 v3, 3, v62
	ds_read_b64 v[3:4], v3
	ds_read_b64 v[5:6], v34 offset:14336
	v_mov_b32_e32 v7, s63
	s_waitcnt lgkmcnt(1)
	v_lshlrev_b64 v[3:4], 3, v[3:4]
	v_add_co_u32_e32 v3, vcc, s62, v3
	v_addc_co_u32_e32 v4, vcc, v7, v4, vcc
	v_lshlrev_b32_e32 v7, 3, v51
	v_add_co_u32_e32 v3, vcc, v3, v7
	v_addc_co_u32_e32 v4, vcc, 0, v4, vcc
	s_waitcnt lgkmcnt(0)
	global_store_dwordx2 v[3:4], v[5:6], off
	s_or_b64 exec, exec, s[0:1]
	s_and_saveexec_b64 s[0:1], s[42:43]
	s_cbranch_execnz .LBB157_203
.LBB157_145:
	s_or_b64 exec, exec, s[0:1]
	s_and_saveexec_b64 s[0:1], s[44:45]
	s_cbranch_execz .LBB157_204
.LBB157_146:
	v_lshlrev_b32_e32 v3, 3, v63
	ds_read_b64 v[3:4], v3
	ds_read_b64 v[5:6], v34 offset:18432
	v_mov_b32_e32 v7, s63
	s_waitcnt lgkmcnt(1)
	v_lshlrev_b64 v[3:4], 3, v[3:4]
	v_add_co_u32_e32 v3, vcc, s62, v3
	v_addc_co_u32_e32 v4, vcc, v7, v4, vcc
	v_lshlrev_b32_e32 v7, 3, v53
	v_add_co_u32_e32 v3, vcc, v3, v7
	v_addc_co_u32_e32 v4, vcc, 0, v4, vcc
	s_waitcnt lgkmcnt(0)
	global_store_dwordx2 v[3:4], v[5:6], off
	s_or_b64 exec, exec, s[0:1]
	s_and_saveexec_b64 s[0:1], s[46:47]
	s_cbranch_execnz .LBB157_205
.LBB157_147:
	s_or_b64 exec, exec, s[0:1]
	s_and_saveexec_b64 s[0:1], s[48:49]
	s_cbranch_execz .LBB157_206
.LBB157_148:
	v_lshlrev_b32_e32 v3, 3, v64
	ds_read_b64 v[3:4], v3
	ds_read_b64 v[5:6], v34 offset:22528
	v_mov_b32_e32 v7, s63
	s_waitcnt lgkmcnt(1)
	v_lshlrev_b64 v[3:4], 3, v[3:4]
	v_add_co_u32_e32 v3, vcc, s62, v3
	v_addc_co_u32_e32 v4, vcc, v7, v4, vcc
	v_lshlrev_b32_e32 v7, 3, v55
	v_add_co_u32_e32 v3, vcc, v3, v7
	v_addc_co_u32_e32 v4, vcc, 0, v4, vcc
	s_waitcnt lgkmcnt(0)
	global_store_dwordx2 v[3:4], v[5:6], off
	s_or_b64 exec, exec, s[0:1]
	s_and_saveexec_b64 s[0:1], s[50:51]
	s_cbranch_execnz .LBB157_207
.LBB157_149:
	s_or_b64 exec, exec, s[0:1]
	s_add_i32 s33, s33, -1
	s_cmp_eq_u32 s6, s33
	s_cbranch_scc0 .LBB157_151
.LBB157_150:
	ds_read_b64 v[3:4], v34
	v_add_co_u32_e32 v5, vcc, v30, v29
	v_addc_co_u32_e64 v6, s[0:1], 0, 0, vcc
	s_waitcnt lgkmcnt(0)
	v_add_co_u32_e32 v3, vcc, v5, v3
	v_addc_co_u32_e32 v4, vcc, v6, v4, vcc
	global_store_dwordx2 v34, v[3:4], s[66:67]
.LBB157_151:
	s_mov_b64 s[0:1], 0
.LBB157_152:
	s_and_b64 vcc, exec, s[0:1]
	s_cbranch_vccz .LBB157_195
; %bb.153:
	s_mov_b32 s73, 0
	s_lshl_b64 s[10:11], s[72:73], 3
	v_mbcnt_hi_u32_b32 v31, -1, v31
	s_add_u32 s0, s56, s10
	v_lshlrev_b32_e32 v29, 3, v31
	s_addc_u32 s1, s57, s11
	v_and_b32_e32 v33, 0xc0, v0
	v_add_co_u32_e32 v6, vcc, s0, v29
	s_load_dword s14, s[4:5], 0x50
	s_load_dword s0, s[4:5], 0x5c
	v_mul_u32_u24_e32 v3, 12, v33
	v_mov_b32_e32 v4, s1
	v_addc_co_u32_e32 v4, vcc, 0, v4, vcc
	v_lshlrev_b32_e32 v30, 3, v3
	v_add_co_u32_e32 v6, vcc, v6, v30
	v_addc_co_u32_e32 v7, vcc, 0, v4, vcc
	s_add_u32 s1, s4, 0x50
	global_load_dwordx2 v[27:28], v[6:7], off
	s_addc_u32 s2, s5, 0
	s_waitcnt lgkmcnt(0)
	s_lshr_b32 s4, s0, 16
	s_cmp_lt_u32 s6, s14
	s_cselect_b32 s0, 12, 18
	s_add_u32 s0, s1, s0
	v_mov_b32_e32 v5, 0
	s_addc_u32 s1, s2, 0
	global_load_ushort v34, v5, s[0:1]
	v_mul_u32_u24_e32 v32, 20, v0
	ds_write2_b32 v32, v5, v5 offset0:4 offset1:5
	ds_write2_b32 v32, v5, v5 offset0:6 offset1:7
	ds_write_b32 v32, v5 offset:32
	s_movk_i32 s0, 0x1000
	global_load_dwordx2 v[3:4], v[6:7], off offset:512
	global_load_dwordx2 v[25:26], v[6:7], off offset:1024
	;; [unrolled: 1-line block ×7, first 2 shown]
	v_mad_u32_u24 v35, v2, s4, v1
	v_add_co_u32_e32 v1, vcc, s0, v6
	v_addc_co_u32_e32 v2, vcc, 0, v7, vcc
	global_load_dwordx2 v[19:20], v[1:2], off
	global_load_dwordx2 v[15:16], v[1:2], off offset:512
	global_load_dwordx2 v[11:12], v[1:2], off offset:1024
	;; [unrolled: 1-line block ×3, first 2 shown]
	v_bfrev_b32_e32 v36, 1
	s_mov_b32 s2, -1
	s_brev_b32 s3, -2
	s_lshl_b32 s0, -1, s69
	s_not_b32 s15, s0
	s_waitcnt vmcnt(0) lgkmcnt(0)
	s_barrier
	; wave barrier
	v_cmp_lt_i64_e32 vcc, -1, v[27:28]
	v_ashrrev_i32_e32 v6, 31, v28
	v_cndmask_b32_e32 v1, -1, v36, vcc
	v_xor_b32_e32 v2, v1, v28
	v_xor_b32_e32 v1, v6, v27
	v_cmp_ne_u64_e32 vcc, s[2:3], v[1:2]
	v_mad_u64_u32 v[27:28], s[0:1], v35, v34, v[0:1]
	v_cndmask_b32_e32 v35, v36, v2, vcc
	v_cndmask_b32_e32 v34, 0, v1, vcc
	v_lshrrev_b64 v[34:35], s68, v[34:35]
	v_lshrrev_b32_e32 v39, 6, v27
	v_and_b32_e32 v27, s15, v34
	v_and_b32_e32 v34, 1, v27
	v_add_co_u32_e32 v35, vcc, -1, v34
	v_mul_lo_u32 v28, v27, 20
	v_lshlrev_b32_e32 v6, 30, v27
	v_addc_co_u32_e64 v37, s[0:1], 0, -1, vcc
	v_cmp_ne_u32_e32 vcc, 0, v34
	v_cmp_gt_i64_e64 s[0:1], 0, v[5:6]
	v_not_b32_e32 v34, v6
	v_lshlrev_b32_e32 v6, 29, v27
	v_xor_b32_e32 v37, vcc_hi, v37
	v_xor_b32_e32 v35, vcc_lo, v35
	v_ashrrev_i32_e32 v34, 31, v34
	v_cmp_gt_i64_e32 vcc, 0, v[5:6]
	v_not_b32_e32 v38, v6
	v_lshlrev_b32_e32 v6, 28, v27
	v_and_b32_e32 v37, exec_hi, v37
	v_xor_b32_e32 v40, s1, v34
	v_ashrrev_i32_e32 v38, 31, v38
	v_and_b32_e32 v35, exec_lo, v35
	v_xor_b32_e32 v41, s0, v34
	v_lshl_add_u32 v34, v39, 2, v28
	v_and_b32_e32 v28, v37, v40
	v_xor_b32_e32 v37, vcc_hi, v38
	v_xor_b32_e32 v38, vcc_lo, v38
	v_cmp_gt_i64_e32 vcc, 0, v[5:6]
	v_not_b32_e32 v6, v6
	v_and_b32_e32 v35, v35, v41
	v_ashrrev_i32_e32 v6, 31, v6
	v_and_b32_e32 v28, v28, v37
	v_and_b32_e32 v35, v35, v38
	v_xor_b32_e32 v37, vcc_hi, v6
	v_xor_b32_e32 v6, vcc_lo, v6
	v_and_b32_e32 v35, v35, v6
	v_lshlrev_b32_e32 v6, 27, v27
	v_cmp_gt_i64_e32 vcc, 0, v[5:6]
	v_not_b32_e32 v6, v6
	v_ashrrev_i32_e32 v6, 31, v6
	v_and_b32_e32 v28, v28, v37
	v_xor_b32_e32 v37, vcc_hi, v6
	v_xor_b32_e32 v6, vcc_lo, v6
	v_and_b32_e32 v35, v35, v6
	v_lshlrev_b32_e32 v6, 26, v27
	v_cmp_gt_i64_e32 vcc, 0, v[5:6]
	v_not_b32_e32 v6, v6
	v_ashrrev_i32_e32 v6, 31, v6
	;; [unrolled: 8-line block ×4, first 2 shown]
	v_and_b32_e32 v28, v28, v37
	v_xor_b32_e32 v27, vcc_hi, v6
	v_xor_b32_e32 v6, vcc_lo, v6
	v_and_b32_e32 v28, v28, v27
	v_and_b32_e32 v27, v35, v6
	v_mbcnt_lo_u32_b32 v6, v27, 0
	v_mbcnt_hi_u32_b32 v35, v28, v6
	v_cmp_ne_u64_e32 vcc, 0, v[27:28]
	v_cmp_eq_u32_e64 s[0:1], 0, v35
	s_and_b64 s[4:5], vcc, s[0:1]
	s_and_saveexec_b64 s[0:1], s[4:5]
; %bb.154:
	v_bcnt_u32_b32 v6, v27, 0
	v_bcnt_u32_b32 v6, v28, v6
	ds_write_b32 v34, v6 offset:16
; %bb.155:
	s_or_b64 exec, exec, s[0:1]
	v_cmp_lt_i64_e32 vcc, -1, v[3:4]
	v_ashrrev_i32_e32 v27, 31, v4
	v_cndmask_b32_e32 v6, -1, v36, vcc
	v_xor_b32_e32 v4, v6, v4
	v_xor_b32_e32 v3, v27, v3
	v_cmp_ne_u64_e32 vcc, s[2:3], v[3:4]
	v_cndmask_b32_e32 v28, v36, v4, vcc
	v_cndmask_b32_e32 v27, 0, v3, vcc
	v_lshrrev_b64 v[27:28], s68, v[27:28]
	; wave barrier
	v_and_b32_e32 v27, s15, v27
	v_mul_lo_u32 v6, v27, 20
	v_lshl_add_u32 v37, v39, 2, v6
	v_and_b32_e32 v6, 1, v27
	v_add_co_u32_e32 v28, vcc, -1, v6
	v_addc_co_u32_e64 v38, s[0:1], 0, -1, vcc
	v_cmp_ne_u32_e32 vcc, 0, v6
	v_xor_b32_e32 v6, vcc_hi, v38
	v_and_b32_e32 v38, exec_hi, v6
	v_lshlrev_b32_e32 v6, 30, v27
	v_xor_b32_e32 v28, vcc_lo, v28
	v_cmp_gt_i64_e32 vcc, 0, v[5:6]
	v_not_b32_e32 v6, v6
	v_ashrrev_i32_e32 v6, 31, v6
	v_and_b32_e32 v28, exec_lo, v28
	v_xor_b32_e32 v40, vcc_hi, v6
	v_xor_b32_e32 v6, vcc_lo, v6
	v_and_b32_e32 v28, v28, v6
	v_lshlrev_b32_e32 v6, 29, v27
	v_cmp_gt_i64_e32 vcc, 0, v[5:6]
	v_not_b32_e32 v6, v6
	v_ashrrev_i32_e32 v6, 31, v6
	v_and_b32_e32 v38, v38, v40
	v_xor_b32_e32 v40, vcc_hi, v6
	v_xor_b32_e32 v6, vcc_lo, v6
	v_and_b32_e32 v28, v28, v6
	v_lshlrev_b32_e32 v6, 28, v27
	v_cmp_gt_i64_e32 vcc, 0, v[5:6]
	v_not_b32_e32 v6, v6
	v_ashrrev_i32_e32 v6, 31, v6
	v_and_b32_e32 v38, v38, v40
	;; [unrolled: 8-line block ×5, first 2 shown]
	v_xor_b32_e32 v40, vcc_hi, v6
	v_xor_b32_e32 v6, vcc_lo, v6
	v_and_b32_e32 v28, v28, v6
	v_lshlrev_b32_e32 v6, 24, v27
	v_cmp_gt_i64_e32 vcc, 0, v[5:6]
	v_not_b32_e32 v5, v6
	v_ashrrev_i32_e32 v5, 31, v5
	v_xor_b32_e32 v6, vcc_hi, v5
	v_xor_b32_e32 v5, vcc_lo, v5
	ds_read_b32 v36, v37 offset:16
	v_and_b32_e32 v38, v38, v40
	v_and_b32_e32 v5, v28, v5
	;; [unrolled: 1-line block ×3, first 2 shown]
	v_mbcnt_lo_u32_b32 v27, v5, 0
	v_mbcnt_hi_u32_b32 v38, v6, v27
	v_cmp_ne_u64_e32 vcc, 0, v[5:6]
	v_cmp_eq_u32_e64 s[0:1], 0, v38
	s_and_b64 s[2:3], vcc, s[0:1]
	; wave barrier
	s_and_saveexec_b64 s[0:1], s[2:3]
	s_cbranch_execz .LBB157_157
; %bb.156:
	v_bcnt_u32_b32 v5, v5, 0
	v_bcnt_u32_b32 v5, v6, v5
	s_waitcnt lgkmcnt(0)
	v_add_u32_e32 v5, v36, v5
	ds_write_b32 v37, v5 offset:16
.LBB157_157:
	s_or_b64 exec, exec, s[0:1]
	v_cmp_lt_i64_e32 vcc, -1, v[25:26]
	v_bfrev_b32_e32 v28, 1
	s_mov_b32 s2, -1
	v_cndmask_b32_e32 v5, -1, v28, vcc
	v_ashrrev_i32_e32 v27, 31, v26
	s_brev_b32 s3, -2
	v_xor_b32_e32 v6, v5, v26
	v_xor_b32_e32 v5, v27, v25
	v_cmp_ne_u64_e32 vcc, s[2:3], v[5:6]
	v_cndmask_b32_e32 v26, v28, v6, vcc
	v_cndmask_b32_e32 v25, 0, v5, vcc
	v_lshrrev_b64 v[25:26], s68, v[25:26]
	; wave barrier
	v_and_b32_e32 v27, s15, v25
	v_mul_lo_u32 v25, v27, 20
	v_and_b32_e32 v26, 1, v27
	v_add_co_u32_e32 v42, vcc, -1, v26
	v_addc_co_u32_e64 v43, s[0:1], 0, -1, vcc
	v_cmp_ne_u32_e32 vcc, 0, v26
	v_xor_b32_e32 v26, vcc_hi, v43
	v_lshl_add_u32 v41, v39, 2, v25
	v_mov_b32_e32 v25, 0
	v_and_b32_e32 v43, exec_hi, v26
	v_lshlrev_b32_e32 v26, 30, v27
	v_xor_b32_e32 v42, vcc_lo, v42
	v_cmp_gt_i64_e32 vcc, 0, v[25:26]
	v_not_b32_e32 v26, v26
	v_ashrrev_i32_e32 v26, 31, v26
	v_and_b32_e32 v42, exec_lo, v42
	v_xor_b32_e32 v44, vcc_hi, v26
	v_xor_b32_e32 v26, vcc_lo, v26
	v_and_b32_e32 v42, v42, v26
	v_lshlrev_b32_e32 v26, 29, v27
	v_cmp_gt_i64_e32 vcc, 0, v[25:26]
	v_not_b32_e32 v26, v26
	v_ashrrev_i32_e32 v26, 31, v26
	v_and_b32_e32 v43, v43, v44
	v_xor_b32_e32 v44, vcc_hi, v26
	v_xor_b32_e32 v26, vcc_lo, v26
	v_and_b32_e32 v42, v42, v26
	v_lshlrev_b32_e32 v26, 28, v27
	v_cmp_gt_i64_e32 vcc, 0, v[25:26]
	v_not_b32_e32 v26, v26
	v_ashrrev_i32_e32 v26, 31, v26
	v_and_b32_e32 v43, v43, v44
	;; [unrolled: 8-line block ×5, first 2 shown]
	v_xor_b32_e32 v44, vcc_hi, v26
	v_xor_b32_e32 v26, vcc_lo, v26
	v_and_b32_e32 v42, v42, v26
	v_lshlrev_b32_e32 v26, 24, v27
	v_cmp_gt_i64_e32 vcc, 0, v[25:26]
	v_not_b32_e32 v26, v26
	v_ashrrev_i32_e32 v26, 31, v26
	v_xor_b32_e32 v27, vcc_hi, v26
	v_xor_b32_e32 v26, vcc_lo, v26
	ds_read_b32 v40, v41 offset:16
	v_and_b32_e32 v43, v43, v44
	v_and_b32_e32 v26, v42, v26
	;; [unrolled: 1-line block ×3, first 2 shown]
	v_mbcnt_lo_u32_b32 v42, v26, 0
	v_mbcnt_hi_u32_b32 v42, v27, v42
	v_cmp_ne_u64_e32 vcc, 0, v[26:27]
	v_cmp_eq_u32_e64 s[0:1], 0, v42
	s_and_b64 s[4:5], vcc, s[0:1]
	; wave barrier
	s_and_saveexec_b64 s[0:1], s[4:5]
	s_cbranch_execz .LBB157_159
; %bb.158:
	v_bcnt_u32_b32 v26, v26, 0
	v_bcnt_u32_b32 v26, v27, v26
	s_waitcnt lgkmcnt(0)
	v_add_u32_e32 v26, v40, v26
	ds_write_b32 v41, v26 offset:16
.LBB157_159:
	s_or_b64 exec, exec, s[0:1]
	v_cmp_lt_i64_e32 vcc, -1, v[9:10]
	v_ashrrev_i32_e32 v27, 31, v10
	v_cndmask_b32_e32 v26, -1, v28, vcc
	v_xor_b32_e32 v10, v26, v10
	v_xor_b32_e32 v9, v27, v9
	v_cmp_ne_u64_e32 vcc, s[2:3], v[9:10]
	v_cndmask_b32_e32 v27, v28, v10, vcc
	v_cndmask_b32_e32 v26, 0, v9, vcc
	v_lshrrev_b64 v[26:27], s68, v[26:27]
	; wave barrier
	v_and_b32_e32 v27, s15, v26
	v_mul_lo_u32 v26, v27, 20
	v_lshl_add_u32 v44, v39, 2, v26
	v_and_b32_e32 v26, 1, v27
	v_add_co_u32_e32 v28, vcc, -1, v26
	v_addc_co_u32_e64 v45, s[0:1], 0, -1, vcc
	v_cmp_ne_u32_e32 vcc, 0, v26
	v_xor_b32_e32 v26, vcc_hi, v45
	v_and_b32_e32 v45, exec_hi, v26
	v_lshlrev_b32_e32 v26, 30, v27
	v_xor_b32_e32 v28, vcc_lo, v28
	v_cmp_gt_i64_e32 vcc, 0, v[25:26]
	v_not_b32_e32 v26, v26
	v_ashrrev_i32_e32 v26, 31, v26
	v_and_b32_e32 v28, exec_lo, v28
	v_xor_b32_e32 v46, vcc_hi, v26
	v_xor_b32_e32 v26, vcc_lo, v26
	v_and_b32_e32 v28, v28, v26
	v_lshlrev_b32_e32 v26, 29, v27
	v_cmp_gt_i64_e32 vcc, 0, v[25:26]
	v_not_b32_e32 v26, v26
	v_ashrrev_i32_e32 v26, 31, v26
	v_and_b32_e32 v45, v45, v46
	v_xor_b32_e32 v46, vcc_hi, v26
	v_xor_b32_e32 v26, vcc_lo, v26
	v_and_b32_e32 v28, v28, v26
	v_lshlrev_b32_e32 v26, 28, v27
	v_cmp_gt_i64_e32 vcc, 0, v[25:26]
	v_not_b32_e32 v26, v26
	v_ashrrev_i32_e32 v26, 31, v26
	v_and_b32_e32 v45, v45, v46
	;; [unrolled: 8-line block ×5, first 2 shown]
	v_xor_b32_e32 v46, vcc_hi, v26
	v_xor_b32_e32 v26, vcc_lo, v26
	v_and_b32_e32 v28, v28, v26
	v_lshlrev_b32_e32 v26, 24, v27
	v_cmp_gt_i64_e32 vcc, 0, v[25:26]
	v_not_b32_e32 v25, v26
	v_ashrrev_i32_e32 v25, 31, v25
	v_xor_b32_e32 v26, vcc_hi, v25
	v_xor_b32_e32 v25, vcc_lo, v25
	ds_read_b32 v43, v44 offset:16
	v_and_b32_e32 v45, v45, v46
	v_and_b32_e32 v25, v28, v25
	;; [unrolled: 1-line block ×3, first 2 shown]
	v_mbcnt_lo_u32_b32 v27, v25, 0
	v_mbcnt_hi_u32_b32 v45, v26, v27
	v_cmp_ne_u64_e32 vcc, 0, v[25:26]
	v_cmp_eq_u32_e64 s[0:1], 0, v45
	s_and_b64 s[2:3], vcc, s[0:1]
	; wave barrier
	s_and_saveexec_b64 s[0:1], s[2:3]
	s_cbranch_execz .LBB157_161
; %bb.160:
	v_bcnt_u32_b32 v25, v25, 0
	v_bcnt_u32_b32 v25, v26, v25
	s_waitcnt lgkmcnt(0)
	v_add_u32_e32 v25, v43, v25
	ds_write_b32 v44, v25 offset:16
.LBB157_161:
	s_or_b64 exec, exec, s[0:1]
	v_cmp_lt_i64_e32 vcc, -1, v[13:14]
	v_bfrev_b32_e32 v28, 1
	s_mov_b32 s2, -1
	v_cndmask_b32_e32 v25, -1, v28, vcc
	v_ashrrev_i32_e32 v26, 31, v14
	s_brev_b32 s3, -2
	v_xor_b32_e32 v14, v25, v14
	v_xor_b32_e32 v13, v26, v13
	v_cmp_ne_u64_e32 vcc, s[2:3], v[13:14]
	v_cndmask_b32_e32 v26, v28, v14, vcc
	v_cndmask_b32_e32 v25, 0, v13, vcc
	v_lshrrev_b64 v[25:26], s68, v[25:26]
	; wave barrier
	v_and_b32_e32 v27, s15, v25
	v_mul_lo_u32 v25, v27, 20
	v_and_b32_e32 v26, 1, v27
	v_add_co_u32_e32 v48, vcc, -1, v26
	v_addc_co_u32_e64 v49, s[0:1], 0, -1, vcc
	v_cmp_ne_u32_e32 vcc, 0, v26
	v_xor_b32_e32 v26, vcc_hi, v49
	v_lshl_add_u32 v47, v39, 2, v25
	v_mov_b32_e32 v25, 0
	v_and_b32_e32 v49, exec_hi, v26
	v_lshlrev_b32_e32 v26, 30, v27
	v_xor_b32_e32 v48, vcc_lo, v48
	v_cmp_gt_i64_e32 vcc, 0, v[25:26]
	v_not_b32_e32 v26, v26
	v_ashrrev_i32_e32 v26, 31, v26
	v_and_b32_e32 v48, exec_lo, v48
	v_xor_b32_e32 v50, vcc_hi, v26
	v_xor_b32_e32 v26, vcc_lo, v26
	v_and_b32_e32 v48, v48, v26
	v_lshlrev_b32_e32 v26, 29, v27
	v_cmp_gt_i64_e32 vcc, 0, v[25:26]
	v_not_b32_e32 v26, v26
	v_ashrrev_i32_e32 v26, 31, v26
	v_and_b32_e32 v49, v49, v50
	v_xor_b32_e32 v50, vcc_hi, v26
	v_xor_b32_e32 v26, vcc_lo, v26
	v_and_b32_e32 v48, v48, v26
	v_lshlrev_b32_e32 v26, 28, v27
	v_cmp_gt_i64_e32 vcc, 0, v[25:26]
	v_not_b32_e32 v26, v26
	v_ashrrev_i32_e32 v26, 31, v26
	v_and_b32_e32 v49, v49, v50
	;; [unrolled: 8-line block ×5, first 2 shown]
	v_xor_b32_e32 v50, vcc_hi, v26
	v_xor_b32_e32 v26, vcc_lo, v26
	v_and_b32_e32 v48, v48, v26
	v_lshlrev_b32_e32 v26, 24, v27
	v_cmp_gt_i64_e32 vcc, 0, v[25:26]
	v_not_b32_e32 v26, v26
	v_ashrrev_i32_e32 v26, 31, v26
	v_xor_b32_e32 v27, vcc_hi, v26
	v_xor_b32_e32 v26, vcc_lo, v26
	ds_read_b32 v46, v47 offset:16
	v_and_b32_e32 v49, v49, v50
	v_and_b32_e32 v26, v48, v26
	;; [unrolled: 1-line block ×3, first 2 shown]
	v_mbcnt_lo_u32_b32 v48, v26, 0
	v_mbcnt_hi_u32_b32 v48, v27, v48
	v_cmp_ne_u64_e32 vcc, 0, v[26:27]
	v_cmp_eq_u32_e64 s[0:1], 0, v48
	s_and_b64 s[4:5], vcc, s[0:1]
	; wave barrier
	s_and_saveexec_b64 s[0:1], s[4:5]
	s_cbranch_execz .LBB157_163
; %bb.162:
	v_bcnt_u32_b32 v26, v26, 0
	v_bcnt_u32_b32 v26, v27, v26
	s_waitcnt lgkmcnt(0)
	v_add_u32_e32 v26, v46, v26
	ds_write_b32 v47, v26 offset:16
.LBB157_163:
	s_or_b64 exec, exec, s[0:1]
	v_cmp_lt_i64_e32 vcc, -1, v[17:18]
	v_ashrrev_i32_e32 v27, 31, v18
	v_cndmask_b32_e32 v26, -1, v28, vcc
	v_xor_b32_e32 v18, v26, v18
	v_xor_b32_e32 v17, v27, v17
	v_cmp_ne_u64_e32 vcc, s[2:3], v[17:18]
	v_cndmask_b32_e32 v27, v28, v18, vcc
	v_cndmask_b32_e32 v26, 0, v17, vcc
	v_lshrrev_b64 v[26:27], s68, v[26:27]
	; wave barrier
	v_and_b32_e32 v27, s15, v26
	v_mul_lo_u32 v26, v27, 20
	v_lshl_add_u32 v50, v39, 2, v26
	v_and_b32_e32 v26, 1, v27
	v_add_co_u32_e32 v28, vcc, -1, v26
	v_addc_co_u32_e64 v51, s[0:1], 0, -1, vcc
	v_cmp_ne_u32_e32 vcc, 0, v26
	v_xor_b32_e32 v26, vcc_hi, v51
	v_and_b32_e32 v51, exec_hi, v26
	v_lshlrev_b32_e32 v26, 30, v27
	v_xor_b32_e32 v28, vcc_lo, v28
	v_cmp_gt_i64_e32 vcc, 0, v[25:26]
	v_not_b32_e32 v26, v26
	v_ashrrev_i32_e32 v26, 31, v26
	v_and_b32_e32 v28, exec_lo, v28
	v_xor_b32_e32 v52, vcc_hi, v26
	v_xor_b32_e32 v26, vcc_lo, v26
	v_and_b32_e32 v28, v28, v26
	v_lshlrev_b32_e32 v26, 29, v27
	v_cmp_gt_i64_e32 vcc, 0, v[25:26]
	v_not_b32_e32 v26, v26
	v_ashrrev_i32_e32 v26, 31, v26
	v_and_b32_e32 v51, v51, v52
	v_xor_b32_e32 v52, vcc_hi, v26
	v_xor_b32_e32 v26, vcc_lo, v26
	v_and_b32_e32 v28, v28, v26
	v_lshlrev_b32_e32 v26, 28, v27
	v_cmp_gt_i64_e32 vcc, 0, v[25:26]
	v_not_b32_e32 v26, v26
	v_ashrrev_i32_e32 v26, 31, v26
	v_and_b32_e32 v51, v51, v52
	;; [unrolled: 8-line block ×5, first 2 shown]
	v_xor_b32_e32 v52, vcc_hi, v26
	v_xor_b32_e32 v26, vcc_lo, v26
	v_and_b32_e32 v28, v28, v26
	v_lshlrev_b32_e32 v26, 24, v27
	v_cmp_gt_i64_e32 vcc, 0, v[25:26]
	v_not_b32_e32 v25, v26
	v_ashrrev_i32_e32 v25, 31, v25
	v_xor_b32_e32 v26, vcc_hi, v25
	v_xor_b32_e32 v25, vcc_lo, v25
	ds_read_b32 v49, v50 offset:16
	v_and_b32_e32 v51, v51, v52
	v_and_b32_e32 v25, v28, v25
	;; [unrolled: 1-line block ×3, first 2 shown]
	v_mbcnt_lo_u32_b32 v27, v25, 0
	v_mbcnt_hi_u32_b32 v51, v26, v27
	v_cmp_ne_u64_e32 vcc, 0, v[25:26]
	v_cmp_eq_u32_e64 s[0:1], 0, v51
	s_and_b64 s[2:3], vcc, s[0:1]
	; wave barrier
	s_and_saveexec_b64 s[0:1], s[2:3]
	s_cbranch_execz .LBB157_165
; %bb.164:
	v_bcnt_u32_b32 v25, v25, 0
	v_bcnt_u32_b32 v25, v26, v25
	s_waitcnt lgkmcnt(0)
	v_add_u32_e32 v25, v49, v25
	ds_write_b32 v50, v25 offset:16
.LBB157_165:
	s_or_b64 exec, exec, s[0:1]
	v_cmp_lt_i64_e32 vcc, -1, v[21:22]
	v_bfrev_b32_e32 v28, 1
	s_mov_b32 s2, -1
	v_cndmask_b32_e32 v25, -1, v28, vcc
	v_ashrrev_i32_e32 v26, 31, v22
	s_brev_b32 s3, -2
	v_xor_b32_e32 v22, v25, v22
	v_xor_b32_e32 v21, v26, v21
	v_cmp_ne_u64_e32 vcc, s[2:3], v[21:22]
	v_cndmask_b32_e32 v26, v28, v22, vcc
	v_cndmask_b32_e32 v25, 0, v21, vcc
	v_lshrrev_b64 v[25:26], s68, v[25:26]
	; wave barrier
	v_and_b32_e32 v27, s15, v25
	v_mul_lo_u32 v25, v27, 20
	v_and_b32_e32 v26, 1, v27
	v_add_co_u32_e32 v54, vcc, -1, v26
	v_addc_co_u32_e64 v55, s[0:1], 0, -1, vcc
	v_cmp_ne_u32_e32 vcc, 0, v26
	v_xor_b32_e32 v26, vcc_hi, v55
	v_lshl_add_u32 v53, v39, 2, v25
	v_mov_b32_e32 v25, 0
	v_and_b32_e32 v55, exec_hi, v26
	v_lshlrev_b32_e32 v26, 30, v27
	v_xor_b32_e32 v54, vcc_lo, v54
	v_cmp_gt_i64_e32 vcc, 0, v[25:26]
	v_not_b32_e32 v26, v26
	v_ashrrev_i32_e32 v26, 31, v26
	v_and_b32_e32 v54, exec_lo, v54
	v_xor_b32_e32 v56, vcc_hi, v26
	v_xor_b32_e32 v26, vcc_lo, v26
	v_and_b32_e32 v54, v54, v26
	v_lshlrev_b32_e32 v26, 29, v27
	v_cmp_gt_i64_e32 vcc, 0, v[25:26]
	v_not_b32_e32 v26, v26
	v_ashrrev_i32_e32 v26, 31, v26
	v_and_b32_e32 v55, v55, v56
	v_xor_b32_e32 v56, vcc_hi, v26
	v_xor_b32_e32 v26, vcc_lo, v26
	v_and_b32_e32 v54, v54, v26
	v_lshlrev_b32_e32 v26, 28, v27
	v_cmp_gt_i64_e32 vcc, 0, v[25:26]
	v_not_b32_e32 v26, v26
	v_ashrrev_i32_e32 v26, 31, v26
	v_and_b32_e32 v55, v55, v56
	;; [unrolled: 8-line block ×5, first 2 shown]
	v_xor_b32_e32 v56, vcc_hi, v26
	v_xor_b32_e32 v26, vcc_lo, v26
	v_and_b32_e32 v54, v54, v26
	v_lshlrev_b32_e32 v26, 24, v27
	v_cmp_gt_i64_e32 vcc, 0, v[25:26]
	v_not_b32_e32 v26, v26
	v_ashrrev_i32_e32 v26, 31, v26
	v_xor_b32_e32 v27, vcc_hi, v26
	v_xor_b32_e32 v26, vcc_lo, v26
	ds_read_b32 v52, v53 offset:16
	v_and_b32_e32 v55, v55, v56
	v_and_b32_e32 v26, v54, v26
	;; [unrolled: 1-line block ×3, first 2 shown]
	v_mbcnt_lo_u32_b32 v54, v26, 0
	v_mbcnt_hi_u32_b32 v54, v27, v54
	v_cmp_ne_u64_e32 vcc, 0, v[26:27]
	v_cmp_eq_u32_e64 s[0:1], 0, v54
	s_and_b64 s[4:5], vcc, s[0:1]
	; wave barrier
	s_and_saveexec_b64 s[0:1], s[4:5]
	s_cbranch_execz .LBB157_167
; %bb.166:
	v_bcnt_u32_b32 v26, v26, 0
	v_bcnt_u32_b32 v26, v27, v26
	s_waitcnt lgkmcnt(0)
	v_add_u32_e32 v26, v52, v26
	ds_write_b32 v53, v26 offset:16
.LBB157_167:
	s_or_b64 exec, exec, s[0:1]
	v_cmp_lt_i64_e32 vcc, -1, v[23:24]
	v_ashrrev_i32_e32 v27, 31, v24
	v_cndmask_b32_e32 v26, -1, v28, vcc
	v_xor_b32_e32 v24, v26, v24
	v_xor_b32_e32 v23, v27, v23
	v_cmp_ne_u64_e32 vcc, s[2:3], v[23:24]
	v_cndmask_b32_e32 v27, v28, v24, vcc
	v_cndmask_b32_e32 v26, 0, v23, vcc
	v_lshrrev_b64 v[26:27], s68, v[26:27]
	; wave barrier
	v_and_b32_e32 v27, s15, v26
	v_mul_lo_u32 v26, v27, 20
	v_lshl_add_u32 v56, v39, 2, v26
	v_and_b32_e32 v26, 1, v27
	v_add_co_u32_e32 v28, vcc, -1, v26
	v_addc_co_u32_e64 v57, s[0:1], 0, -1, vcc
	v_cmp_ne_u32_e32 vcc, 0, v26
	v_xor_b32_e32 v26, vcc_hi, v57
	v_and_b32_e32 v57, exec_hi, v26
	v_lshlrev_b32_e32 v26, 30, v27
	v_xor_b32_e32 v28, vcc_lo, v28
	v_cmp_gt_i64_e32 vcc, 0, v[25:26]
	v_not_b32_e32 v26, v26
	v_ashrrev_i32_e32 v26, 31, v26
	v_and_b32_e32 v28, exec_lo, v28
	v_xor_b32_e32 v58, vcc_hi, v26
	v_xor_b32_e32 v26, vcc_lo, v26
	v_and_b32_e32 v28, v28, v26
	v_lshlrev_b32_e32 v26, 29, v27
	v_cmp_gt_i64_e32 vcc, 0, v[25:26]
	v_not_b32_e32 v26, v26
	v_ashrrev_i32_e32 v26, 31, v26
	v_and_b32_e32 v57, v57, v58
	v_xor_b32_e32 v58, vcc_hi, v26
	v_xor_b32_e32 v26, vcc_lo, v26
	v_and_b32_e32 v28, v28, v26
	v_lshlrev_b32_e32 v26, 28, v27
	v_cmp_gt_i64_e32 vcc, 0, v[25:26]
	v_not_b32_e32 v26, v26
	v_ashrrev_i32_e32 v26, 31, v26
	v_and_b32_e32 v57, v57, v58
	v_xor_b32_e32 v58, vcc_hi, v26
	v_xor_b32_e32 v26, vcc_lo, v26
	v_and_b32_e32 v28, v28, v26
	v_lshlrev_b32_e32 v26, 27, v27
	v_cmp_gt_i64_e32 vcc, 0, v[25:26]
	v_not_b32_e32 v26, v26
	v_ashrrev_i32_e32 v26, 31, v26
	v_and_b32_e32 v57, v57, v58
	v_xor_b32_e32 v58, vcc_hi, v26
	v_xor_b32_e32 v26, vcc_lo, v26
	v_and_b32_e32 v28, v28, v26
	v_lshlrev_b32_e32 v26, 26, v27
	v_cmp_gt_i64_e32 vcc, 0, v[25:26]
	v_not_b32_e32 v26, v26
	v_ashrrev_i32_e32 v26, 31, v26
	v_and_b32_e32 v57, v57, v58
	v_xor_b32_e32 v58, vcc_hi, v26
	v_xor_b32_e32 v26, vcc_lo, v26
	v_and_b32_e32 v28, v28, v26
	v_lshlrev_b32_e32 v26, 25, v27
	v_cmp_gt_i64_e32 vcc, 0, v[25:26]
	v_not_b32_e32 v26, v26
	v_ashrrev_i32_e32 v26, 31, v26
	v_and_b32_e32 v57, v57, v58
	v_xor_b32_e32 v58, vcc_hi, v26
	v_xor_b32_e32 v26, vcc_lo, v26
	v_and_b32_e32 v28, v28, v26
	v_lshlrev_b32_e32 v26, 24, v27
	v_cmp_gt_i64_e32 vcc, 0, v[25:26]
	v_not_b32_e32 v25, v26
	v_ashrrev_i32_e32 v25, 31, v25
	v_xor_b32_e32 v26, vcc_hi, v25
	v_xor_b32_e32 v25, vcc_lo, v25
	ds_read_b32 v55, v56 offset:16
	v_and_b32_e32 v57, v57, v58
	v_and_b32_e32 v25, v28, v25
	;; [unrolled: 1-line block ×3, first 2 shown]
	v_mbcnt_lo_u32_b32 v27, v25, 0
	v_mbcnt_hi_u32_b32 v57, v26, v27
	v_cmp_ne_u64_e32 vcc, 0, v[25:26]
	v_cmp_eq_u32_e64 s[0:1], 0, v57
	s_and_b64 s[2:3], vcc, s[0:1]
	; wave barrier
	s_and_saveexec_b64 s[0:1], s[2:3]
	s_cbranch_execz .LBB157_169
; %bb.168:
	v_bcnt_u32_b32 v25, v25, 0
	v_bcnt_u32_b32 v25, v26, v25
	s_waitcnt lgkmcnt(0)
	v_add_u32_e32 v25, v55, v25
	ds_write_b32 v56, v25 offset:16
.LBB157_169:
	s_or_b64 exec, exec, s[0:1]
	v_cmp_lt_i64_e32 vcc, -1, v[19:20]
	v_bfrev_b32_e32 v28, 1
	s_mov_b32 s2, -1
	v_cndmask_b32_e32 v25, -1, v28, vcc
	v_ashrrev_i32_e32 v26, 31, v20
	s_brev_b32 s3, -2
	v_xor_b32_e32 v20, v25, v20
	v_xor_b32_e32 v19, v26, v19
	v_cmp_ne_u64_e32 vcc, s[2:3], v[19:20]
	v_cndmask_b32_e32 v26, v28, v20, vcc
	v_cndmask_b32_e32 v25, 0, v19, vcc
	v_lshrrev_b64 v[25:26], s68, v[25:26]
	; wave barrier
	v_and_b32_e32 v27, s15, v25
	v_mul_lo_u32 v25, v27, 20
	v_and_b32_e32 v26, 1, v27
	v_add_co_u32_e32 v60, vcc, -1, v26
	v_addc_co_u32_e64 v61, s[0:1], 0, -1, vcc
	v_cmp_ne_u32_e32 vcc, 0, v26
	v_xor_b32_e32 v26, vcc_hi, v61
	v_lshl_add_u32 v59, v39, 2, v25
	v_mov_b32_e32 v25, 0
	v_and_b32_e32 v61, exec_hi, v26
	v_lshlrev_b32_e32 v26, 30, v27
	v_xor_b32_e32 v60, vcc_lo, v60
	v_cmp_gt_i64_e32 vcc, 0, v[25:26]
	v_not_b32_e32 v26, v26
	v_ashrrev_i32_e32 v26, 31, v26
	v_and_b32_e32 v60, exec_lo, v60
	v_xor_b32_e32 v62, vcc_hi, v26
	v_xor_b32_e32 v26, vcc_lo, v26
	v_and_b32_e32 v60, v60, v26
	v_lshlrev_b32_e32 v26, 29, v27
	v_cmp_gt_i64_e32 vcc, 0, v[25:26]
	v_not_b32_e32 v26, v26
	v_ashrrev_i32_e32 v26, 31, v26
	v_and_b32_e32 v61, v61, v62
	v_xor_b32_e32 v62, vcc_hi, v26
	v_xor_b32_e32 v26, vcc_lo, v26
	v_and_b32_e32 v60, v60, v26
	v_lshlrev_b32_e32 v26, 28, v27
	v_cmp_gt_i64_e32 vcc, 0, v[25:26]
	v_not_b32_e32 v26, v26
	v_ashrrev_i32_e32 v26, 31, v26
	v_and_b32_e32 v61, v61, v62
	;; [unrolled: 8-line block ×5, first 2 shown]
	v_xor_b32_e32 v62, vcc_hi, v26
	v_xor_b32_e32 v26, vcc_lo, v26
	v_and_b32_e32 v60, v60, v26
	v_lshlrev_b32_e32 v26, 24, v27
	v_cmp_gt_i64_e32 vcc, 0, v[25:26]
	v_not_b32_e32 v26, v26
	v_ashrrev_i32_e32 v26, 31, v26
	v_xor_b32_e32 v27, vcc_hi, v26
	v_xor_b32_e32 v26, vcc_lo, v26
	ds_read_b32 v58, v59 offset:16
	v_and_b32_e32 v61, v61, v62
	v_and_b32_e32 v26, v60, v26
	;; [unrolled: 1-line block ×3, first 2 shown]
	v_mbcnt_lo_u32_b32 v60, v26, 0
	v_mbcnt_hi_u32_b32 v60, v27, v60
	v_cmp_ne_u64_e32 vcc, 0, v[26:27]
	v_cmp_eq_u32_e64 s[0:1], 0, v60
	s_and_b64 s[4:5], vcc, s[0:1]
	; wave barrier
	s_and_saveexec_b64 s[0:1], s[4:5]
	s_cbranch_execz .LBB157_171
; %bb.170:
	v_bcnt_u32_b32 v26, v26, 0
	v_bcnt_u32_b32 v26, v27, v26
	s_waitcnt lgkmcnt(0)
	v_add_u32_e32 v26, v58, v26
	ds_write_b32 v59, v26 offset:16
.LBB157_171:
	s_or_b64 exec, exec, s[0:1]
	v_cmp_lt_i64_e32 vcc, -1, v[15:16]
	v_ashrrev_i32_e32 v27, 31, v16
	v_cndmask_b32_e32 v26, -1, v28, vcc
	v_xor_b32_e32 v16, v26, v16
	v_xor_b32_e32 v15, v27, v15
	v_cmp_ne_u64_e32 vcc, s[2:3], v[15:16]
	v_cndmask_b32_e32 v27, v28, v16, vcc
	v_cndmask_b32_e32 v26, 0, v15, vcc
	v_lshrrev_b64 v[26:27], s68, v[26:27]
	; wave barrier
	v_and_b32_e32 v27, s15, v26
	v_mul_lo_u32 v26, v27, 20
	v_lshl_add_u32 v62, v39, 2, v26
	v_and_b32_e32 v26, 1, v27
	v_add_co_u32_e32 v28, vcc, -1, v26
	v_addc_co_u32_e64 v63, s[0:1], 0, -1, vcc
	v_cmp_ne_u32_e32 vcc, 0, v26
	v_xor_b32_e32 v26, vcc_hi, v63
	v_and_b32_e32 v63, exec_hi, v26
	v_lshlrev_b32_e32 v26, 30, v27
	v_xor_b32_e32 v28, vcc_lo, v28
	v_cmp_gt_i64_e32 vcc, 0, v[25:26]
	v_not_b32_e32 v26, v26
	v_ashrrev_i32_e32 v26, 31, v26
	v_and_b32_e32 v28, exec_lo, v28
	v_xor_b32_e32 v64, vcc_hi, v26
	v_xor_b32_e32 v26, vcc_lo, v26
	v_and_b32_e32 v28, v28, v26
	v_lshlrev_b32_e32 v26, 29, v27
	v_cmp_gt_i64_e32 vcc, 0, v[25:26]
	v_not_b32_e32 v26, v26
	v_ashrrev_i32_e32 v26, 31, v26
	v_and_b32_e32 v63, v63, v64
	v_xor_b32_e32 v64, vcc_hi, v26
	v_xor_b32_e32 v26, vcc_lo, v26
	v_and_b32_e32 v28, v28, v26
	v_lshlrev_b32_e32 v26, 28, v27
	v_cmp_gt_i64_e32 vcc, 0, v[25:26]
	v_not_b32_e32 v26, v26
	v_ashrrev_i32_e32 v26, 31, v26
	v_and_b32_e32 v63, v63, v64
	;; [unrolled: 8-line block ×5, first 2 shown]
	v_xor_b32_e32 v64, vcc_hi, v26
	v_xor_b32_e32 v26, vcc_lo, v26
	v_and_b32_e32 v28, v28, v26
	v_lshlrev_b32_e32 v26, 24, v27
	v_cmp_gt_i64_e32 vcc, 0, v[25:26]
	v_not_b32_e32 v25, v26
	v_ashrrev_i32_e32 v25, 31, v25
	v_xor_b32_e32 v26, vcc_hi, v25
	v_xor_b32_e32 v25, vcc_lo, v25
	ds_read_b32 v61, v62 offset:16
	v_and_b32_e32 v63, v63, v64
	v_and_b32_e32 v25, v28, v25
	;; [unrolled: 1-line block ×3, first 2 shown]
	v_mbcnt_lo_u32_b32 v27, v25, 0
	v_mbcnt_hi_u32_b32 v63, v26, v27
	v_cmp_ne_u64_e32 vcc, 0, v[25:26]
	v_cmp_eq_u32_e64 s[0:1], 0, v63
	s_and_b64 s[2:3], vcc, s[0:1]
	; wave barrier
	s_and_saveexec_b64 s[0:1], s[2:3]
	s_cbranch_execz .LBB157_173
; %bb.172:
	v_bcnt_u32_b32 v25, v25, 0
	v_bcnt_u32_b32 v25, v26, v25
	s_waitcnt lgkmcnt(0)
	v_add_u32_e32 v25, v61, v25
	ds_write_b32 v62, v25 offset:16
.LBB157_173:
	s_or_b64 exec, exec, s[0:1]
	v_cmp_lt_i64_e32 vcc, -1, v[11:12]
	v_bfrev_b32_e32 v28, 1
	s_mov_b32 s2, -1
	v_cndmask_b32_e32 v25, -1, v28, vcc
	v_ashrrev_i32_e32 v26, 31, v12
	s_brev_b32 s3, -2
	v_xor_b32_e32 v12, v25, v12
	v_xor_b32_e32 v11, v26, v11
	v_cmp_ne_u64_e32 vcc, s[2:3], v[11:12]
	v_cndmask_b32_e32 v26, v28, v12, vcc
	v_cndmask_b32_e32 v25, 0, v11, vcc
	v_lshrrev_b64 v[25:26], s68, v[25:26]
	; wave barrier
	v_and_b32_e32 v27, s15, v25
	v_mul_lo_u32 v25, v27, 20
	v_and_b32_e32 v26, 1, v27
	v_add_co_u32_e32 v66, vcc, -1, v26
	v_addc_co_u32_e64 v67, s[0:1], 0, -1, vcc
	v_cmp_ne_u32_e32 vcc, 0, v26
	v_xor_b32_e32 v26, vcc_hi, v67
	v_lshl_add_u32 v65, v39, 2, v25
	v_mov_b32_e32 v25, 0
	v_and_b32_e32 v67, exec_hi, v26
	v_lshlrev_b32_e32 v26, 30, v27
	v_xor_b32_e32 v66, vcc_lo, v66
	v_cmp_gt_i64_e32 vcc, 0, v[25:26]
	v_not_b32_e32 v26, v26
	v_ashrrev_i32_e32 v26, 31, v26
	v_and_b32_e32 v66, exec_lo, v66
	v_xor_b32_e32 v68, vcc_hi, v26
	v_xor_b32_e32 v26, vcc_lo, v26
	v_and_b32_e32 v66, v66, v26
	v_lshlrev_b32_e32 v26, 29, v27
	v_cmp_gt_i64_e32 vcc, 0, v[25:26]
	v_not_b32_e32 v26, v26
	v_ashrrev_i32_e32 v26, 31, v26
	v_and_b32_e32 v67, v67, v68
	v_xor_b32_e32 v68, vcc_hi, v26
	v_xor_b32_e32 v26, vcc_lo, v26
	v_and_b32_e32 v66, v66, v26
	v_lshlrev_b32_e32 v26, 28, v27
	v_cmp_gt_i64_e32 vcc, 0, v[25:26]
	v_not_b32_e32 v26, v26
	v_ashrrev_i32_e32 v26, 31, v26
	v_and_b32_e32 v67, v67, v68
	;; [unrolled: 8-line block ×5, first 2 shown]
	v_xor_b32_e32 v68, vcc_hi, v26
	v_xor_b32_e32 v26, vcc_lo, v26
	v_and_b32_e32 v66, v66, v26
	v_lshlrev_b32_e32 v26, 24, v27
	v_cmp_gt_i64_e32 vcc, 0, v[25:26]
	v_not_b32_e32 v26, v26
	v_ashrrev_i32_e32 v26, 31, v26
	v_xor_b32_e32 v27, vcc_hi, v26
	v_xor_b32_e32 v26, vcc_lo, v26
	ds_read_b32 v64, v65 offset:16
	v_and_b32_e32 v67, v67, v68
	v_and_b32_e32 v26, v66, v26
	;; [unrolled: 1-line block ×3, first 2 shown]
	v_mbcnt_lo_u32_b32 v66, v26, 0
	v_mbcnt_hi_u32_b32 v66, v27, v66
	v_cmp_ne_u64_e32 vcc, 0, v[26:27]
	v_cmp_eq_u32_e64 s[0:1], 0, v66
	s_and_b64 s[4:5], vcc, s[0:1]
	; wave barrier
	s_and_saveexec_b64 s[0:1], s[4:5]
	s_cbranch_execz .LBB157_175
; %bb.174:
	v_bcnt_u32_b32 v26, v26, 0
	v_bcnt_u32_b32 v26, v27, v26
	s_waitcnt lgkmcnt(0)
	v_add_u32_e32 v26, v64, v26
	ds_write_b32 v65, v26 offset:16
.LBB157_175:
	s_or_b64 exec, exec, s[0:1]
	v_cmp_lt_i64_e32 vcc, -1, v[7:8]
	v_ashrrev_i32_e32 v27, 31, v8
	v_cndmask_b32_e32 v26, -1, v28, vcc
	v_xor_b32_e32 v8, v26, v8
	v_xor_b32_e32 v7, v27, v7
	v_cmp_ne_u64_e32 vcc, s[2:3], v[7:8]
	v_cndmask_b32_e32 v27, v28, v8, vcc
	v_cndmask_b32_e32 v26, 0, v7, vcc
	v_lshrrev_b64 v[26:27], s68, v[26:27]
	; wave barrier
	v_and_b32_e32 v27, s15, v26
	v_mul_lo_u32 v26, v27, 20
	v_lshl_add_u32 v67, v39, 2, v26
	v_and_b32_e32 v26, 1, v27
	v_add_co_u32_e32 v28, vcc, -1, v26
	v_addc_co_u32_e64 v68, s[0:1], 0, -1, vcc
	v_cmp_ne_u32_e32 vcc, 0, v26
	v_xor_b32_e32 v26, vcc_hi, v68
	v_and_b32_e32 v68, exec_hi, v26
	v_lshlrev_b32_e32 v26, 30, v27
	v_xor_b32_e32 v28, vcc_lo, v28
	v_cmp_gt_i64_e32 vcc, 0, v[25:26]
	v_not_b32_e32 v26, v26
	v_ashrrev_i32_e32 v26, 31, v26
	v_and_b32_e32 v28, exec_lo, v28
	v_xor_b32_e32 v69, vcc_hi, v26
	v_xor_b32_e32 v26, vcc_lo, v26
	v_and_b32_e32 v28, v28, v26
	v_lshlrev_b32_e32 v26, 29, v27
	v_cmp_gt_i64_e32 vcc, 0, v[25:26]
	v_not_b32_e32 v26, v26
	v_ashrrev_i32_e32 v26, 31, v26
	v_and_b32_e32 v68, v68, v69
	v_xor_b32_e32 v69, vcc_hi, v26
	v_xor_b32_e32 v26, vcc_lo, v26
	v_and_b32_e32 v28, v28, v26
	v_lshlrev_b32_e32 v26, 28, v27
	v_cmp_gt_i64_e32 vcc, 0, v[25:26]
	v_not_b32_e32 v26, v26
	v_ashrrev_i32_e32 v26, 31, v26
	v_and_b32_e32 v68, v68, v69
	;; [unrolled: 8-line block ×5, first 2 shown]
	v_xor_b32_e32 v69, vcc_hi, v26
	v_xor_b32_e32 v26, vcc_lo, v26
	v_and_b32_e32 v28, v28, v26
	v_lshlrev_b32_e32 v26, 24, v27
	v_cmp_gt_i64_e32 vcc, 0, v[25:26]
	v_not_b32_e32 v25, v26
	v_ashrrev_i32_e32 v25, 31, v25
	v_xor_b32_e32 v26, vcc_hi, v25
	v_xor_b32_e32 v25, vcc_lo, v25
	ds_read_b32 v39, v67 offset:16
	v_and_b32_e32 v68, v68, v69
	v_and_b32_e32 v25, v28, v25
	;; [unrolled: 1-line block ×3, first 2 shown]
	v_mbcnt_lo_u32_b32 v27, v25, 0
	v_mbcnt_hi_u32_b32 v68, v26, v27
	v_cmp_ne_u64_e32 vcc, 0, v[25:26]
	v_cmp_eq_u32_e64 s[0:1], 0, v68
	s_and_b64 s[2:3], vcc, s[0:1]
	; wave barrier
	s_and_saveexec_b64 s[0:1], s[2:3]
	s_cbranch_execz .LBB157_177
; %bb.176:
	v_bcnt_u32_b32 v25, v25, 0
	v_bcnt_u32_b32 v25, v26, v25
	s_waitcnt lgkmcnt(0)
	v_add_u32_e32 v25, v39, v25
	ds_write_b32 v67, v25 offset:16
.LBB157_177:
	s_or_b64 exec, exec, s[0:1]
	; wave barrier
	s_waitcnt lgkmcnt(0)
	s_barrier
	ds_read2_b32 v[27:28], v32 offset0:4 offset1:5
	ds_read2_b32 v[25:26], v32 offset0:6 offset1:7
	ds_read_b32 v69, v32 offset:32
	v_min_u32_e32 v33, 0xc0, v33
	v_or_b32_e32 v33, 63, v33
	s_waitcnt lgkmcnt(1)
	v_add3_u32 v70, v28, v27, v25
	s_waitcnt lgkmcnt(0)
	v_add3_u32 v69, v70, v26, v69
	v_and_b32_e32 v70, 15, v31
	v_cmp_ne_u32_e32 vcc, 0, v70
	v_mov_b32_dpp v71, v69 row_shr:1 row_mask:0xf bank_mask:0xf
	v_cndmask_b32_e32 v71, 0, v71, vcc
	v_add_u32_e32 v69, v71, v69
	v_cmp_lt_u32_e32 vcc, 1, v70
	s_nop 0
	v_mov_b32_dpp v71, v69 row_shr:2 row_mask:0xf bank_mask:0xf
	v_cndmask_b32_e32 v71, 0, v71, vcc
	v_add_u32_e32 v69, v69, v71
	v_cmp_lt_u32_e32 vcc, 3, v70
	s_nop 0
	;; [unrolled: 5-line block ×3, first 2 shown]
	v_mov_b32_dpp v71, v69 row_shr:8 row_mask:0xf bank_mask:0xf
	v_cndmask_b32_e32 v70, 0, v71, vcc
	v_add_u32_e32 v69, v69, v70
	v_bfe_i32 v71, v31, 4, 1
	v_cmp_lt_u32_e32 vcc, 31, v31
	v_mov_b32_dpp v70, v69 row_bcast:15 row_mask:0xf bank_mask:0xf
	v_and_b32_e32 v70, v71, v70
	v_add_u32_e32 v69, v69, v70
	s_nop 1
	v_mov_b32_dpp v70, v69 row_bcast:31 row_mask:0xf bank_mask:0xf
	v_cndmask_b32_e32 v70, 0, v70, vcc
	v_add_u32_e32 v69, v69, v70
	v_lshrrev_b32_e32 v70, 6, v0
	v_cmp_eq_u32_e32 vcc, v0, v33
	s_and_saveexec_b64 s[0:1], vcc
; %bb.178:
	v_lshlrev_b32_e32 v33, 2, v70
	ds_write_b32 v33, v69
; %bb.179:
	s_or_b64 exec, exec, s[0:1]
	v_cmp_gt_u32_e32 vcc, 4, v0
	s_waitcnt lgkmcnt(0)
	s_barrier
	s_and_saveexec_b64 s[0:1], vcc
	s_cbranch_execz .LBB157_181
; %bb.180:
	v_lshlrev_b32_e32 v33, 2, v0
	ds_read_b32 v71, v33
	v_and_b32_e32 v72, 3, v31
	v_cmp_ne_u32_e32 vcc, 0, v72
	s_waitcnt lgkmcnt(0)
	v_mov_b32_dpp v73, v71 row_shr:1 row_mask:0xf bank_mask:0xf
	v_cndmask_b32_e32 v73, 0, v73, vcc
	v_add_u32_e32 v71, v73, v71
	v_cmp_lt_u32_e32 vcc, 1, v72
	s_nop 0
	v_mov_b32_dpp v73, v71 row_shr:2 row_mask:0xf bank_mask:0xf
	v_cndmask_b32_e32 v72, 0, v73, vcc
	v_add_u32_e32 v71, v71, v72
	ds_write_b32 v33, v71
.LBB157_181:
	s_or_b64 exec, exec, s[0:1]
	v_cmp_lt_u32_e32 vcc, 63, v0
	v_mov_b32_e32 v33, 0
	s_waitcnt lgkmcnt(0)
	s_barrier
	s_and_saveexec_b64 s[0:1], vcc
; %bb.182:
	v_lshl_add_u32 v33, v70, 2, -4
	ds_read_b32 v33, v33
; %bb.183:
	s_or_b64 exec, exec, s[0:1]
	v_add_u32_e32 v70, -1, v31
	v_and_b32_e32 v71, 64, v31
	v_cmp_lt_i32_e32 vcc, v70, v71
	v_cndmask_b32_e32 v70, v70, v31, vcc
	s_waitcnt lgkmcnt(0)
	v_add_u32_e32 v69, v33, v69
	v_lshlrev_b32_e32 v70, 2, v70
	ds_bpermute_b32 v69, v70, v69
	v_cmp_eq_u32_e32 vcc, 0, v31
	s_movk_i32 s0, 0x100
	s_waitcnt lgkmcnt(0)
	v_cndmask_b32_e32 v31, v69, v33, vcc
	v_cmp_ne_u32_e32 vcc, 0, v0
	v_cndmask_b32_e32 v31, 0, v31, vcc
	v_add_u32_e32 v27, v31, v27
	v_add_u32_e32 v28, v27, v28
	;; [unrolled: 1-line block ×4, first 2 shown]
	ds_write2_b32 v32, v31, v27 offset0:4 offset1:5
	ds_write2_b32 v32, v28, v25 offset0:6 offset1:7
	ds_write_b32 v32, v26 offset:32
	s_waitcnt lgkmcnt(0)
	s_barrier
	ds_read_b32 v70, v56 offset:16
	ds_read_b32 v69, v59 offset:16
	;; [unrolled: 1-line block ×13, first 2 shown]
	v_add_u32_e32 v44, 1, v0
	v_cmp_ne_u32_e32 vcc, s0, v44
	v_mov_b32_e32 v32, 0xc00
	s_and_saveexec_b64 s[0:1], vcc
; %bb.184:
	v_mul_u32_u24_e32 v32, 20, v44
	ds_read_b32 v32, v32 offset:16
; %bb.185:
	s_or_b64 exec, exec, s[0:1]
	v_lshlrev_b32_e32 v35, 3, v35
	s_waitcnt lgkmcnt(7)
	v_lshl_add_u32 v26, v26, 3, v35
	s_waitcnt lgkmcnt(0)
	s_barrier
	ds_write_b64 v26, v[1:2] offset:2048
	v_lshlrev_b32_e32 v1, 3, v27
	v_lshlrev_b32_e32 v2, 3, v38
	;; [unrolled: 1-line block ×3, first 2 shown]
	v_add3_u32 v27, v1, v2, v27
	ds_write_b64 v27, v[3:4] offset:2048
	v_lshlrev_b32_e32 v1, 3, v28
	v_lshlrev_b32_e32 v2, 3, v42
	;; [unrolled: 1-line block ×3, first 2 shown]
	v_add3_u32 v28, v1, v2, v3
	v_lshlrev_b32_e32 v1, 3, v31
	v_lshlrev_b32_e32 v2, 3, v45
	;; [unrolled: 1-line block ×3, first 2 shown]
	v_add3_u32 v31, v1, v2, v3
	v_lshlrev_b32_e32 v1, 3, v41
	v_lshlrev_b32_e32 v2, 3, v48
	;; [unrolled: 1-line block ×3, first 2 shown]
	ds_write_b64 v28, v[5:6] offset:2048
	ds_write_b64 v31, v[9:10] offset:2048
	v_add3_u32 v9, v1, v2, v3
	v_lshlrev_b32_e32 v1, 3, v37
	v_lshlrev_b32_e32 v2, 3, v51
	v_lshlrev_b32_e32 v3, 3, v49
	v_add3_u32 v10, v1, v2, v3
	v_lshlrev_b32_e32 v1, 3, v34
	v_lshlrev_b32_e32 v2, 3, v54
	v_lshlrev_b32_e32 v3, 3, v52
	ds_write_b64 v9, v[13:14] offset:2048
	v_add3_u32 v13, v1, v2, v3
	v_lshlrev_b32_e32 v1, 3, v70
	v_lshlrev_b32_e32 v2, 3, v57
	v_lshlrev_b32_e32 v3, 3, v55
	v_add3_u32 v14, v1, v2, v3
	v_lshlrev_b32_e32 v1, 3, v69
	v_lshlrev_b32_e32 v2, 3, v60
	v_lshlrev_b32_e32 v3, 3, v58
	;; [unrolled: 9-line block ×3, first 2 shown]
	ds_write_b64 v13, v[21:22] offset:2048
	ds_write_b64 v14, v[23:24] offset:2048
	;; [unrolled: 1-line block ×4, first 2 shown]
	v_add3_u32 v15, v1, v2, v3
	v_lshlrev_b32_e32 v1, 3, v33
	v_lshlrev_b32_e32 v2, 3, v68
	;; [unrolled: 1-line block ×3, first 2 shown]
	ds_write_b64 v15, v[11:12] offset:2048
	v_add3_u32 v11, v1, v2, v3
	v_lshl_or_b32 v1, s6, 8, v0
	v_mov_b32_e32 v2, 0
	v_lshlrev_b64 v[3:4], 2, v[1:2]
	ds_write_b64 v11, v[7:8] offset:2048
	v_sub_u32_e32 v7, v32, v25
	v_mov_b32_e32 v8, s55
	v_add_co_u32_e32 v3, vcc, s54, v3
	v_addc_co_u32_e32 v4, vcc, v8, v4, vcc
	v_or_b32_e32 v1, 2.0, v7
	s_mov_b64 s[0:1], 0
	s_brev_b32 s8, -4
	v_mov_b32_e32 v12, 0
	s_waitcnt lgkmcnt(0)
	s_barrier
	global_store_dword v[3:4], v1, off
                                        ; implicit-def: $sgpr2_sgpr3
	s_branch .LBB157_188
.LBB157_186:                            ;   in Loop: Header=BB157_188 Depth=1
	s_or_b64 exec, exec, s[4:5]
.LBB157_187:                            ;   in Loop: Header=BB157_188 Depth=1
	s_or_b64 exec, exec, s[2:3]
	v_and_b32_e32 v5, 0x3fffffff, v1
	v_add_u32_e32 v12, v5, v12
	v_cmp_gt_i32_e64 s[2:3], -2.0, v1
	s_and_b64 s[4:5], exec, s[2:3]
	s_or_b64 s[0:1], s[4:5], s[0:1]
	s_andn2_b64 exec, exec, s[0:1]
	s_cbranch_execz .LBB157_193
.LBB157_188:                            ; =>This Loop Header: Depth=1
                                        ;     Child Loop BB157_191 Depth 2
	s_or_b64 s[2:3], s[2:3], exec
	s_cmp_eq_u32 s7, 0
	s_cbranch_scc1 .LBB157_192
; %bb.189:                              ;   in Loop: Header=BB157_188 Depth=1
	s_add_i32 s7, s7, -1
	v_lshl_or_b32 v1, s7, 8, v0
	v_lshlrev_b64 v[5:6], 2, v[1:2]
	v_add_co_u32_e32 v5, vcc, s54, v5
	v_addc_co_u32_e32 v6, vcc, v8, v6, vcc
	global_load_dword v1, v[5:6], off glc
	s_waitcnt vmcnt(0)
	v_cmp_gt_u32_e32 vcc, 2.0, v1
	s_and_saveexec_b64 s[2:3], vcc
	s_cbranch_execz .LBB157_187
; %bb.190:                              ;   in Loop: Header=BB157_188 Depth=1
	s_mov_b64 s[4:5], 0
.LBB157_191:                            ;   Parent Loop BB157_188 Depth=1
                                        ; =>  This Inner Loop Header: Depth=2
	global_load_dword v1, v[5:6], off glc
	s_waitcnt vmcnt(0)
	v_cmp_lt_u32_e32 vcc, s8, v1
	s_or_b64 s[4:5], vcc, s[4:5]
	s_andn2_b64 exec, exec, s[4:5]
	s_cbranch_execnz .LBB157_191
	s_branch .LBB157_186
.LBB157_192:                            ;   in Loop: Header=BB157_188 Depth=1
                                        ; implicit-def: $sgpr7
	s_and_b64 s[4:5], exec, s[2:3]
	s_or_b64 s[0:1], s[4:5], s[0:1]
	s_andn2_b64 exec, exec, s[0:1]
	s_cbranch_execnz .LBB157_188
.LBB157_193:
	s_or_b64 exec, exec, s[0:1]
	v_add_u32_e32 v1, v12, v7
	v_or_b32_e32 v1, 0x80000000, v1
	v_lshlrev_b32_e32 v0, 3, v0
	global_store_dword v[3:4], v1, off
	global_load_dwordx2 v[2:3], v0, s[64:65]
	v_sub_co_u32_e32 v4, vcc, v12, v25
	v_subb_co_u32_e64 v5, s[0:1], 0, 0, vcc
	s_mov_b32 s12, -1
	s_brev_b32 s13, -2
	v_bfrev_b32_e32 v1, 1
	v_mov_b32_e32 v8, s59
	v_mov_b32_e32 v12, s59
	;; [unrolled: 1-line block ×3, first 2 shown]
	v_or_b32_e32 v70, 0x2000, v0
	v_or_b32_e32 v71, 0x2800, v0
	;; [unrolled: 1-line block ×4, first 2 shown]
	s_movk_i32 s7, 0x1000
	s_waitcnt vmcnt(0)
	v_add_co_u32_e32 v2, vcc, v4, v2
	v_addc_co_u32_e32 v3, vcc, v5, v3, vcc
	ds_write_b64 v0, v[2:3]
	s_waitcnt lgkmcnt(0)
	s_barrier
	ds_read2st64_b64 v[3:6], v0 offset0:4 offset1:8
	ds_read2st64_b64 v[19:22], v0 offset0:12 offset1:16
	v_or_b32_e32 v2, 0x1000, v0
	s_waitcnt lgkmcnt(1)
	v_cmp_lt_i64_e64 s[0:1], -1, v[3:4]
	v_cmp_lt_i64_e64 s[2:3], -1, v[5:6]
	v_cmp_ne_u64_e32 vcc, s[12:13], v[3:4]
	v_cndmask_b32_e64 v23, v1, -1, s[0:1]
	v_ashrrev_i32_e32 v32, 31, v4
	v_cmp_ne_u64_e64 s[0:1], s[12:13], v[5:6]
	s_waitcnt lgkmcnt(0)
	v_cmp_lt_i64_e64 s[4:5], -1, v[19:20]
	v_cndmask_b32_e64 v34, v1, -1, s[2:3]
	v_cmp_ne_u64_e64 s[2:3], s[12:13], v[19:20]
	v_not_b32_e32 v32, v32
	v_cndmask_b32_e32 v24, v1, v4, vcc
	v_cndmask_b32_e64 v33, v1, v6, s[0:1]
	v_ashrrev_i32_e32 v36, 31, v6
	v_cndmask_b32_e64 v38, v1, -1, s[4:5]
	v_cmp_ne_u64_e64 s[4:5], s[12:13], v[21:22]
	v_xor_b32_e32 v4, v23, v4
	v_cndmask_b32_e32 v23, 0, v3, vcc
	v_xor_b32_e32 v3, v32, v3
	v_cndmask_b32_e64 v32, 0, v5, s[0:1]
	v_cndmask_b32_e64 v35, v1, v20, s[2:3]
	v_not_b32_e32 v36, v36
	v_xor_b32_e32 v6, v34, v6
	v_cndmask_b32_e64 v34, 0, v19, s[2:3]
	v_lshrrev_b64 v[23:24], s68, v[23:24]
	v_lshrrev_b64 v[32:33], s68, v[32:33]
	v_cndmask_b32_e64 v37, v1, v22, s[4:5]
	v_xor_b32_e32 v5, v36, v5
	v_cndmask_b32_e64 v36, 0, v21, s[4:5]
	v_lshrrev_b64 v[33:34], s68, v[34:35]
	v_lshrrev_b64 v[34:35], s68, v[36:37]
	v_and_b32_e32 v23, s15, v23
	v_and_b32_e32 v24, s15, v32
	;; [unrolled: 1-line block ×3, first 2 shown]
	v_lshlrev_b32_e32 v62, 3, v23
	v_and_b32_e32 v36, s15, v34
	v_lshlrev_b32_e32 v63, 3, v24
	v_lshlrev_b32_e32 v64, 3, v32
	ds_read_b64 v[23:24], v62
	ds_read_b64 v[32:33], v63
	;; [unrolled: 1-line block ×3, first 2 shown]
	v_lshlrev_b32_e32 v65, 3, v36
	ds_read_b64 v[36:37], v65
	s_waitcnt lgkmcnt(3)
	v_lshlrev_b64 v[23:24], 3, v[23:24]
	s_waitcnt lgkmcnt(2)
	v_lshlrev_b64 v[32:33], 3, v[32:33]
	v_add_co_u32_e32 v23, vcc, s58, v23
	v_addc_co_u32_e32 v8, vcc, v8, v24, vcc
	s_waitcnt lgkmcnt(1)
	v_lshlrev_b64 v[34:35], 3, v[34:35]
	v_add_co_u32_e32 v32, vcc, s58, v32
	v_addc_co_u32_e32 v12, vcc, v12, v33, vcc
	v_add_co_u32_e32 v34, vcc, s58, v34
	v_addc_co_u32_e32 v16, vcc, v16, v35, vcc
	;; [unrolled: 2-line block ×3, first 2 shown]
	v_add_co_u32_e32 v32, vcc, v32, v0
	v_ashrrev_i32_e32 v39, 31, v20
	v_addc_co_u32_e32 v33, vcc, 0, v12, vcc
	v_ashrrev_i32_e32 v41, 31, v22
	v_not_b32_e32 v39, v39
	v_add_co_u32_e32 v34, vcc, v34, v2
	v_xor_b32_e32 v20, v38, v20
	v_xor_b32_e32 v19, v39, v19
	v_addc_co_u32_e32 v35, vcc, 0, v16, vcc
	global_store_dwordx2 v[23:24], v[3:4], off
	global_store_dwordx2 v[32:33], v[5:6], off offset:2048
	global_store_dwordx2 v[34:35], v[19:20], off
	v_not_b32_e32 v3, v41
	v_xor_b32_e32 v19, v3, v21
	s_waitcnt lgkmcnt(0)
	v_lshlrev_b64 v[3:4], 3, v[36:37]
	v_mov_b32_e32 v5, s59
	v_add_co_u32_e32 v8, vcc, s58, v3
	v_addc_co_u32_e32 v12, vcc, v5, v4, vcc
	ds_read2st64_b64 v[3:6], v0 offset0:20 offset1:24
	v_cmp_lt_i64_e64 s[8:9], -1, v[21:22]
	v_or_b32_e32 v16, 0x1800, v0
	v_cndmask_b32_e64 v40, v1, -1, s[8:9]
	v_add_co_u32_e32 v21, vcc, v8, v16
	v_xor_b32_e32 v20, v40, v22
	v_addc_co_u32_e32 v22, vcc, 0, v12, vcc
	s_waitcnt lgkmcnt(0)
	v_cmp_ne_u64_e32 vcc, s[12:13], v[3:4]
	global_store_dwordx2 v[21:22], v[19:20], off
	v_ashrrev_i32_e32 v19, 31, v4
	v_not_b32_e32 v19, v19
	v_cndmask_b32_e32 v24, v1, v4, vcc
	v_cndmask_b32_e32 v23, 0, v3, vcc
	v_cmp_lt_i64_e32 vcc, -1, v[3:4]
	v_xor_b32_e32 v3, v19, v3
	ds_read2st64_b64 v[19:22], v0 offset0:28 offset1:32
	v_lshrrev_b64 v[23:24], s68, v[23:24]
	v_cndmask_b32_e64 v12, v1, -1, vcc
	v_cmp_ne_u64_e32 vcc, s[12:13], v[5:6]
	v_and_b32_e32 v8, s15, v23
	v_cndmask_b32_e32 v24, v1, v6, vcc
	v_cndmask_b32_e32 v23, 0, v5, vcc
	v_lshrrev_b64 v[23:24], s68, v[23:24]
	s_waitcnt lgkmcnt(0)
	v_cmp_ne_u64_e32 vcc, s[12:13], v[19:20]
	v_lshlrev_b32_e32 v66, 3, v8
	ds_read_b64 v[32:33], v66
	v_and_b32_e32 v8, s15, v23
	v_cndmask_b32_e32 v24, v1, v20, vcc
	v_cndmask_b32_e32 v23, 0, v19, vcc
	v_lshrrev_b64 v[23:24], s68, v[23:24]
	v_cmp_ne_u64_e32 vcc, s[12:13], v[21:22]
	v_lshlrev_b32_e32 v67, 3, v8
	v_and_b32_e32 v8, s15, v23
	v_cndmask_b32_e32 v24, v1, v22, vcc
	v_cndmask_b32_e32 v23, 0, v21, vcc
	v_lshrrev_b64 v[23:24], s68, v[23:24]
	s_waitcnt lgkmcnt(0)
	v_lshlrev_b64 v[32:33], 3, v[32:33]
	v_lshlrev_b32_e32 v68, 3, v8
	v_and_b32_e32 v8, s15, v23
	v_xor_b32_e32 v4, v12, v4
	v_lshlrev_b32_e32 v69, 3, v8
	v_mov_b32_e32 v8, s59
	v_add_co_u32_e32 v12, vcc, s58, v32
	v_addc_co_u32_e32 v8, vcc, v8, v33, vcc
	v_add_co_u32_e32 v32, vcc, v12, v70
	v_addc_co_u32_e32 v33, vcc, 0, v8, vcc
	ds_read_b64 v[23:24], v67
	ds_read_b64 v[34:35], v68
	;; [unrolled: 1-line block ×3, first 2 shown]
	v_cmp_lt_i64_e32 vcc, -1, v[5:6]
	global_store_dwordx2 v[32:33], v[3:4], off
	v_ashrrev_i32_e32 v4, 31, v6
	v_cndmask_b32_e64 v3, v1, -1, vcc
	v_not_b32_e32 v8, v4
	v_xor_b32_e32 v4, v3, v6
	v_xor_b32_e32 v3, v8, v5
	s_waitcnt lgkmcnt(2)
	v_lshlrev_b64 v[5:6], 3, v[23:24]
	v_mov_b32_e32 v8, s59
	v_add_co_u32_e32 v5, vcc, s58, v5
	v_addc_co_u32_e32 v6, vcc, v8, v6, vcc
	v_add_co_u32_e32 v5, vcc, v5, v71
	v_addc_co_u32_e32 v6, vcc, 0, v6, vcc
	v_cmp_lt_i64_e32 vcc, -1, v[19:20]
	global_store_dwordx2 v[5:6], v[3:4], off
	v_ashrrev_i32_e32 v4, 31, v20
	v_cndmask_b32_e64 v3, v1, -1, vcc
	v_not_b32_e32 v5, v4
	v_xor_b32_e32 v4, v3, v20
	v_xor_b32_e32 v3, v5, v19
	s_waitcnt lgkmcnt(1)
	v_lshlrev_b64 v[5:6], 3, v[34:35]
	s_add_u32 s0, s60, s10
	v_add_co_u32_e32 v5, vcc, s58, v5
	v_addc_co_u32_e32 v6, vcc, v8, v6, vcc
	v_add_co_u32_e32 v5, vcc, v5, v72
	v_addc_co_u32_e32 v6, vcc, 0, v6, vcc
	v_cmp_lt_i64_e32 vcc, -1, v[21:22]
	global_store_dwordx2 v[5:6], v[3:4], off
	v_ashrrev_i32_e32 v4, 31, v22
	v_cndmask_b32_e64 v3, v1, -1, vcc
	v_not_b32_e32 v4, v4
	v_xor_b32_e32 v20, v3, v22
	v_xor_b32_e32 v19, v4, v21
	s_waitcnt lgkmcnt(0)
	v_lshlrev_b64 v[3:4], 3, v[36:37]
	v_mov_b32_e32 v5, s59
	v_add_co_u32_e32 v8, vcc, s58, v3
	v_addc_co_u32_e32 v12, vcc, v5, v4, vcc
	ds_read2st64_b64 v[3:6], v0 offset0:36 offset1:40
	v_add_co_u32_e32 v21, vcc, v8, v73
	v_addc_co_u32_e32 v22, vcc, 0, v12, vcc
	s_waitcnt lgkmcnt(0)
	v_cmp_ne_u64_e32 vcc, s[12:13], v[3:4]
	global_store_dwordx2 v[21:22], v[19:20], off
	v_ashrrev_i32_e32 v19, 31, v4
	v_not_b32_e32 v19, v19
	v_cndmask_b32_e32 v24, v1, v4, vcc
	v_cndmask_b32_e32 v23, 0, v3, vcc
	v_cmp_lt_i64_e32 vcc, -1, v[3:4]
	v_xor_b32_e32 v3, v19, v3
	ds_read2st64_b64 v[19:22], v0 offset0:44 offset1:48
	v_lshrrev_b64 v[23:24], s68, v[23:24]
	v_cndmask_b32_e64 v12, v1, -1, vcc
	v_cmp_ne_u64_e32 vcc, s[12:13], v[5:6]
	v_and_b32_e32 v8, s15, v23
	v_cndmask_b32_e32 v24, v1, v6, vcc
	v_cndmask_b32_e32 v23, 0, v5, vcc
	v_lshrrev_b64 v[23:24], s68, v[23:24]
	s_waitcnt lgkmcnt(0)
	v_cmp_ne_u64_e32 vcc, s[12:13], v[19:20]
	v_lshlrev_b32_e32 v74, 3, v8
	v_and_b32_e32 v8, s15, v23
	v_cndmask_b32_e32 v24, v1, v20, vcc
	v_cndmask_b32_e32 v23, 0, v19, vcc
	v_lshrrev_b64 v[23:24], s68, v[23:24]
	v_cmp_ne_u64_e32 vcc, s[12:13], v[21:22]
	v_lshlrev_b32_e32 v75, 3, v8
	v_and_b32_e32 v8, s15, v23
	v_cndmask_b32_e32 v24, v1, v22, vcc
	v_cndmask_b32_e32 v23, 0, v21, vcc
	v_lshrrev_b64 v[23:24], s68, v[23:24]
	v_lshlrev_b32_e32 v76, 3, v8
	v_and_b32_e32 v8, s15, v23
	s_addc_u32 s1, s61, s11
	v_xor_b32_e32 v4, v12, v4
	v_lshlrev_b32_e32 v77, 3, v8
	v_mov_b32_e32 v8, s1
	v_add_co_u32_e32 v12, vcc, s0, v29
	v_addc_co_u32_e32 v8, vcc, 0, v8, vcc
	v_add_co_u32_e32 v29, vcc, v12, v30
	v_addc_co_u32_e32 v30, vcc, 0, v8, vcc
	ds_read_b64 v[32:33], v74
	ds_read_b64 v[23:24], v75
	;; [unrolled: 1-line block ×4, first 2 shown]
	global_load_dwordx2 v[38:39], v[29:30], off
	global_load_dwordx2 v[40:41], v[29:30], off offset:512
	global_load_dwordx2 v[42:43], v[29:30], off offset:1024
	;; [unrolled: 1-line block ×7, first 2 shown]
	v_add_co_u32_e32 v29, vcc, s7, v29
	v_addc_co_u32_e32 v30, vcc, 0, v30, vcc
	global_load_dwordx2 v[54:55], v[29:30], off
	global_load_dwordx2 v[56:57], v[29:30], off offset:512
	global_load_dwordx2 v[58:59], v[29:30], off offset:1024
	;; [unrolled: 1-line block ×3, first 2 shown]
	s_waitcnt lgkmcnt(3)
	v_lshlrev_b64 v[32:33], 3, v[32:33]
	v_mov_b32_e32 v8, s59
	v_add_co_u32_e32 v12, vcc, s58, v32
	v_addc_co_u32_e32 v8, vcc, v8, v33, vcc
	v_or_b32_e32 v32, 0x4000, v0
	v_add_co_u32_e32 v29, vcc, v12, v32
	v_addc_co_u32_e32 v30, vcc, 0, v8, vcc
	v_cmp_lt_i64_e32 vcc, -1, v[5:6]
	global_store_dwordx2 v[29:30], v[3:4], off
	v_ashrrev_i32_e32 v4, 31, v6
	v_cndmask_b32_e64 v3, v1, -1, vcc
	v_not_b32_e32 v8, v4
	v_xor_b32_e32 v4, v3, v6
	v_xor_b32_e32 v3, v8, v5
	s_waitcnt lgkmcnt(2)
	v_lshlrev_b64 v[5:6], 3, v[23:24]
	v_mov_b32_e32 v8, s59
	v_add_co_u32_e32 v5, vcc, s58, v5
	v_addc_co_u32_e32 v6, vcc, v8, v6, vcc
	v_or_b32_e32 v23, 0x4800, v0
	v_add_co_u32_e32 v5, vcc, v5, v23
	v_addc_co_u32_e32 v6, vcc, 0, v6, vcc
	v_cmp_lt_i64_e32 vcc, -1, v[19:20]
	global_store_dwordx2 v[5:6], v[3:4], off
	v_ashrrev_i32_e32 v4, 31, v20
	v_cndmask_b32_e64 v3, v1, -1, vcc
	v_not_b32_e32 v5, v4
	v_xor_b32_e32 v4, v3, v20
	v_xor_b32_e32 v3, v5, v19
	s_waitcnt lgkmcnt(1)
	v_lshlrev_b64 v[5:6], 3, v[34:35]
	v_or_b32_e32 v19, 0x5000, v0
	v_add_co_u32_e32 v5, vcc, s58, v5
	v_addc_co_u32_e32 v6, vcc, v8, v6, vcc
	v_add_co_u32_e32 v5, vcc, v5, v19
	v_addc_co_u32_e32 v6, vcc, 0, v6, vcc
	v_cmp_lt_i64_e32 vcc, -1, v[21:22]
	global_store_dwordx2 v[5:6], v[3:4], off
	s_waitcnt lgkmcnt(0)
	v_lshlrev_b64 v[5:6], 3, v[36:37]
	v_cndmask_b32_e64 v1, v1, -1, vcc
	v_xor_b32_e32 v4, v1, v22
	v_mov_b32_e32 v1, s59
	v_add_co_u32_e32 v5, vcc, s58, v5
	v_ashrrev_i32_e32 v3, 31, v22
	v_addc_co_u32_e32 v1, vcc, v1, v6, vcc
	v_or_b32_e32 v20, 0x5800, v0
	v_not_b32_e32 v3, v3
	v_add_co_u32_e32 v5, vcc, v5, v20
	v_xor_b32_e32 v3, v3, v21
	v_addc_co_u32_e32 v6, vcc, 0, v1, vcc
	global_store_dwordx2 v[5:6], v[3:4], off
	s_waitcnt vmcnt(0)
	s_barrier
	ds_write_b64 v26, v[38:39] offset:2048
	ds_write_b64 v27, v[40:41] offset:2048
	;; [unrolled: 1-line block ×12, first 2 shown]
	s_waitcnt lgkmcnt(0)
	s_barrier
	ds_read_b64 v[8:9], v62
	ds_read2st64_b64 v[3:6], v0 offset0:4 offset1:8
	ds_read_b64 v[10:11], v63
	ds_read_b64 v[12:13], v64
	;; [unrolled: 1-line block ×3, first 2 shown]
	s_waitcnt lgkmcnt(4)
	v_lshlrev_b64 v[8:9], 3, v[8:9]
	v_mov_b32_e32 v1, s63
	v_add_co_u32_e32 v8, vcc, s62, v8
	v_addc_co_u32_e32 v1, vcc, v1, v9, vcc
	v_add_co_u32_e32 v8, vcc, v8, v0
	v_addc_co_u32_e32 v9, vcc, 0, v1, vcc
	s_waitcnt lgkmcnt(3)
	global_store_dwordx2 v[8:9], v[3:4], off
	s_waitcnt lgkmcnt(2)
	v_lshlrev_b64 v[3:4], 3, v[10:11]
	v_mov_b32_e32 v1, s63
	v_add_co_u32_e32 v3, vcc, s62, v3
	v_addc_co_u32_e32 v1, vcc, v1, v4, vcc
	v_add_co_u32_e32 v3, vcc, v3, v0
	v_addc_co_u32_e32 v4, vcc, 0, v1, vcc
	s_waitcnt lgkmcnt(1)
	v_lshlrev_b64 v[8:9], 3, v[12:13]
	global_store_dwordx2 v[3:4], v[5:6], off offset:2048
	ds_read2st64_b64 v[3:6], v0 offset0:12 offset1:16
	v_mov_b32_e32 v1, s63
	v_add_co_u32_e32 v8, vcc, s62, v8
	v_addc_co_u32_e32 v9, vcc, v1, v9, vcc
	v_add_co_u32_e32 v1, vcc, v8, v2
	v_addc_co_u32_e32 v2, vcc, 0, v9, vcc
	s_waitcnt lgkmcnt(0)
	global_store_dwordx2 v[1:2], v[3:4], off
	v_lshlrev_b64 v[1:2], 3, v[14:15]
	v_mov_b32_e32 v3, s63
	v_add_co_u32_e32 v1, vcc, s62, v1
	v_addc_co_u32_e32 v2, vcc, v3, v2, vcc
	v_add_co_u32_e32 v1, vcc, v1, v16
	v_addc_co_u32_e32 v2, vcc, 0, v2, vcc
	global_store_dwordx2 v[1:2], v[5:6], off
	ds_read_b64 v[5:6], v66
	ds_read2st64_b64 v[1:4], v0 offset0:20 offset1:24
	ds_read_b64 v[8:9], v67
	ds_read_b64 v[10:11], v68
	;; [unrolled: 1-line block ×3, first 2 shown]
	s_waitcnt lgkmcnt(4)
	v_lshlrev_b64 v[5:6], 3, v[5:6]
	v_mov_b32_e32 v14, s63
	v_add_co_u32_e32 v5, vcc, s62, v5
	v_addc_co_u32_e32 v6, vcc, v14, v6, vcc
	v_add_co_u32_e32 v5, vcc, v5, v70
	v_addc_co_u32_e32 v6, vcc, 0, v6, vcc
	s_waitcnt lgkmcnt(3)
	global_store_dwordx2 v[5:6], v[1:2], off
	s_waitcnt lgkmcnt(2)
	v_lshlrev_b64 v[1:2], 3, v[8:9]
	v_mov_b32_e32 v5, s63
	v_add_co_u32_e32 v1, vcc, s62, v1
	v_addc_co_u32_e32 v2, vcc, v5, v2, vcc
	v_add_co_u32_e32 v1, vcc, v1, v71
	v_addc_co_u32_e32 v2, vcc, 0, v2, vcc
	s_waitcnt lgkmcnt(1)
	v_lshlrev_b64 v[5:6], 3, v[10:11]
	global_store_dwordx2 v[1:2], v[3:4], off
	ds_read2st64_b64 v[1:4], v0 offset0:28 offset1:32
	v_mov_b32_e32 v8, s63
	v_add_co_u32_e32 v5, vcc, s62, v5
	v_addc_co_u32_e32 v6, vcc, v8, v6, vcc
	v_add_co_u32_e32 v5, vcc, v5, v72
	v_addc_co_u32_e32 v6, vcc, 0, v6, vcc
	s_waitcnt lgkmcnt(0)
	global_store_dwordx2 v[5:6], v[1:2], off
	v_lshlrev_b64 v[1:2], 3, v[12:13]
	v_mov_b32_e32 v5, s63
	v_add_co_u32_e32 v1, vcc, s62, v1
	v_addc_co_u32_e32 v2, vcc, v5, v2, vcc
	v_add_co_u32_e32 v1, vcc, v1, v73
	v_addc_co_u32_e32 v2, vcc, 0, v2, vcc
	global_store_dwordx2 v[1:2], v[3:4], off
	ds_read_b64 v[5:6], v74
	ds_read2st64_b64 v[1:4], v0 offset0:36 offset1:40
	ds_read_b64 v[8:9], v75
	ds_read_b64 v[10:11], v76
	;; [unrolled: 1-line block ×3, first 2 shown]
	s_waitcnt lgkmcnt(4)
	v_lshlrev_b64 v[5:6], 3, v[5:6]
	s_add_i32 s14, s14, -1
	v_add_co_u32_e32 v5, vcc, s62, v5
	v_addc_co_u32_e32 v6, vcc, v14, v6, vcc
	v_add_co_u32_e32 v5, vcc, v5, v32
	v_addc_co_u32_e32 v6, vcc, 0, v6, vcc
	s_waitcnt lgkmcnt(3)
	global_store_dwordx2 v[5:6], v[1:2], off
	s_waitcnt lgkmcnt(2)
	v_lshlrev_b64 v[1:2], 3, v[8:9]
	v_mov_b32_e32 v5, s63
	v_add_co_u32_e32 v1, vcc, s62, v1
	v_addc_co_u32_e32 v2, vcc, v5, v2, vcc
	v_add_co_u32_e32 v1, vcc, v1, v23
	v_addc_co_u32_e32 v2, vcc, 0, v2, vcc
	s_waitcnt lgkmcnt(1)
	v_lshlrev_b64 v[5:6], 3, v[10:11]
	global_store_dwordx2 v[1:2], v[3:4], off
	ds_read2st64_b64 v[1:4], v0 offset0:44 offset1:48
	v_mov_b32_e32 v8, s63
	v_add_co_u32_e32 v5, vcc, s62, v5
	v_addc_co_u32_e32 v6, vcc, v8, v6, vcc
	v_add_co_u32_e32 v5, vcc, v5, v19
	v_addc_co_u32_e32 v6, vcc, 0, v6, vcc
	s_waitcnt lgkmcnt(0)
	global_store_dwordx2 v[5:6], v[1:2], off
	v_lshlrev_b64 v[1:2], 3, v[12:13]
	v_mov_b32_e32 v5, s63
	v_add_co_u32_e32 v1, vcc, s62, v1
	v_addc_co_u32_e32 v2, vcc, v5, v2, vcc
	v_add_co_u32_e32 v1, vcc, v1, v20
	v_addc_co_u32_e32 v2, vcc, 0, v2, vcc
	s_cmp_lg_u32 s6, s14
	global_store_dwordx2 v[1:2], v[3:4], off
	s_cbranch_scc1 .LBB157_195
; %bb.194:
	ds_read_b64 v[1:2], v0
	v_add_co_u32_e32 v3, vcc, v7, v25
	v_addc_co_u32_e64 v4, s[0:1], 0, 0, vcc
	s_waitcnt lgkmcnt(0)
	v_add_co_u32_e32 v1, vcc, v3, v1
	v_addc_co_u32_e32 v2, vcc, v4, v2, vcc
	global_store_dwordx2 v0, v[1:2], s[66:67]
.LBB157_195:
	s_endpgm
.LBB157_196:
	s_or_b64 exec, exec, s[0:1]
	s_and_saveexec_b64 s[0:1], s[28:29]
	s_cbranch_execz .LBB157_139
.LBB157_197:
	v_lshlrev_b32_e32 v3, 3, v27
	ds_read_b64 v[3:4], v3
	ds_read_b64 v[5:6], v34 offset:4096
	v_mov_b32_e32 v7, s63
	s_waitcnt lgkmcnt(1)
	v_lshlrev_b64 v[3:4], 3, v[3:4]
	v_add_co_u32_e32 v3, vcc, s62, v3
	v_addc_co_u32_e32 v4, vcc, v7, v4, vcc
	v_add_co_u32_e32 v3, vcc, v3, v34
	v_addc_co_u32_e32 v4, vcc, 0, v4, vcc
	s_waitcnt lgkmcnt(0)
	global_store_dwordx2 v[3:4], v[5:6], off offset:2048
	s_or_b64 exec, exec, s[0:1]
	s_and_saveexec_b64 s[0:1], s[30:31]
	s_cbranch_execnz .LBB157_140
.LBB157_198:
	s_or_b64 exec, exec, s[0:1]
	s_and_saveexec_b64 s[0:1], s[34:35]
	s_cbranch_execz .LBB157_141
.LBB157_199:
	v_lshlrev_b32_e32 v3, 3, v28
	ds_read_b64 v[3:4], v3
	ds_read_b64 v[5:6], v34 offset:8192
	v_mov_b32_e32 v7, s63
	s_waitcnt lgkmcnt(1)
	v_lshlrev_b64 v[3:4], 3, v[3:4]
	v_add_co_u32_e32 v3, vcc, s62, v3
	v_addc_co_u32_e32 v4, vcc, v7, v4, vcc
	v_lshlrev_b32_e32 v7, 3, v48
	v_add_co_u32_e32 v3, vcc, v3, v7
	v_addc_co_u32_e32 v4, vcc, 0, v4, vcc
	s_waitcnt lgkmcnt(0)
	global_store_dwordx2 v[3:4], v[5:6], off
	s_or_b64 exec, exec, s[0:1]
	s_and_saveexec_b64 s[0:1], s[36:37]
	s_cbranch_execnz .LBB157_142
.LBB157_200:
	s_or_b64 exec, exec, s[0:1]
	s_and_saveexec_b64 s[0:1], s[38:39]
	s_cbranch_execz .LBB157_143
.LBB157_201:
	v_lshlrev_b32_e32 v3, 3, v32
	ds_read_b64 v[3:4], v3
	ds_read_b64 v[5:6], v34 offset:12288
	v_mov_b32_e32 v7, s63
	s_waitcnt lgkmcnt(1)
	v_lshlrev_b64 v[3:4], 3, v[3:4]
	v_add_co_u32_e32 v3, vcc, s62, v3
	v_addc_co_u32_e32 v4, vcc, v7, v4, vcc
	v_lshlrev_b32_e32 v7, 3, v50
	v_add_co_u32_e32 v3, vcc, v3, v7
	v_addc_co_u32_e32 v4, vcc, 0, v4, vcc
	s_waitcnt lgkmcnt(0)
	global_store_dwordx2 v[3:4], v[5:6], off
	s_or_b64 exec, exec, s[0:1]
	s_and_saveexec_b64 s[0:1], s[40:41]
	s_cbranch_execnz .LBB157_144
.LBB157_202:
	s_or_b64 exec, exec, s[0:1]
	s_and_saveexec_b64 s[0:1], s[42:43]
	s_cbranch_execz .LBB157_145
.LBB157_203:
	v_lshlrev_b32_e32 v3, 3, v33
	ds_read_b64 v[3:4], v3
	ds_read_b64 v[5:6], v34 offset:16384
	v_mov_b32_e32 v7, s63
	s_waitcnt lgkmcnt(1)
	v_lshlrev_b64 v[3:4], 3, v[3:4]
	v_add_co_u32_e32 v3, vcc, s62, v3
	v_addc_co_u32_e32 v4, vcc, v7, v4, vcc
	v_lshlrev_b32_e32 v7, 3, v52
	v_add_co_u32_e32 v3, vcc, v3, v7
	v_addc_co_u32_e32 v4, vcc, 0, v4, vcc
	s_waitcnt lgkmcnt(0)
	global_store_dwordx2 v[3:4], v[5:6], off
	s_or_b64 exec, exec, s[0:1]
	s_and_saveexec_b64 s[0:1], s[44:45]
	s_cbranch_execnz .LBB157_146
.LBB157_204:
	s_or_b64 exec, exec, s[0:1]
	s_and_saveexec_b64 s[0:1], s[46:47]
	s_cbranch_execz .LBB157_147
.LBB157_205:
	v_lshlrev_b32_e32 v3, 3, v57
	ds_read_b64 v[3:4], v3
	ds_read_b64 v[5:6], v34 offset:20480
	v_mov_b32_e32 v7, s63
	s_waitcnt lgkmcnt(1)
	v_lshlrev_b64 v[3:4], 3, v[3:4]
	v_add_co_u32_e32 v3, vcc, s62, v3
	v_addc_co_u32_e32 v4, vcc, v7, v4, vcc
	v_lshlrev_b32_e32 v7, 3, v54
	v_add_co_u32_e32 v3, vcc, v3, v7
	v_addc_co_u32_e32 v4, vcc, 0, v4, vcc
	s_waitcnt lgkmcnt(0)
	global_store_dwordx2 v[3:4], v[5:6], off
	s_or_b64 exec, exec, s[0:1]
	s_and_saveexec_b64 s[0:1], s[48:49]
	s_cbranch_execnz .LBB157_148
.LBB157_206:
	s_or_b64 exec, exec, s[0:1]
	s_and_saveexec_b64 s[0:1], s[50:51]
	s_cbranch_execz .LBB157_149
.LBB157_207:
	v_lshlrev_b32_e32 v3, 3, v59
	ds_read_b64 v[3:4], v3
	ds_read_b64 v[5:6], v34 offset:24576
	v_mov_b32_e32 v7, s63
	s_waitcnt lgkmcnt(1)
	v_lshlrev_b64 v[3:4], 3, v[3:4]
	v_add_co_u32_e32 v3, vcc, s62, v3
	v_addc_co_u32_e32 v4, vcc, v7, v4, vcc
	v_lshlrev_b32_e32 v7, 3, v56
	v_add_co_u32_e32 v3, vcc, v3, v7
	v_addc_co_u32_e32 v4, vcc, 0, v4, vcc
	s_waitcnt lgkmcnt(0)
	global_store_dwordx2 v[3:4], v[5:6], off
	s_or_b64 exec, exec, s[0:1]
	s_add_i32 s33, s33, -1
	s_cmp_eq_u32 s6, s33
	s_cbranch_scc1 .LBB157_150
	s_branch .LBB157_151
	.section	.rodata,"a",@progbits
	.p2align	6, 0x0
	.amdhsa_kernel _ZN7rocprim17ROCPRIM_304000_NS6detail25onesweep_iteration_kernelINS1_34wrapped_radix_sort_onesweep_configINS0_14default_configEdN2at4cuda3cub6detail10OpaqueTypeILi8EEEEELb0EPdSC_PSA_SD_mNS0_19identity_decomposerEEEvT1_T2_T3_T4_jPT5_SK_PNS1_23onesweep_lookback_stateET6_jjj
		.amdhsa_group_segment_fixed_size 26624
		.amdhsa_private_segment_fixed_size 0
		.amdhsa_kernarg_size 336
		.amdhsa_user_sgpr_count 6
		.amdhsa_user_sgpr_private_segment_buffer 1
		.amdhsa_user_sgpr_dispatch_ptr 0
		.amdhsa_user_sgpr_queue_ptr 0
		.amdhsa_user_sgpr_kernarg_segment_ptr 1
		.amdhsa_user_sgpr_dispatch_id 0
		.amdhsa_user_sgpr_flat_scratch_init 0
		.amdhsa_user_sgpr_private_segment_size 0
		.amdhsa_uses_dynamic_stack 0
		.amdhsa_system_sgpr_private_segment_wavefront_offset 0
		.amdhsa_system_sgpr_workgroup_id_x 1
		.amdhsa_system_sgpr_workgroup_id_y 0
		.amdhsa_system_sgpr_workgroup_id_z 0
		.amdhsa_system_sgpr_workgroup_info 0
		.amdhsa_system_vgpr_workitem_id 2
		.amdhsa_next_free_vgpr 85
		.amdhsa_next_free_sgpr 98
		.amdhsa_reserve_vcc 1
		.amdhsa_reserve_flat_scratch 0
		.amdhsa_float_round_mode_32 0
		.amdhsa_float_round_mode_16_64 0
		.amdhsa_float_denorm_mode_32 3
		.amdhsa_float_denorm_mode_16_64 3
		.amdhsa_dx10_clamp 1
		.amdhsa_ieee_mode 1
		.amdhsa_fp16_overflow 0
		.amdhsa_exception_fp_ieee_invalid_op 0
		.amdhsa_exception_fp_denorm_src 0
		.amdhsa_exception_fp_ieee_div_zero 0
		.amdhsa_exception_fp_ieee_overflow 0
		.amdhsa_exception_fp_ieee_underflow 0
		.amdhsa_exception_fp_ieee_inexact 0
		.amdhsa_exception_int_div_zero 0
	.end_amdhsa_kernel
	.section	.text._ZN7rocprim17ROCPRIM_304000_NS6detail25onesweep_iteration_kernelINS1_34wrapped_radix_sort_onesweep_configINS0_14default_configEdN2at4cuda3cub6detail10OpaqueTypeILi8EEEEELb0EPdSC_PSA_SD_mNS0_19identity_decomposerEEEvT1_T2_T3_T4_jPT5_SK_PNS1_23onesweep_lookback_stateET6_jjj,"axG",@progbits,_ZN7rocprim17ROCPRIM_304000_NS6detail25onesweep_iteration_kernelINS1_34wrapped_radix_sort_onesweep_configINS0_14default_configEdN2at4cuda3cub6detail10OpaqueTypeILi8EEEEELb0EPdSC_PSA_SD_mNS0_19identity_decomposerEEEvT1_T2_T3_T4_jPT5_SK_PNS1_23onesweep_lookback_stateET6_jjj,comdat
.Lfunc_end157:
	.size	_ZN7rocprim17ROCPRIM_304000_NS6detail25onesweep_iteration_kernelINS1_34wrapped_radix_sort_onesweep_configINS0_14default_configEdN2at4cuda3cub6detail10OpaqueTypeILi8EEEEELb0EPdSC_PSA_SD_mNS0_19identity_decomposerEEEvT1_T2_T3_T4_jPT5_SK_PNS1_23onesweep_lookback_stateET6_jjj, .Lfunc_end157-_ZN7rocprim17ROCPRIM_304000_NS6detail25onesweep_iteration_kernelINS1_34wrapped_radix_sort_onesweep_configINS0_14default_configEdN2at4cuda3cub6detail10OpaqueTypeILi8EEEEELb0EPdSC_PSA_SD_mNS0_19identity_decomposerEEEvT1_T2_T3_T4_jPT5_SK_PNS1_23onesweep_lookback_stateET6_jjj
                                        ; -- End function
	.set _ZN7rocprim17ROCPRIM_304000_NS6detail25onesweep_iteration_kernelINS1_34wrapped_radix_sort_onesweep_configINS0_14default_configEdN2at4cuda3cub6detail10OpaqueTypeILi8EEEEELb0EPdSC_PSA_SD_mNS0_19identity_decomposerEEEvT1_T2_T3_T4_jPT5_SK_PNS1_23onesweep_lookback_stateET6_jjj.num_vgpr, 78
	.set _ZN7rocprim17ROCPRIM_304000_NS6detail25onesweep_iteration_kernelINS1_34wrapped_radix_sort_onesweep_configINS0_14default_configEdN2at4cuda3cub6detail10OpaqueTypeILi8EEEEELb0EPdSC_PSA_SD_mNS0_19identity_decomposerEEEvT1_T2_T3_T4_jPT5_SK_PNS1_23onesweep_lookback_stateET6_jjj.num_agpr, 0
	.set _ZN7rocprim17ROCPRIM_304000_NS6detail25onesweep_iteration_kernelINS1_34wrapped_radix_sort_onesweep_configINS0_14default_configEdN2at4cuda3cub6detail10OpaqueTypeILi8EEEEELb0EPdSC_PSA_SD_mNS0_19identity_decomposerEEEvT1_T2_T3_T4_jPT5_SK_PNS1_23onesweep_lookback_stateET6_jjj.numbered_sgpr, 78
	.set _ZN7rocprim17ROCPRIM_304000_NS6detail25onesweep_iteration_kernelINS1_34wrapped_radix_sort_onesweep_configINS0_14default_configEdN2at4cuda3cub6detail10OpaqueTypeILi8EEEEELb0EPdSC_PSA_SD_mNS0_19identity_decomposerEEEvT1_T2_T3_T4_jPT5_SK_PNS1_23onesweep_lookback_stateET6_jjj.num_named_barrier, 0
	.set _ZN7rocprim17ROCPRIM_304000_NS6detail25onesweep_iteration_kernelINS1_34wrapped_radix_sort_onesweep_configINS0_14default_configEdN2at4cuda3cub6detail10OpaqueTypeILi8EEEEELb0EPdSC_PSA_SD_mNS0_19identity_decomposerEEEvT1_T2_T3_T4_jPT5_SK_PNS1_23onesweep_lookback_stateET6_jjj.private_seg_size, 0
	.set _ZN7rocprim17ROCPRIM_304000_NS6detail25onesweep_iteration_kernelINS1_34wrapped_radix_sort_onesweep_configINS0_14default_configEdN2at4cuda3cub6detail10OpaqueTypeILi8EEEEELb0EPdSC_PSA_SD_mNS0_19identity_decomposerEEEvT1_T2_T3_T4_jPT5_SK_PNS1_23onesweep_lookback_stateET6_jjj.uses_vcc, 1
	.set _ZN7rocprim17ROCPRIM_304000_NS6detail25onesweep_iteration_kernelINS1_34wrapped_radix_sort_onesweep_configINS0_14default_configEdN2at4cuda3cub6detail10OpaqueTypeILi8EEEEELb0EPdSC_PSA_SD_mNS0_19identity_decomposerEEEvT1_T2_T3_T4_jPT5_SK_PNS1_23onesweep_lookback_stateET6_jjj.uses_flat_scratch, 0
	.set _ZN7rocprim17ROCPRIM_304000_NS6detail25onesweep_iteration_kernelINS1_34wrapped_radix_sort_onesweep_configINS0_14default_configEdN2at4cuda3cub6detail10OpaqueTypeILi8EEEEELb0EPdSC_PSA_SD_mNS0_19identity_decomposerEEEvT1_T2_T3_T4_jPT5_SK_PNS1_23onesweep_lookback_stateET6_jjj.has_dyn_sized_stack, 0
	.set _ZN7rocprim17ROCPRIM_304000_NS6detail25onesweep_iteration_kernelINS1_34wrapped_radix_sort_onesweep_configINS0_14default_configEdN2at4cuda3cub6detail10OpaqueTypeILi8EEEEELb0EPdSC_PSA_SD_mNS0_19identity_decomposerEEEvT1_T2_T3_T4_jPT5_SK_PNS1_23onesweep_lookback_stateET6_jjj.has_recursion, 0
	.set _ZN7rocprim17ROCPRIM_304000_NS6detail25onesweep_iteration_kernelINS1_34wrapped_radix_sort_onesweep_configINS0_14default_configEdN2at4cuda3cub6detail10OpaqueTypeILi8EEEEELb0EPdSC_PSA_SD_mNS0_19identity_decomposerEEEvT1_T2_T3_T4_jPT5_SK_PNS1_23onesweep_lookback_stateET6_jjj.has_indirect_call, 0
	.section	.AMDGPU.csdata,"",@progbits
; Kernel info:
; codeLenInByte = 20368
; TotalNumSgprs: 82
; NumVgprs: 78
; ScratchSize: 0
; MemoryBound: 0
; FloatMode: 240
; IeeeMode: 1
; LDSByteSize: 26624 bytes/workgroup (compile time only)
; SGPRBlocks: 12
; VGPRBlocks: 21
; NumSGPRsForWavesPerEU: 102
; NumVGPRsForWavesPerEU: 85
; Occupancy: 2
; WaveLimiterHint : 1
; COMPUTE_PGM_RSRC2:SCRATCH_EN: 0
; COMPUTE_PGM_RSRC2:USER_SGPR: 6
; COMPUTE_PGM_RSRC2:TRAP_HANDLER: 0
; COMPUTE_PGM_RSRC2:TGID_X_EN: 1
; COMPUTE_PGM_RSRC2:TGID_Y_EN: 0
; COMPUTE_PGM_RSRC2:TGID_Z_EN: 0
; COMPUTE_PGM_RSRC2:TIDIG_COMP_CNT: 2
	.section	.text._ZN7rocprim17ROCPRIM_304000_NS6detail28radix_sort_block_sort_kernelINS1_36wrapped_radix_sort_block_sort_configINS0_13kernel_configILj256ELj4ELj4294967295EEEbN2at4cuda3cub6detail10OpaqueTypeILi8EEEEELb1EPKbPbPKSB_PSB_NS0_19identity_decomposerEEEvT1_T2_T3_T4_jT5_jj,"axG",@progbits,_ZN7rocprim17ROCPRIM_304000_NS6detail28radix_sort_block_sort_kernelINS1_36wrapped_radix_sort_block_sort_configINS0_13kernel_configILj256ELj4ELj4294967295EEEbN2at4cuda3cub6detail10OpaqueTypeILi8EEEEELb1EPKbPbPKSB_PSB_NS0_19identity_decomposerEEEvT1_T2_T3_T4_jT5_jj,comdat
	.protected	_ZN7rocprim17ROCPRIM_304000_NS6detail28radix_sort_block_sort_kernelINS1_36wrapped_radix_sort_block_sort_configINS0_13kernel_configILj256ELj4ELj4294967295EEEbN2at4cuda3cub6detail10OpaqueTypeILi8EEEEELb1EPKbPbPKSB_PSB_NS0_19identity_decomposerEEEvT1_T2_T3_T4_jT5_jj ; -- Begin function _ZN7rocprim17ROCPRIM_304000_NS6detail28radix_sort_block_sort_kernelINS1_36wrapped_radix_sort_block_sort_configINS0_13kernel_configILj256ELj4ELj4294967295EEEbN2at4cuda3cub6detail10OpaqueTypeILi8EEEEELb1EPKbPbPKSB_PSB_NS0_19identity_decomposerEEEvT1_T2_T3_T4_jT5_jj
	.globl	_ZN7rocprim17ROCPRIM_304000_NS6detail28radix_sort_block_sort_kernelINS1_36wrapped_radix_sort_block_sort_configINS0_13kernel_configILj256ELj4ELj4294967295EEEbN2at4cuda3cub6detail10OpaqueTypeILi8EEEEELb1EPKbPbPKSB_PSB_NS0_19identity_decomposerEEEvT1_T2_T3_T4_jT5_jj
	.p2align	8
	.type	_ZN7rocprim17ROCPRIM_304000_NS6detail28radix_sort_block_sort_kernelINS1_36wrapped_radix_sort_block_sort_configINS0_13kernel_configILj256ELj4ELj4294967295EEEbN2at4cuda3cub6detail10OpaqueTypeILi8EEEEELb1EPKbPbPKSB_PSB_NS0_19identity_decomposerEEEvT1_T2_T3_T4_jT5_jj,@function
_ZN7rocprim17ROCPRIM_304000_NS6detail28radix_sort_block_sort_kernelINS1_36wrapped_radix_sort_block_sort_configINS0_13kernel_configILj256ELj4ELj4294967295EEEbN2at4cuda3cub6detail10OpaqueTypeILi8EEEEELb1EPKbPbPKSB_PSB_NS0_19identity_decomposerEEEvT1_T2_T3_T4_jT5_jj: ; @_ZN7rocprim17ROCPRIM_304000_NS6detail28radix_sort_block_sort_kernelINS1_36wrapped_radix_sort_block_sort_configINS0_13kernel_configILj256ELj4ELj4294967295EEEbN2at4cuda3cub6detail10OpaqueTypeILi8EEEEELb1EPKbPbPKSB_PSB_NS0_19identity_decomposerEEEvT1_T2_T3_T4_jT5_jj
; %bb.0:
	s_load_dword s2, s[4:5], 0x20
	s_load_dwordx8 s[36:43], s[4:5], 0x0
	s_lshl_b32 s28, s6, 10
	v_mbcnt_lo_u32_b32 v3, -1, 0
	v_mbcnt_hi_u32_b32 v7, -1, v3
	s_waitcnt lgkmcnt(0)
	s_lshr_b32 s0, s2, 10
	s_cmp_lg_u32 s6, s0
	s_cselect_b64 s[30:31], -1, 0
	s_add_u32 s1, s36, s28
	s_addc_u32 s3, s37, 0
	v_lshlrev_b32_e32 v8, 2, v0
	v_mov_b32_e32 v3, s3
	v_add_co_u32_e32 v4, vcc, s1, v7
	v_and_b32_e32 v16, 0x300, v8
	v_addc_co_u32_e32 v3, vcc, 0, v3, vcc
	v_add_co_u32_e32 v5, vcc, v4, v16
	s_mov_b32 s29, 0
	s_cmp_eq_u32 s6, s0
	v_addc_co_u32_e32 v6, vcc, 0, v3, vcc
	v_lshlrev_b32_e32 v15, 3, v7
	v_lshlrev_b32_e32 v14, 3, v16
	v_add_u32_e32 v13, v7, v16
	s_cbranch_scc1 .LBB158_2
; %bb.1:
	s_lshl_b64 s[0:1], s[28:29], 3
	s_add_u32 s0, s40, s0
	s_addc_u32 s1, s41, s1
	v_mov_b32_e32 v3, s1
	v_add_co_u32_e32 v4, vcc, s0, v15
	v_addc_co_u32_e32 v3, vcc, 0, v3, vcc
	v_add_co_u32_e32 v23, vcc, v4, v14
	v_addc_co_u32_e32 v24, vcc, 0, v3, vcc
	global_load_ubyte v12, v[5:6], off offset:192
	global_load_ubyte v10, v[5:6], off offset:128
	;; [unrolled: 1-line block ×3, first 2 shown]
	global_load_ubyte v9, v[5:6], off
	global_load_dwordx2 v[3:4], v[23:24], off
	global_load_dwordx2 v[17:18], v[23:24], off offset:512
	global_load_dwordx2 v[19:20], v[23:24], off offset:1024
	;; [unrolled: 1-line block ×3, first 2 shown]
	v_add_u32_e32 v27, v7, v16
	v_add_u32_e32 v24, 64, v27
	;; [unrolled: 1-line block ×4, first 2 shown]
	s_sub_i32 s33, s2, s28
	s_cbranch_execz .LBB158_3
	s_branch .LBB158_17
.LBB158_2:
                                        ; implicit-def: $vgpr9
                                        ; implicit-def: $vgpr11
                                        ; implicit-def: $vgpr10
                                        ; implicit-def: $vgpr12
                                        ; implicit-def: $vgpr3_vgpr4
                                        ; implicit-def: $vgpr17_vgpr18
                                        ; implicit-def: $vgpr19_vgpr20
                                        ; implicit-def: $vgpr21_vgpr22
                                        ; implicit-def: $vgpr27
                                        ; implicit-def: $vgpr24
                                        ; implicit-def: $vgpr25
                                        ; implicit-def: $vgpr26
	s_sub_i32 s33, s2, s28
.LBB158_3:
	v_cmp_gt_u32_e32 vcc, s33, v13
	s_waitcnt vmcnt(6)
	v_mov_b32_e32 v10, 0
	s_waitcnt vmcnt(4)
	v_mov_b32_e32 v9, 0
	v_mov_b32_e32 v12, 0
	s_and_saveexec_b64 s[0:1], vcc
	s_cbranch_execz .LBB158_5
; %bb.4:
	global_load_ubyte v9, v[5:6], off
	v_mov_b32_e32 v12, 0
.LBB158_5:
	s_or_b64 exec, exec, s[0:1]
	v_add_u32_e32 v24, 64, v13
	v_cmp_gt_u32_e64 s[0:1], s33, v24
	v_mov_b32_e32 v11, v10
	s_and_saveexec_b64 s[2:3], s[0:1]
	s_cbranch_execz .LBB158_7
; %bb.6:
	global_load_ubyte v11, v[5:6], off offset:64
.LBB158_7:
	s_or_b64 exec, exec, s[2:3]
	v_add_u32_e32 v25, 0x80, v13
	v_cmp_gt_u32_e64 s[2:3], s33, v25
	s_and_saveexec_b64 s[6:7], s[2:3]
	s_cbranch_execz .LBB158_9
; %bb.8:
	global_load_ubyte v10, v[5:6], off offset:128
.LBB158_9:
	s_or_b64 exec, exec, s[6:7]
	v_add_u32_e32 v26, 0xc0, v13
	v_cmp_gt_u32_e64 s[6:7], s33, v26
	s_and_saveexec_b64 s[8:9], s[6:7]
	s_cbranch_execz .LBB158_11
; %bb.10:
	global_load_ubyte v12, v[5:6], off offset:192
.LBB158_11:
	s_or_b64 exec, exec, s[8:9]
	s_lshl_b64 s[8:9], s[28:29], 3
	s_add_u32 s8, s40, s8
	s_addc_u32 s9, s41, s9
	s_waitcnt vmcnt(3)
	v_mov_b32_e32 v3, s9
	v_add_co_u32_e64 v4, s[8:9], s8, v15
	v_addc_co_u32_e64 v3, s[8:9], 0, v3, s[8:9]
	v_add_co_u32_e64 v5, s[8:9], v4, v14
	v_addc_co_u32_e64 v6, s[8:9], 0, v3, s[8:9]
                                        ; implicit-def: $vgpr3_vgpr4
	s_and_saveexec_b64 s[8:9], vcc
	s_cbranch_execnz .LBB158_54
; %bb.12:
	s_or_b64 exec, exec, s[8:9]
                                        ; implicit-def: $vgpr17_vgpr18
	s_and_saveexec_b64 s[8:9], s[0:1]
	s_cbranch_execnz .LBB158_55
.LBB158_13:
	s_or_b64 exec, exec, s[8:9]
                                        ; implicit-def: $vgpr19_vgpr20
	s_and_saveexec_b64 s[0:1], s[2:3]
	s_cbranch_execnz .LBB158_56
.LBB158_14:
	s_or_b64 exec, exec, s[0:1]
                                        ; implicit-def: $vgpr21_vgpr22
	s_and_saveexec_b64 s[0:1], s[6:7]
	s_cbranch_execz .LBB158_16
.LBB158_15:
	global_load_dwordx2 v[21:22], v[5:6], off offset:1536
.LBB158_16:
	s_or_b64 exec, exec, s[0:1]
	v_mov_b32_e32 v27, v13
.LBB158_17:
	s_load_dwordx2 s[34:35], s[4:5], 0x28
	s_load_dword s6, s[4:5], 0x3c
	s_waitcnt vmcnt(0)
	v_and_b32_e32 v6, 1, v10
	v_and_b32_e32 v5, 1, v12
	v_cmp_eq_u32_e64 s[0:1], 1, v6
	v_cmp_eq_u32_e32 vcc, 1, v5
	v_and_b32_e32 v5, 1, v11
	s_xor_b64 s[0:1], s[0:1], -1
	v_cmp_eq_u32_e64 s[2:3], 1, v5
	v_and_b32_e32 v5, 1, v9
	v_cndmask_b32_e64 v9, 0, 1, s[0:1]
	s_xor_b64 s[0:1], vcc, -1
	v_cndmask_b32_e64 v10, 0, 1, s[0:1]
	s_waitcnt lgkmcnt(0)
	s_lshr_b32 s0, s6, 16
	s_and_b32 s1, s6, 0xffff
	v_mad_u32_u24 v1, v2, s0, v1
	v_mad_u64_u32 v[1:2], s[0:1], v1, s1, v[0:1]
	v_cmp_eq_u32_e64 s[4:5], 1, v5
	s_xor_b64 s[2:3], s[2:3], -1
	s_xor_b64 s[4:5], s[4:5], -1
	v_cndmask_b32_e64 v6, 0, 1, s[2:3]
	v_lshrrev_b32_e32 v1, 4, v1
	v_cndmask_b32_e64 v5, 0, 1, s[4:5]
	v_lshlrev_b16_e32 v6, 8, v6
	v_and_b32_e32 v29, 0xffffffc, v1
	v_and_b32_e32 v1, 15, v7
	v_or_b32_e32 v5, v5, v6
	v_lshlrev_b16_e32 v6, 8, v10
	v_cmp_eq_u32_e64 s[0:1], 0, v1
	v_cmp_lt_u32_e64 s[2:3], 1, v1
	v_cmp_lt_u32_e64 s[4:5], 3, v1
	;; [unrolled: 1-line block ×3, first 2 shown]
	v_and_b32_e32 v1, 16, v7
	v_or_b32_sdwa v2, v9, v6 dst_sel:WORD_1 dst_unused:UNUSED_PAD src0_sel:DWORD src1_sel:DWORD
	v_cmp_eq_u32_e64 s[8:9], 0, v1
	v_or_b32_e32 v1, 63, v0
	v_or_b32_sdwa v30, v5, v2 dst_sel:DWORD dst_unused:UNUSED_PAD src0_sel:WORD_0 src1_sel:DWORD
	v_cmp_eq_u32_e64 s[12:13], v0, v1
	v_subrev_co_u32_e64 v1, s[18:19], 1, v7
	v_and_b32_e32 v2, 64, v7
	v_cmp_lt_i32_e32 vcc, v1, v2
	v_and_b32_e32 v2, 3, v7
	v_cmp_lt_u32_e64 s[10:11], 31, v7
	v_cndmask_b32_e32 v1, v1, v7, vcc
	v_cmp_eq_u32_e64 s[22:23], 0, v2
	v_cmp_lt_u32_e64 s[24:25], 1, v2
	v_mul_lo_u32 v2, v27, 7
	v_mul_lo_u32 v5, v24, 7
	;; [unrolled: 1-line block ×4, first 2 shown]
	s_mov_b32 s26, 0
	v_lshlrev_b32_e32 v31, 2, v1
	v_lshrrev_b32_e32 v1, 4, v0
	s_mov_b32 s40, s26
	v_lshlrev_b32_e32 v28, 2, v8
	v_and_b32_e32 v32, 12, v1
	v_mul_i32_i24_e32 v1, -12, v0
	s_mov_b32 s27, s26
	s_mov_b32 s41, s26
	v_mov_b32_e32 v13, s26
	v_mov_b32_e32 v15, s40
	s_add_i32 s36, s35, s34
	v_cmp_gt_u32_e64 s[14:15], 4, v0
	v_cmp_lt_u32_e64 s[16:17], 63, v0
	v_cmp_eq_u32_e64 s[20:21], 0, v0
	v_add_u32_e32 v33, -4, v32
	v_mov_b32_e32 v14, s27
	v_mov_b32_e32 v16, s41
	v_add_u32_e32 v34, v28, v1
	s_mov_b32 s37, 0xc0c0004
	v_add_u32_e32 v35, v27, v2
	v_add_u32_e32 v36, v24, v5
	;; [unrolled: 1-line block ×4, first 2 shown]
	s_branch .LBB158_19
.LBB158_18:                             ;   in Loop: Header=BB158_19 Depth=1
	s_andn2_b64 vcc, exec, s[26:27]
	s_mov_b32 s35, s40
	s_cbranch_vccz .LBB158_35
.LBB158_19:                             ; =>This Inner Loop Header: Depth=1
	s_min_u32 s26, s35, 8
	s_lshl_b32 s26, -1, s26
	s_not_b32 s40, s26
	v_lshrrev_b32_sdwa v1, s34, v30 dst_sel:DWORD dst_unused:UNUSED_PAD src0_sel:DWORD src1_sel:BYTE_0
	v_mov_b32_e32 v12, v4
	v_and_b32_e32 v1, s40, v1
	v_mov_b32_e32 v11, v3
	v_lshlrev_b32_e32 v3, 4, v1
	v_cmp_ne_u32_e32 vcc, 0, v1
	v_add_co_u32_e64 v1, s[26:27], -1, v1
	v_addc_co_u32_e64 v2, s[26:27], 0, -1, s[26:27]
	v_xor_b32_e32 v1, vcc_lo, v1
	v_xor_b32_e32 v2, vcc_hi, v2
	v_and_b32_e32 v1, exec_lo, v1
	v_mov_b32_e32 v9, v17
	v_and_b32_e32 v2, exec_hi, v2
	v_mbcnt_lo_u32_b32 v4, v1, 0
	v_mov_b32_e32 v10, v18
	v_mbcnt_hi_u32_b32 v17, v2, v4
	v_cmp_ne_u64_e32 vcc, 0, v[1:2]
	v_mov_b32_e32 v7, v19
	v_mov_b32_e32 v5, v21
	v_cmp_eq_u32_e64 s[26:27], 0, v17
	v_mov_b32_e32 v8, v20
	v_mov_b32_e32 v6, v22
	s_and_b64 s[44:45], vcc, s[26:27]
	v_add_u32_e32 v18, v29, v3
	ds_write2_b64 v28, v[13:14], v[15:16] offset0:2 offset1:3
	s_waitcnt lgkmcnt(0)
	s_barrier
	; wave barrier
	s_and_saveexec_b64 s[26:27], s[44:45]
; %bb.20:                               ;   in Loop: Header=BB158_19 Depth=1
	v_bcnt_u32_b32 v1, v1, 0
	v_bcnt_u32_b32 v1, v2, v1
	ds_write_b32 v18, v1 offset:16
; %bb.21:                               ;   in Loop: Header=BB158_19 Depth=1
	s_or_b64 exec, exec, s[26:27]
	v_lshrrev_b32_sdwa v1, s34, v30 dst_sel:DWORD dst_unused:UNUSED_PAD src0_sel:DWORD src1_sel:BYTE_1
	v_and_b32_e32 v1, s40, v1
	v_lshlrev_b32_e32 v2, 4, v1
	v_cmp_ne_u32_e32 vcc, 0, v1
	v_add_co_u32_e64 v1, s[26:27], -1, v1
	v_add_u32_e32 v20, v29, v2
	v_addc_co_u32_e64 v2, s[26:27], 0, -1, s[26:27]
	v_xor_b32_e32 v1, vcc_lo, v1
	; wave barrier
	ds_read_b32 v19, v20 offset:16
	v_xor_b32_e32 v2, vcc_hi, v2
	v_and_b32_e32 v1, exec_lo, v1
	v_and_b32_e32 v2, exec_hi, v2
	v_mbcnt_lo_u32_b32 v3, v1, 0
	v_mbcnt_hi_u32_b32 v21, v2, v3
	v_cmp_ne_u64_e32 vcc, 0, v[1:2]
	v_cmp_eq_u32_e64 s[26:27], 0, v21
	s_and_b64 s[44:45], vcc, s[26:27]
	; wave barrier
	s_and_saveexec_b64 s[26:27], s[44:45]
	s_cbranch_execz .LBB158_23
; %bb.22:                               ;   in Loop: Header=BB158_19 Depth=1
	v_bcnt_u32_b32 v1, v1, 0
	v_bcnt_u32_b32 v1, v2, v1
	s_waitcnt lgkmcnt(0)
	v_add_u32_e32 v1, v19, v1
	ds_write_b32 v20, v1 offset:16
.LBB158_23:                             ;   in Loop: Header=BB158_19 Depth=1
	s_or_b64 exec, exec, s[26:27]
	v_lshrrev_b32_sdwa v1, s34, v30 dst_sel:DWORD dst_unused:UNUSED_PAD src0_sel:DWORD src1_sel:BYTE_2
	v_and_b32_e32 v1, s40, v1
	v_lshlrev_b32_e32 v2, 4, v1
	v_cmp_ne_u32_e32 vcc, 0, v1
	v_add_co_u32_e64 v1, s[26:27], -1, v1
	v_add_u32_e32 v23, v29, v2
	v_addc_co_u32_e64 v2, s[26:27], 0, -1, s[26:27]
	v_xor_b32_e32 v1, vcc_lo, v1
	; wave barrier
	ds_read_b32 v22, v23 offset:16
	v_xor_b32_e32 v2, vcc_hi, v2
	v_and_b32_e32 v1, exec_lo, v1
	v_and_b32_e32 v2, exec_hi, v2
	v_mbcnt_lo_u32_b32 v3, v1, 0
	v_mbcnt_hi_u32_b32 v40, v2, v3
	v_cmp_ne_u64_e32 vcc, 0, v[1:2]
	v_cmp_eq_u32_e64 s[26:27], 0, v40
	s_and_b64 s[44:45], vcc, s[26:27]
	; wave barrier
	s_and_saveexec_b64 s[26:27], s[44:45]
	s_cbranch_execz .LBB158_25
; %bb.24:                               ;   in Loop: Header=BB158_19 Depth=1
	v_bcnt_u32_b32 v1, v1, 0
	v_bcnt_u32_b32 v1, v2, v1
	s_waitcnt lgkmcnt(0)
	v_add_u32_e32 v1, v22, v1
	ds_write_b32 v23, v1 offset:16
.LBB158_25:                             ;   in Loop: Header=BB158_19 Depth=1
	s_or_b64 exec, exec, s[26:27]
	v_lshrrev_b32_e32 v39, 24, v30
	v_lshrrev_b32_e32 v1, s34, v39
	v_and_b32_e32 v1, s40, v1
	v_lshlrev_b32_e32 v2, 4, v1
	v_cmp_ne_u32_e32 vcc, 0, v1
	v_add_co_u32_e64 v1, s[26:27], -1, v1
	v_add_u32_e32 v42, v29, v2
	v_addc_co_u32_e64 v2, s[26:27], 0, -1, s[26:27]
	v_xor_b32_e32 v1, vcc_lo, v1
	; wave barrier
	ds_read_b32 v41, v42 offset:16
	v_xor_b32_e32 v2, vcc_hi, v2
	v_and_b32_e32 v1, exec_lo, v1
	v_and_b32_e32 v2, exec_hi, v2
	v_mbcnt_lo_u32_b32 v3, v1, 0
	v_mbcnt_hi_u32_b32 v45, v2, v3
	v_cmp_ne_u64_e32 vcc, 0, v[1:2]
	v_cmp_eq_u32_e64 s[26:27], 0, v45
	s_and_b64 s[40:41], vcc, s[26:27]
	; wave barrier
	s_and_saveexec_b64 s[26:27], s[40:41]
	s_cbranch_execz .LBB158_27
; %bb.26:                               ;   in Loop: Header=BB158_19 Depth=1
	v_bcnt_u32_b32 v1, v1, 0
	v_bcnt_u32_b32 v1, v2, v1
	s_waitcnt lgkmcnt(0)
	v_add_u32_e32 v1, v41, v1
	ds_write_b32 v42, v1 offset:16
.LBB158_27:                             ;   in Loop: Header=BB158_19 Depth=1
	s_or_b64 exec, exec, s[26:27]
	; wave barrier
	s_waitcnt lgkmcnt(0)
	s_barrier
	ds_read2_b64 v[1:4], v28 offset0:2 offset1:3
	s_waitcnt lgkmcnt(0)
	v_add_u32_e32 v43, v2, v1
	v_add3_u32 v4, v43, v3, v4
	s_nop 1
	v_mov_b32_dpp v43, v4 row_shr:1 row_mask:0xf bank_mask:0xf
	v_cndmask_b32_e64 v43, v43, 0, s[0:1]
	v_add_u32_e32 v4, v43, v4
	s_nop 1
	v_mov_b32_dpp v43, v4 row_shr:2 row_mask:0xf bank_mask:0xf
	v_cndmask_b32_e64 v43, 0, v43, s[2:3]
	v_add_u32_e32 v4, v4, v43
	;; [unrolled: 4-line block ×4, first 2 shown]
	s_nop 1
	v_mov_b32_dpp v43, v4 row_bcast:15 row_mask:0xf bank_mask:0xf
	v_cndmask_b32_e64 v43, v43, 0, s[8:9]
	v_add_u32_e32 v4, v4, v43
	s_nop 1
	v_mov_b32_dpp v43, v4 row_bcast:31 row_mask:0xf bank_mask:0xf
	v_cndmask_b32_e64 v43, 0, v43, s[10:11]
	v_add_u32_e32 v4, v4, v43
	s_and_saveexec_b64 s[26:27], s[12:13]
; %bb.28:                               ;   in Loop: Header=BB158_19 Depth=1
	ds_write_b32 v32, v4
; %bb.29:                               ;   in Loop: Header=BB158_19 Depth=1
	s_or_b64 exec, exec, s[26:27]
	s_waitcnt lgkmcnt(0)
	s_barrier
	s_and_saveexec_b64 s[26:27], s[14:15]
	s_cbranch_execz .LBB158_31
; %bb.30:                               ;   in Loop: Header=BB158_19 Depth=1
	ds_read_b32 v43, v34
	s_waitcnt lgkmcnt(0)
	s_nop 0
	v_mov_b32_dpp v44, v43 row_shr:1 row_mask:0xf bank_mask:0xf
	v_cndmask_b32_e64 v44, v44, 0, s[22:23]
	v_add_u32_e32 v43, v44, v43
	s_nop 1
	v_mov_b32_dpp v44, v43 row_shr:2 row_mask:0xf bank_mask:0xf
	v_cndmask_b32_e64 v44, 0, v44, s[24:25]
	v_add_u32_e32 v43, v43, v44
	ds_write_b32 v34, v43
.LBB158_31:                             ;   in Loop: Header=BB158_19 Depth=1
	s_or_b64 exec, exec, s[26:27]
	v_mov_b32_e32 v46, 0
	s_waitcnt lgkmcnt(0)
	s_barrier
	s_and_saveexec_b64 s[26:27], s[16:17]
; %bb.32:                               ;   in Loop: Header=BB158_19 Depth=1
	ds_read_b32 v46, v33
; %bb.33:                               ;   in Loop: Header=BB158_19 Depth=1
	s_or_b64 exec, exec, s[26:27]
	s_waitcnt lgkmcnt(0)
	v_add_u32_e32 v4, v46, v4
	ds_bpermute_b32 v4, v31, v4
	s_add_i32 s34, s34, 8
	v_mov_b32_e32 v43, v30
	v_lshrrev_b32_e32 v44, 8, v30
	s_cmp_ge_u32 s34, s36
	s_waitcnt lgkmcnt(0)
	v_cndmask_b32_e64 v4, v4, v46, s[18:19]
	v_cndmask_b32_e64 v46, v4, 0, s[20:21]
	v_add_u32_e32 v47, v46, v1
	v_add_u32_e32 v1, v47, v2
	;; [unrolled: 1-line block ×3, first 2 shown]
	ds_write2_b64 v28, v[46:47], v[1:2] offset0:2 offset1:3
	s_waitcnt lgkmcnt(0)
	s_barrier
	ds_read_b32 v1, v18 offset:16
	ds_read_b32 v2, v20 offset:16
	;; [unrolled: 1-line block ×4, first 2 shown]
	v_lshrrev_b32_e32 v46, 16, v30
	s_waitcnt lgkmcnt(3)
	v_add_u32_e32 v42, v1, v17
	s_waitcnt lgkmcnt(2)
	v_add3_u32 v23, v21, v19, v2
	s_waitcnt lgkmcnt(1)
	v_add3_u32 v2, v40, v22, v3
	v_mul_lo_u32 v40, v42, 7
	s_waitcnt lgkmcnt(0)
	v_add3_u32 v1, v45, v41, v4
	s_mov_b64 s[26:27], -1
	v_readfirstlane_b32 s40, v0
                                        ; implicit-def: $vgpr3_vgpr4
                                        ; implicit-def: $vgpr17_vgpr18
                                        ; implicit-def: $vgpr19_vgpr20
                                        ; implicit-def: $vgpr21_vgpr22
	s_cbranch_scc1 .LBB158_18
; %bb.34:                               ;   in Loop: Header=BB158_19 Depth=1
	s_barrier
	ds_write_b8 v42, v30
	ds_write_b8 v23, v44
	;; [unrolled: 1-line block ×4, first 2 shown]
	s_waitcnt lgkmcnt(0)
	s_barrier
	ds_read_u8 v3, v24
	ds_read_u8 v4, v25
	;; [unrolled: 1-line block ×4, first 2 shown]
	v_add_u32_e32 v20, v42, v40
	s_waitcnt lgkmcnt(0)
	s_barrier
	v_perm_b32 v3, v17, v3, s37
	v_perm_b32 v4, v4, v18, s37
	v_lshl_or_b32 v30, v4, 16, v3
	v_mad_u64_u32 v[3:4], s[26:27], v23, 7, v[23:24]
	s_add_i32 s40, s35, -8
	v_mad_u64_u32 v[17:18], s[26:27], v2, 7, v[2:3]
	v_mad_u64_u32 v[18:19], s[26:27], v1, 7, v[1:2]
	ds_write_b64 v20, v[11:12]
	ds_write_b64 v3, v[9:10]
	ds_write_b64 v17, v[7:8]
	ds_write_b64 v18, v[5:6]
	s_waitcnt lgkmcnt(0)
	s_barrier
	ds_read_b64 v[3:4], v35
	ds_read_b64 v[17:18], v36
	;; [unrolled: 1-line block ×4, first 2 shown]
	s_mov_b64 s[26:27], 0
	s_waitcnt lgkmcnt(0)
	s_barrier
	s_branch .LBB158_18
.LBB158_35:
	v_mad_u64_u32 v[3:4], s[0:1], v23, 7, v[23:24]
	s_barrier
	v_mad_u64_u32 v[13:14], s[0:1], v2, 7, v[2:3]
	ds_write_b8 v42, v43
	ds_write_b8 v23, v44
	;; [unrolled: 1-line block ×4, first 2 shown]
	v_add_u32_e32 v19, v42, v40
	v_mad_u64_u32 v[1:2], s[0:1], v1, 7, v[1:2]
	s_waitcnt lgkmcnt(0)
	s_barrier
	ds_read_u8 v15, v0
	ds_read_u8 v16, v0 offset:256
	ds_read_u8 v17, v0 offset:512
	ds_read_u8 v18, v0 offset:768
	s_waitcnt lgkmcnt(0)
	s_barrier
	ds_write_b64 v19, v[11:12]
	ds_write_b64 v3, v[9:10]
	;; [unrolled: 1-line block ×4, first 2 shown]
	v_mad_u32_u24 v1, v0, 7, v0
	s_waitcnt lgkmcnt(0)
	s_barrier
	ds_read2st64_b64 v[5:8], v1 offset1:4
	ds_read2st64_b64 v[1:4], v1 offset0:8 offset1:12
	s_add_u32 s0, s38, s28
	s_addc_u32 s1, s39, 0
	v_mov_b32_e32 v10, s1
	v_add_co_u32_e32 v9, vcc, s0, v0
	v_addc_co_u32_e32 v10, vcc, 0, v10, vcc
	v_xor_b32_e32 v15, 1, v15
	v_xor_b32_e32 v14, 1, v16
	;; [unrolled: 1-line block ×4, first 2 shown]
	s_andn2_b64 vcc, exec, s[30:31]
	v_lshlrev_b32_e32 v11, 3, v0
	s_cbranch_vccnz .LBB158_37
; %bb.36:
	s_lshl_b64 s[0:1], s[28:29], 3
	s_add_u32 s0, s42, s0
	s_addc_u32 s1, s43, s1
	v_mov_b32_e32 v16, s1
	v_add_co_u32_e32 v17, vcc, s0, v11
	v_addc_co_u32_e32 v18, vcc, 0, v16, vcc
	v_add_co_u32_e32 v16, vcc, 0x1000, v17
	global_store_byte v[9:10], v15, off
	global_store_byte v[9:10], v14, off offset:256
	global_store_byte v[9:10], v13, off offset:512
	;; [unrolled: 1-line block ×3, first 2 shown]
	s_waitcnt lgkmcnt(1)
	global_store_dwordx2 v11, v[5:6], s[0:1]
	global_store_dwordx2 v11, v[7:8], s[0:1] offset:2048
	v_addc_co_u32_e32 v17, vcc, 0, v18, vcc
	s_mov_b64 s[6:7], -1
	s_waitcnt lgkmcnt(0)
	global_store_dwordx2 v[16:17], v[1:2], off
	s_cbranch_execz .LBB158_38
	s_branch .LBB158_51
.LBB158_37:
	s_mov_b64 s[6:7], 0
.LBB158_38:
	v_cmp_gt_u32_e32 vcc, s33, v0
	s_and_saveexec_b64 s[0:1], vcc
	s_cbranch_execz .LBB158_40
; %bb.39:
	global_store_byte v[9:10], v15, off
.LBB158_40:
	s_or_b64 exec, exec, s[0:1]
	v_or_b32_e32 v15, 0x100, v0
	v_cmp_gt_u32_e64 s[0:1], s33, v15
	s_and_saveexec_b64 s[2:3], s[0:1]
	s_cbranch_execz .LBB158_42
; %bb.41:
	global_store_byte v[9:10], v14, off offset:256
.LBB158_42:
	s_or_b64 exec, exec, s[2:3]
	v_or_b32_e32 v14, 0x200, v0
	v_cmp_gt_u32_e64 s[2:3], s33, v14
	s_and_saveexec_b64 s[4:5], s[2:3]
	s_cbranch_execz .LBB158_44
; %bb.43:
	global_store_byte v[9:10], v13, off offset:512
.LBB158_44:
	;; [unrolled: 8-line block ×3, first 2 shown]
	s_or_b64 exec, exec, s[4:5]
	s_lshl_b64 s[4:5], s[28:29], 3
	s_add_u32 s4, s42, s4
	s_addc_u32 s5, s43, s5
	v_mov_b32_e32 v0, s5
	v_add_co_u32_e64 v9, s[4:5], s4, v11
	v_addc_co_u32_e64 v10, s[4:5], 0, v0, s[4:5]
	s_and_saveexec_b64 s[4:5], vcc
	s_cbranch_execnz .LBB158_57
; %bb.47:
	s_or_b64 exec, exec, s[4:5]
	s_and_saveexec_b64 s[4:5], s[0:1]
	s_cbranch_execnz .LBB158_58
.LBB158_48:
	s_or_b64 exec, exec, s[4:5]
	s_and_saveexec_b64 s[0:1], s[2:3]
	s_cbranch_execz .LBB158_50
.LBB158_49:
	s_waitcnt lgkmcnt(1)
	v_add_co_u32_e32 v5, vcc, 0x1000, v9
	v_addc_co_u32_e32 v6, vcc, 0, v10, vcc
	s_waitcnt lgkmcnt(0)
	global_store_dwordx2 v[5:6], v[1:2], off
.LBB158_50:
	s_or_b64 exec, exec, s[0:1]
.LBB158_51:
	s_and_saveexec_b64 s[0:1], s[6:7]
	s_cbranch_execnz .LBB158_53
; %bb.52:
	s_endpgm
.LBB158_53:
	s_lshl_b64 s[0:1], s[28:29], 3
	s_add_u32 s0, s42, s0
	s_addc_u32 s1, s43, s1
	v_mov_b32_e32 v0, s1
	s_waitcnt lgkmcnt(0)
	v_add_co_u32_e32 v1, vcc, s0, v11
	v_addc_co_u32_e32 v2, vcc, 0, v0, vcc
	v_add_co_u32_e32 v0, vcc, 0x1000, v1
	v_addc_co_u32_e32 v1, vcc, 0, v2, vcc
	global_store_dwordx2 v[0:1], v[3:4], off offset:2048
	s_endpgm
.LBB158_54:
	global_load_dwordx2 v[3:4], v[5:6], off
	s_or_b64 exec, exec, s[8:9]
                                        ; implicit-def: $vgpr17_vgpr18
	s_and_saveexec_b64 s[8:9], s[0:1]
	s_cbranch_execz .LBB158_13
.LBB158_55:
	global_load_dwordx2 v[17:18], v[5:6], off offset:512
	s_or_b64 exec, exec, s[8:9]
                                        ; implicit-def: $vgpr19_vgpr20
	s_and_saveexec_b64 s[0:1], s[2:3]
	s_cbranch_execz .LBB158_14
.LBB158_56:
	global_load_dwordx2 v[19:20], v[5:6], off offset:1024
	s_or_b64 exec, exec, s[0:1]
                                        ; implicit-def: $vgpr21_vgpr22
	s_and_saveexec_b64 s[0:1], s[6:7]
	s_cbranch_execnz .LBB158_15
	s_branch .LBB158_16
.LBB158_57:
	s_waitcnt lgkmcnt(1)
	global_store_dwordx2 v[9:10], v[5:6], off
	s_or_b64 exec, exec, s[4:5]
	s_and_saveexec_b64 s[4:5], s[0:1]
	s_cbranch_execz .LBB158_48
.LBB158_58:
	s_waitcnt lgkmcnt(1)
	global_store_dwordx2 v[9:10], v[7:8], off offset:2048
	s_or_b64 exec, exec, s[4:5]
	s_and_saveexec_b64 s[0:1], s[2:3]
	s_cbranch_execnz .LBB158_49
	s_branch .LBB158_50
	.section	.rodata,"a",@progbits
	.p2align	6, 0x0
	.amdhsa_kernel _ZN7rocprim17ROCPRIM_304000_NS6detail28radix_sort_block_sort_kernelINS1_36wrapped_radix_sort_block_sort_configINS0_13kernel_configILj256ELj4ELj4294967295EEEbN2at4cuda3cub6detail10OpaqueTypeILi8EEEEELb1EPKbPbPKSB_PSB_NS0_19identity_decomposerEEEvT1_T2_T3_T4_jT5_jj
		.amdhsa_group_segment_fixed_size 8192
		.amdhsa_private_segment_fixed_size 0
		.amdhsa_kernarg_size 304
		.amdhsa_user_sgpr_count 6
		.amdhsa_user_sgpr_private_segment_buffer 1
		.amdhsa_user_sgpr_dispatch_ptr 0
		.amdhsa_user_sgpr_queue_ptr 0
		.amdhsa_user_sgpr_kernarg_segment_ptr 1
		.amdhsa_user_sgpr_dispatch_id 0
		.amdhsa_user_sgpr_flat_scratch_init 0
		.amdhsa_user_sgpr_private_segment_size 0
		.amdhsa_uses_dynamic_stack 0
		.amdhsa_system_sgpr_private_segment_wavefront_offset 0
		.amdhsa_system_sgpr_workgroup_id_x 1
		.amdhsa_system_sgpr_workgroup_id_y 0
		.amdhsa_system_sgpr_workgroup_id_z 0
		.amdhsa_system_sgpr_workgroup_info 0
		.amdhsa_system_vgpr_workitem_id 2
		.amdhsa_next_free_vgpr 48
		.amdhsa_next_free_sgpr 61
		.amdhsa_reserve_vcc 1
		.amdhsa_reserve_flat_scratch 0
		.amdhsa_float_round_mode_32 0
		.amdhsa_float_round_mode_16_64 0
		.amdhsa_float_denorm_mode_32 3
		.amdhsa_float_denorm_mode_16_64 3
		.amdhsa_dx10_clamp 1
		.amdhsa_ieee_mode 1
		.amdhsa_fp16_overflow 0
		.amdhsa_exception_fp_ieee_invalid_op 0
		.amdhsa_exception_fp_denorm_src 0
		.amdhsa_exception_fp_ieee_div_zero 0
		.amdhsa_exception_fp_ieee_overflow 0
		.amdhsa_exception_fp_ieee_underflow 0
		.amdhsa_exception_fp_ieee_inexact 0
		.amdhsa_exception_int_div_zero 0
	.end_amdhsa_kernel
	.section	.text._ZN7rocprim17ROCPRIM_304000_NS6detail28radix_sort_block_sort_kernelINS1_36wrapped_radix_sort_block_sort_configINS0_13kernel_configILj256ELj4ELj4294967295EEEbN2at4cuda3cub6detail10OpaqueTypeILi8EEEEELb1EPKbPbPKSB_PSB_NS0_19identity_decomposerEEEvT1_T2_T3_T4_jT5_jj,"axG",@progbits,_ZN7rocprim17ROCPRIM_304000_NS6detail28radix_sort_block_sort_kernelINS1_36wrapped_radix_sort_block_sort_configINS0_13kernel_configILj256ELj4ELj4294967295EEEbN2at4cuda3cub6detail10OpaqueTypeILi8EEEEELb1EPKbPbPKSB_PSB_NS0_19identity_decomposerEEEvT1_T2_T3_T4_jT5_jj,comdat
.Lfunc_end158:
	.size	_ZN7rocprim17ROCPRIM_304000_NS6detail28radix_sort_block_sort_kernelINS1_36wrapped_radix_sort_block_sort_configINS0_13kernel_configILj256ELj4ELj4294967295EEEbN2at4cuda3cub6detail10OpaqueTypeILi8EEEEELb1EPKbPbPKSB_PSB_NS0_19identity_decomposerEEEvT1_T2_T3_T4_jT5_jj, .Lfunc_end158-_ZN7rocprim17ROCPRIM_304000_NS6detail28radix_sort_block_sort_kernelINS1_36wrapped_radix_sort_block_sort_configINS0_13kernel_configILj256ELj4ELj4294967295EEEbN2at4cuda3cub6detail10OpaqueTypeILi8EEEEELb1EPKbPbPKSB_PSB_NS0_19identity_decomposerEEEvT1_T2_T3_T4_jT5_jj
                                        ; -- End function
	.set _ZN7rocprim17ROCPRIM_304000_NS6detail28radix_sort_block_sort_kernelINS1_36wrapped_radix_sort_block_sort_configINS0_13kernel_configILj256ELj4ELj4294967295EEEbN2at4cuda3cub6detail10OpaqueTypeILi8EEEEELb1EPKbPbPKSB_PSB_NS0_19identity_decomposerEEEvT1_T2_T3_T4_jT5_jj.num_vgpr, 48
	.set _ZN7rocprim17ROCPRIM_304000_NS6detail28radix_sort_block_sort_kernelINS1_36wrapped_radix_sort_block_sort_configINS0_13kernel_configILj256ELj4ELj4294967295EEEbN2at4cuda3cub6detail10OpaqueTypeILi8EEEEELb1EPKbPbPKSB_PSB_NS0_19identity_decomposerEEEvT1_T2_T3_T4_jT5_jj.num_agpr, 0
	.set _ZN7rocprim17ROCPRIM_304000_NS6detail28radix_sort_block_sort_kernelINS1_36wrapped_radix_sort_block_sort_configINS0_13kernel_configILj256ELj4ELj4294967295EEEbN2at4cuda3cub6detail10OpaqueTypeILi8EEEEELb1EPKbPbPKSB_PSB_NS0_19identity_decomposerEEEvT1_T2_T3_T4_jT5_jj.numbered_sgpr, 46
	.set _ZN7rocprim17ROCPRIM_304000_NS6detail28radix_sort_block_sort_kernelINS1_36wrapped_radix_sort_block_sort_configINS0_13kernel_configILj256ELj4ELj4294967295EEEbN2at4cuda3cub6detail10OpaqueTypeILi8EEEEELb1EPKbPbPKSB_PSB_NS0_19identity_decomposerEEEvT1_T2_T3_T4_jT5_jj.num_named_barrier, 0
	.set _ZN7rocprim17ROCPRIM_304000_NS6detail28radix_sort_block_sort_kernelINS1_36wrapped_radix_sort_block_sort_configINS0_13kernel_configILj256ELj4ELj4294967295EEEbN2at4cuda3cub6detail10OpaqueTypeILi8EEEEELb1EPKbPbPKSB_PSB_NS0_19identity_decomposerEEEvT1_T2_T3_T4_jT5_jj.private_seg_size, 0
	.set _ZN7rocprim17ROCPRIM_304000_NS6detail28radix_sort_block_sort_kernelINS1_36wrapped_radix_sort_block_sort_configINS0_13kernel_configILj256ELj4ELj4294967295EEEbN2at4cuda3cub6detail10OpaqueTypeILi8EEEEELb1EPKbPbPKSB_PSB_NS0_19identity_decomposerEEEvT1_T2_T3_T4_jT5_jj.uses_vcc, 1
	.set _ZN7rocprim17ROCPRIM_304000_NS6detail28radix_sort_block_sort_kernelINS1_36wrapped_radix_sort_block_sort_configINS0_13kernel_configILj256ELj4ELj4294967295EEEbN2at4cuda3cub6detail10OpaqueTypeILi8EEEEELb1EPKbPbPKSB_PSB_NS0_19identity_decomposerEEEvT1_T2_T3_T4_jT5_jj.uses_flat_scratch, 0
	.set _ZN7rocprim17ROCPRIM_304000_NS6detail28radix_sort_block_sort_kernelINS1_36wrapped_radix_sort_block_sort_configINS0_13kernel_configILj256ELj4ELj4294967295EEEbN2at4cuda3cub6detail10OpaqueTypeILi8EEEEELb1EPKbPbPKSB_PSB_NS0_19identity_decomposerEEEvT1_T2_T3_T4_jT5_jj.has_dyn_sized_stack, 0
	.set _ZN7rocprim17ROCPRIM_304000_NS6detail28radix_sort_block_sort_kernelINS1_36wrapped_radix_sort_block_sort_configINS0_13kernel_configILj256ELj4ELj4294967295EEEbN2at4cuda3cub6detail10OpaqueTypeILi8EEEEELb1EPKbPbPKSB_PSB_NS0_19identity_decomposerEEEvT1_T2_T3_T4_jT5_jj.has_recursion, 0
	.set _ZN7rocprim17ROCPRIM_304000_NS6detail28radix_sort_block_sort_kernelINS1_36wrapped_radix_sort_block_sort_configINS0_13kernel_configILj256ELj4ELj4294967295EEEbN2at4cuda3cub6detail10OpaqueTypeILi8EEEEELb1EPKbPbPKSB_PSB_NS0_19identity_decomposerEEEvT1_T2_T3_T4_jT5_jj.has_indirect_call, 0
	.section	.AMDGPU.csdata,"",@progbits
; Kernel info:
; codeLenInByte = 3036
; TotalNumSgprs: 50
; NumVgprs: 48
; ScratchSize: 0
; MemoryBound: 0
; FloatMode: 240
; IeeeMode: 1
; LDSByteSize: 8192 bytes/workgroup (compile time only)
; SGPRBlocks: 8
; VGPRBlocks: 11
; NumSGPRsForWavesPerEU: 65
; NumVGPRsForWavesPerEU: 48
; Occupancy: 5
; WaveLimiterHint : 1
; COMPUTE_PGM_RSRC2:SCRATCH_EN: 0
; COMPUTE_PGM_RSRC2:USER_SGPR: 6
; COMPUTE_PGM_RSRC2:TRAP_HANDLER: 0
; COMPUTE_PGM_RSRC2:TGID_X_EN: 1
; COMPUTE_PGM_RSRC2:TGID_Y_EN: 0
; COMPUTE_PGM_RSRC2:TGID_Z_EN: 0
; COMPUTE_PGM_RSRC2:TIDIG_COMP_CNT: 2
	.section	.text._ZN7rocprim17ROCPRIM_304000_NS6detail39device_merge_sort_compile_time_verifierINS1_36wrapped_merge_sort_block_sort_configINS1_28merge_sort_block_sort_configILj256ELj4ELNS0_20block_sort_algorithmE0EEEbN2at4cuda3cub6detail10OpaqueTypeILi8EEEEENS1_37wrapped_merge_sort_block_merge_configINS0_14default_configEbSC_EEEEvv,"axG",@progbits,_ZN7rocprim17ROCPRIM_304000_NS6detail39device_merge_sort_compile_time_verifierINS1_36wrapped_merge_sort_block_sort_configINS1_28merge_sort_block_sort_configILj256ELj4ELNS0_20block_sort_algorithmE0EEEbN2at4cuda3cub6detail10OpaqueTypeILi8EEEEENS1_37wrapped_merge_sort_block_merge_configINS0_14default_configEbSC_EEEEvv,comdat
	.protected	_ZN7rocprim17ROCPRIM_304000_NS6detail39device_merge_sort_compile_time_verifierINS1_36wrapped_merge_sort_block_sort_configINS1_28merge_sort_block_sort_configILj256ELj4ELNS0_20block_sort_algorithmE0EEEbN2at4cuda3cub6detail10OpaqueTypeILi8EEEEENS1_37wrapped_merge_sort_block_merge_configINS0_14default_configEbSC_EEEEvv ; -- Begin function _ZN7rocprim17ROCPRIM_304000_NS6detail39device_merge_sort_compile_time_verifierINS1_36wrapped_merge_sort_block_sort_configINS1_28merge_sort_block_sort_configILj256ELj4ELNS0_20block_sort_algorithmE0EEEbN2at4cuda3cub6detail10OpaqueTypeILi8EEEEENS1_37wrapped_merge_sort_block_merge_configINS0_14default_configEbSC_EEEEvv
	.globl	_ZN7rocprim17ROCPRIM_304000_NS6detail39device_merge_sort_compile_time_verifierINS1_36wrapped_merge_sort_block_sort_configINS1_28merge_sort_block_sort_configILj256ELj4ELNS0_20block_sort_algorithmE0EEEbN2at4cuda3cub6detail10OpaqueTypeILi8EEEEENS1_37wrapped_merge_sort_block_merge_configINS0_14default_configEbSC_EEEEvv
	.p2align	8
	.type	_ZN7rocprim17ROCPRIM_304000_NS6detail39device_merge_sort_compile_time_verifierINS1_36wrapped_merge_sort_block_sort_configINS1_28merge_sort_block_sort_configILj256ELj4ELNS0_20block_sort_algorithmE0EEEbN2at4cuda3cub6detail10OpaqueTypeILi8EEEEENS1_37wrapped_merge_sort_block_merge_configINS0_14default_configEbSC_EEEEvv,@function
_ZN7rocprim17ROCPRIM_304000_NS6detail39device_merge_sort_compile_time_verifierINS1_36wrapped_merge_sort_block_sort_configINS1_28merge_sort_block_sort_configILj256ELj4ELNS0_20block_sort_algorithmE0EEEbN2at4cuda3cub6detail10OpaqueTypeILi8EEEEENS1_37wrapped_merge_sort_block_merge_configINS0_14default_configEbSC_EEEEvv: ; @_ZN7rocprim17ROCPRIM_304000_NS6detail39device_merge_sort_compile_time_verifierINS1_36wrapped_merge_sort_block_sort_configINS1_28merge_sort_block_sort_configILj256ELj4ELNS0_20block_sort_algorithmE0EEEbN2at4cuda3cub6detail10OpaqueTypeILi8EEEEENS1_37wrapped_merge_sort_block_merge_configINS0_14default_configEbSC_EEEEvv
; %bb.0:
	s_endpgm
	.section	.rodata,"a",@progbits
	.p2align	6, 0x0
	.amdhsa_kernel _ZN7rocprim17ROCPRIM_304000_NS6detail39device_merge_sort_compile_time_verifierINS1_36wrapped_merge_sort_block_sort_configINS1_28merge_sort_block_sort_configILj256ELj4ELNS0_20block_sort_algorithmE0EEEbN2at4cuda3cub6detail10OpaqueTypeILi8EEEEENS1_37wrapped_merge_sort_block_merge_configINS0_14default_configEbSC_EEEEvv
		.amdhsa_group_segment_fixed_size 0
		.amdhsa_private_segment_fixed_size 0
		.amdhsa_kernarg_size 0
		.amdhsa_user_sgpr_count 4
		.amdhsa_user_sgpr_private_segment_buffer 1
		.amdhsa_user_sgpr_dispatch_ptr 0
		.amdhsa_user_sgpr_queue_ptr 0
		.amdhsa_user_sgpr_kernarg_segment_ptr 0
		.amdhsa_user_sgpr_dispatch_id 0
		.amdhsa_user_sgpr_flat_scratch_init 0
		.amdhsa_user_sgpr_private_segment_size 0
		.amdhsa_uses_dynamic_stack 0
		.amdhsa_system_sgpr_private_segment_wavefront_offset 0
		.amdhsa_system_sgpr_workgroup_id_x 1
		.amdhsa_system_sgpr_workgroup_id_y 0
		.amdhsa_system_sgpr_workgroup_id_z 0
		.amdhsa_system_sgpr_workgroup_info 0
		.amdhsa_system_vgpr_workitem_id 0
		.amdhsa_next_free_vgpr 1
		.amdhsa_next_free_sgpr 0
		.amdhsa_reserve_vcc 0
		.amdhsa_reserve_flat_scratch 0
		.amdhsa_float_round_mode_32 0
		.amdhsa_float_round_mode_16_64 0
		.amdhsa_float_denorm_mode_32 3
		.amdhsa_float_denorm_mode_16_64 3
		.amdhsa_dx10_clamp 1
		.amdhsa_ieee_mode 1
		.amdhsa_fp16_overflow 0
		.amdhsa_exception_fp_ieee_invalid_op 0
		.amdhsa_exception_fp_denorm_src 0
		.amdhsa_exception_fp_ieee_div_zero 0
		.amdhsa_exception_fp_ieee_overflow 0
		.amdhsa_exception_fp_ieee_underflow 0
		.amdhsa_exception_fp_ieee_inexact 0
		.amdhsa_exception_int_div_zero 0
	.end_amdhsa_kernel
	.section	.text._ZN7rocprim17ROCPRIM_304000_NS6detail39device_merge_sort_compile_time_verifierINS1_36wrapped_merge_sort_block_sort_configINS1_28merge_sort_block_sort_configILj256ELj4ELNS0_20block_sort_algorithmE0EEEbN2at4cuda3cub6detail10OpaqueTypeILi8EEEEENS1_37wrapped_merge_sort_block_merge_configINS0_14default_configEbSC_EEEEvv,"axG",@progbits,_ZN7rocprim17ROCPRIM_304000_NS6detail39device_merge_sort_compile_time_verifierINS1_36wrapped_merge_sort_block_sort_configINS1_28merge_sort_block_sort_configILj256ELj4ELNS0_20block_sort_algorithmE0EEEbN2at4cuda3cub6detail10OpaqueTypeILi8EEEEENS1_37wrapped_merge_sort_block_merge_configINS0_14default_configEbSC_EEEEvv,comdat
.Lfunc_end159:
	.size	_ZN7rocprim17ROCPRIM_304000_NS6detail39device_merge_sort_compile_time_verifierINS1_36wrapped_merge_sort_block_sort_configINS1_28merge_sort_block_sort_configILj256ELj4ELNS0_20block_sort_algorithmE0EEEbN2at4cuda3cub6detail10OpaqueTypeILi8EEEEENS1_37wrapped_merge_sort_block_merge_configINS0_14default_configEbSC_EEEEvv, .Lfunc_end159-_ZN7rocprim17ROCPRIM_304000_NS6detail39device_merge_sort_compile_time_verifierINS1_36wrapped_merge_sort_block_sort_configINS1_28merge_sort_block_sort_configILj256ELj4ELNS0_20block_sort_algorithmE0EEEbN2at4cuda3cub6detail10OpaqueTypeILi8EEEEENS1_37wrapped_merge_sort_block_merge_configINS0_14default_configEbSC_EEEEvv
                                        ; -- End function
	.set _ZN7rocprim17ROCPRIM_304000_NS6detail39device_merge_sort_compile_time_verifierINS1_36wrapped_merge_sort_block_sort_configINS1_28merge_sort_block_sort_configILj256ELj4ELNS0_20block_sort_algorithmE0EEEbN2at4cuda3cub6detail10OpaqueTypeILi8EEEEENS1_37wrapped_merge_sort_block_merge_configINS0_14default_configEbSC_EEEEvv.num_vgpr, 0
	.set _ZN7rocprim17ROCPRIM_304000_NS6detail39device_merge_sort_compile_time_verifierINS1_36wrapped_merge_sort_block_sort_configINS1_28merge_sort_block_sort_configILj256ELj4ELNS0_20block_sort_algorithmE0EEEbN2at4cuda3cub6detail10OpaqueTypeILi8EEEEENS1_37wrapped_merge_sort_block_merge_configINS0_14default_configEbSC_EEEEvv.num_agpr, 0
	.set _ZN7rocprim17ROCPRIM_304000_NS6detail39device_merge_sort_compile_time_verifierINS1_36wrapped_merge_sort_block_sort_configINS1_28merge_sort_block_sort_configILj256ELj4ELNS0_20block_sort_algorithmE0EEEbN2at4cuda3cub6detail10OpaqueTypeILi8EEEEENS1_37wrapped_merge_sort_block_merge_configINS0_14default_configEbSC_EEEEvv.numbered_sgpr, 0
	.set _ZN7rocprim17ROCPRIM_304000_NS6detail39device_merge_sort_compile_time_verifierINS1_36wrapped_merge_sort_block_sort_configINS1_28merge_sort_block_sort_configILj256ELj4ELNS0_20block_sort_algorithmE0EEEbN2at4cuda3cub6detail10OpaqueTypeILi8EEEEENS1_37wrapped_merge_sort_block_merge_configINS0_14default_configEbSC_EEEEvv.num_named_barrier, 0
	.set _ZN7rocprim17ROCPRIM_304000_NS6detail39device_merge_sort_compile_time_verifierINS1_36wrapped_merge_sort_block_sort_configINS1_28merge_sort_block_sort_configILj256ELj4ELNS0_20block_sort_algorithmE0EEEbN2at4cuda3cub6detail10OpaqueTypeILi8EEEEENS1_37wrapped_merge_sort_block_merge_configINS0_14default_configEbSC_EEEEvv.private_seg_size, 0
	.set _ZN7rocprim17ROCPRIM_304000_NS6detail39device_merge_sort_compile_time_verifierINS1_36wrapped_merge_sort_block_sort_configINS1_28merge_sort_block_sort_configILj256ELj4ELNS0_20block_sort_algorithmE0EEEbN2at4cuda3cub6detail10OpaqueTypeILi8EEEEENS1_37wrapped_merge_sort_block_merge_configINS0_14default_configEbSC_EEEEvv.uses_vcc, 0
	.set _ZN7rocprim17ROCPRIM_304000_NS6detail39device_merge_sort_compile_time_verifierINS1_36wrapped_merge_sort_block_sort_configINS1_28merge_sort_block_sort_configILj256ELj4ELNS0_20block_sort_algorithmE0EEEbN2at4cuda3cub6detail10OpaqueTypeILi8EEEEENS1_37wrapped_merge_sort_block_merge_configINS0_14default_configEbSC_EEEEvv.uses_flat_scratch, 0
	.set _ZN7rocprim17ROCPRIM_304000_NS6detail39device_merge_sort_compile_time_verifierINS1_36wrapped_merge_sort_block_sort_configINS1_28merge_sort_block_sort_configILj256ELj4ELNS0_20block_sort_algorithmE0EEEbN2at4cuda3cub6detail10OpaqueTypeILi8EEEEENS1_37wrapped_merge_sort_block_merge_configINS0_14default_configEbSC_EEEEvv.has_dyn_sized_stack, 0
	.set _ZN7rocprim17ROCPRIM_304000_NS6detail39device_merge_sort_compile_time_verifierINS1_36wrapped_merge_sort_block_sort_configINS1_28merge_sort_block_sort_configILj256ELj4ELNS0_20block_sort_algorithmE0EEEbN2at4cuda3cub6detail10OpaqueTypeILi8EEEEENS1_37wrapped_merge_sort_block_merge_configINS0_14default_configEbSC_EEEEvv.has_recursion, 0
	.set _ZN7rocprim17ROCPRIM_304000_NS6detail39device_merge_sort_compile_time_verifierINS1_36wrapped_merge_sort_block_sort_configINS1_28merge_sort_block_sort_configILj256ELj4ELNS0_20block_sort_algorithmE0EEEbN2at4cuda3cub6detail10OpaqueTypeILi8EEEEENS1_37wrapped_merge_sort_block_merge_configINS0_14default_configEbSC_EEEEvv.has_indirect_call, 0
	.section	.AMDGPU.csdata,"",@progbits
; Kernel info:
; codeLenInByte = 4
; TotalNumSgprs: 4
; NumVgprs: 0
; ScratchSize: 0
; MemoryBound: 0
; FloatMode: 240
; IeeeMode: 1
; LDSByteSize: 0 bytes/workgroup (compile time only)
; SGPRBlocks: 0
; VGPRBlocks: 0
; NumSGPRsForWavesPerEU: 4
; NumVGPRsForWavesPerEU: 1
; Occupancy: 10
; WaveLimiterHint : 0
; COMPUTE_PGM_RSRC2:SCRATCH_EN: 0
; COMPUTE_PGM_RSRC2:USER_SGPR: 4
; COMPUTE_PGM_RSRC2:TRAP_HANDLER: 0
; COMPUTE_PGM_RSRC2:TGID_X_EN: 1
; COMPUTE_PGM_RSRC2:TGID_Y_EN: 0
; COMPUTE_PGM_RSRC2:TGID_Z_EN: 0
; COMPUTE_PGM_RSRC2:TIDIG_COMP_CNT: 0
	.section	.text._ZN7rocprim17ROCPRIM_304000_NS6detail45device_block_merge_mergepath_partition_kernelINS1_37wrapped_merge_sort_block_merge_configINS0_14default_configEbN2at4cuda3cub6detail10OpaqueTypeILi8EEEEEPbjNS1_19radix_merge_compareILb1ELb0EbNS0_19identity_decomposerEEEEEvT0_T1_jPSH_T2_SH_,"axG",@progbits,_ZN7rocprim17ROCPRIM_304000_NS6detail45device_block_merge_mergepath_partition_kernelINS1_37wrapped_merge_sort_block_merge_configINS0_14default_configEbN2at4cuda3cub6detail10OpaqueTypeILi8EEEEEPbjNS1_19radix_merge_compareILb1ELb0EbNS0_19identity_decomposerEEEEEvT0_T1_jPSH_T2_SH_,comdat
	.protected	_ZN7rocprim17ROCPRIM_304000_NS6detail45device_block_merge_mergepath_partition_kernelINS1_37wrapped_merge_sort_block_merge_configINS0_14default_configEbN2at4cuda3cub6detail10OpaqueTypeILi8EEEEEPbjNS1_19radix_merge_compareILb1ELb0EbNS0_19identity_decomposerEEEEEvT0_T1_jPSH_T2_SH_ ; -- Begin function _ZN7rocprim17ROCPRIM_304000_NS6detail45device_block_merge_mergepath_partition_kernelINS1_37wrapped_merge_sort_block_merge_configINS0_14default_configEbN2at4cuda3cub6detail10OpaqueTypeILi8EEEEEPbjNS1_19radix_merge_compareILb1ELb0EbNS0_19identity_decomposerEEEEEvT0_T1_jPSH_T2_SH_
	.globl	_ZN7rocprim17ROCPRIM_304000_NS6detail45device_block_merge_mergepath_partition_kernelINS1_37wrapped_merge_sort_block_merge_configINS0_14default_configEbN2at4cuda3cub6detail10OpaqueTypeILi8EEEEEPbjNS1_19radix_merge_compareILb1ELb0EbNS0_19identity_decomposerEEEEEvT0_T1_jPSH_T2_SH_
	.p2align	8
	.type	_ZN7rocprim17ROCPRIM_304000_NS6detail45device_block_merge_mergepath_partition_kernelINS1_37wrapped_merge_sort_block_merge_configINS0_14default_configEbN2at4cuda3cub6detail10OpaqueTypeILi8EEEEEPbjNS1_19radix_merge_compareILb1ELb0EbNS0_19identity_decomposerEEEEEvT0_T1_jPSH_T2_SH_,@function
_ZN7rocprim17ROCPRIM_304000_NS6detail45device_block_merge_mergepath_partition_kernelINS1_37wrapped_merge_sort_block_merge_configINS0_14default_configEbN2at4cuda3cub6detail10OpaqueTypeILi8EEEEEPbjNS1_19radix_merge_compareILb1ELb0EbNS0_19identity_decomposerEEEEEvT0_T1_jPSH_T2_SH_: ; @_ZN7rocprim17ROCPRIM_304000_NS6detail45device_block_merge_mergepath_partition_kernelINS1_37wrapped_merge_sort_block_merge_configINS0_14default_configEbN2at4cuda3cub6detail10OpaqueTypeILi8EEEEEPbjNS1_19radix_merge_compareILb1ELb0EbNS0_19identity_decomposerEEEEEvT0_T1_jPSH_T2_SH_
; %bb.0:
	s_load_dwordx2 s[0:1], s[4:5], 0x8
	v_lshl_or_b32 v0, s6, 7, v0
	s_waitcnt lgkmcnt(0)
	v_cmp_gt_u32_e32 vcc, s1, v0
	s_and_saveexec_b64 s[2:3], vcc
	s_cbranch_execz .LBB160_6
; %bb.1:
	s_load_dword s1, s[4:5], 0x1c
	s_waitcnt lgkmcnt(0)
	s_lshr_b32 s2, s1, 9
	s_and_b32 s2, s2, 0x7ffffe
	s_add_i32 s3, s2, -1
	s_sub_i32 s2, 0, s2
	v_and_b32_e32 v1, s2, v0
	v_lshlrev_b32_e32 v3, 10, v1
	v_min_u32_e32 v1, s0, v3
	v_add_u32_e32 v3, s1, v3
	v_min_u32_e32 v7, s0, v3
	v_add_u32_e32 v3, s1, v7
	v_and_b32_e32 v2, s3, v0
	v_min_u32_e32 v4, s0, v3
	v_lshlrev_b32_e32 v2, 10, v2
	v_sub_u32_e32 v3, v4, v1
	v_min_u32_e32 v3, v3, v2
	v_sub_u32_e32 v5, v7, v1
	v_sub_u32_e32 v2, v4, v7
	v_sub_u32_e64 v2, v3, v2 clamp
	v_min_u32_e32 v4, v3, v5
	v_cmp_lt_u32_e32 vcc, v2, v4
	s_and_saveexec_b64 s[0:1], vcc
	s_cbranch_execz .LBB160_5
; %bb.2:
	s_load_dwordx2 s[2:3], s[4:5], 0x0
	s_waitcnt lgkmcnt(0)
	v_mov_b32_e32 v8, s3
	v_add_co_u32_e32 v5, vcc, s2, v1
	v_addc_co_u32_e32 v6, vcc, 0, v8, vcc
	v_add_co_u32_e32 v7, vcc, s2, v7
	v_addc_co_u32_e32 v8, vcc, 0, v8, vcc
	s_mov_b64 s[2:3], 0
.LBB160_3:                              ; =>This Inner Loop Header: Depth=1
	v_add_u32_e32 v9, v4, v2
	v_lshrrev_b32_e32 v13, 1, v9
	v_add_co_u32_e32 v9, vcc, v5, v13
	v_xad_u32 v11, v13, -1, v3
	v_addc_co_u32_e32 v10, vcc, 0, v6, vcc
	v_add_co_u32_e32 v11, vcc, v7, v11
	v_addc_co_u32_e32 v12, vcc, 0, v8, vcc
	global_load_ubyte v14, v[9:10], off
	global_load_ubyte v15, v[11:12], off
	v_add_u32_e32 v9, 1, v13
	s_waitcnt vmcnt(0)
	v_cmp_gt_u16_e32 vcc, v15, v14
	v_cndmask_b32_e32 v4, v4, v13, vcc
	v_cndmask_b32_e32 v2, v9, v2, vcc
	v_cmp_ge_u32_e32 vcc, v2, v4
	s_or_b64 s[2:3], vcc, s[2:3]
	s_andn2_b64 exec, exec, s[2:3]
	s_cbranch_execnz .LBB160_3
; %bb.4:
	s_or_b64 exec, exec, s[2:3]
.LBB160_5:
	s_or_b64 exec, exec, s[0:1]
	s_load_dwordx2 s[0:1], s[4:5], 0x10
	v_add_u32_e32 v2, v2, v1
	v_mov_b32_e32 v1, 0
	v_lshlrev_b64 v[0:1], 2, v[0:1]
	s_waitcnt lgkmcnt(0)
	v_mov_b32_e32 v3, s1
	v_add_co_u32_e32 v0, vcc, s0, v0
	v_addc_co_u32_e32 v1, vcc, v3, v1, vcc
	global_store_dword v[0:1], v2, off
.LBB160_6:
	s_endpgm
	.section	.rodata,"a",@progbits
	.p2align	6, 0x0
	.amdhsa_kernel _ZN7rocprim17ROCPRIM_304000_NS6detail45device_block_merge_mergepath_partition_kernelINS1_37wrapped_merge_sort_block_merge_configINS0_14default_configEbN2at4cuda3cub6detail10OpaqueTypeILi8EEEEEPbjNS1_19radix_merge_compareILb1ELb0EbNS0_19identity_decomposerEEEEEvT0_T1_jPSH_T2_SH_
		.amdhsa_group_segment_fixed_size 0
		.amdhsa_private_segment_fixed_size 0
		.amdhsa_kernarg_size 32
		.amdhsa_user_sgpr_count 6
		.amdhsa_user_sgpr_private_segment_buffer 1
		.amdhsa_user_sgpr_dispatch_ptr 0
		.amdhsa_user_sgpr_queue_ptr 0
		.amdhsa_user_sgpr_kernarg_segment_ptr 1
		.amdhsa_user_sgpr_dispatch_id 0
		.amdhsa_user_sgpr_flat_scratch_init 0
		.amdhsa_user_sgpr_private_segment_size 0
		.amdhsa_uses_dynamic_stack 0
		.amdhsa_system_sgpr_private_segment_wavefront_offset 0
		.amdhsa_system_sgpr_workgroup_id_x 1
		.amdhsa_system_sgpr_workgroup_id_y 0
		.amdhsa_system_sgpr_workgroup_id_z 0
		.amdhsa_system_sgpr_workgroup_info 0
		.amdhsa_system_vgpr_workitem_id 0
		.amdhsa_next_free_vgpr 16
		.amdhsa_next_free_sgpr 7
		.amdhsa_reserve_vcc 1
		.amdhsa_reserve_flat_scratch 0
		.amdhsa_float_round_mode_32 0
		.amdhsa_float_round_mode_16_64 0
		.amdhsa_float_denorm_mode_32 3
		.amdhsa_float_denorm_mode_16_64 3
		.amdhsa_dx10_clamp 1
		.amdhsa_ieee_mode 1
		.amdhsa_fp16_overflow 0
		.amdhsa_exception_fp_ieee_invalid_op 0
		.amdhsa_exception_fp_denorm_src 0
		.amdhsa_exception_fp_ieee_div_zero 0
		.amdhsa_exception_fp_ieee_overflow 0
		.amdhsa_exception_fp_ieee_underflow 0
		.amdhsa_exception_fp_ieee_inexact 0
		.amdhsa_exception_int_div_zero 0
	.end_amdhsa_kernel
	.section	.text._ZN7rocprim17ROCPRIM_304000_NS6detail45device_block_merge_mergepath_partition_kernelINS1_37wrapped_merge_sort_block_merge_configINS0_14default_configEbN2at4cuda3cub6detail10OpaqueTypeILi8EEEEEPbjNS1_19radix_merge_compareILb1ELb0EbNS0_19identity_decomposerEEEEEvT0_T1_jPSH_T2_SH_,"axG",@progbits,_ZN7rocprim17ROCPRIM_304000_NS6detail45device_block_merge_mergepath_partition_kernelINS1_37wrapped_merge_sort_block_merge_configINS0_14default_configEbN2at4cuda3cub6detail10OpaqueTypeILi8EEEEEPbjNS1_19radix_merge_compareILb1ELb0EbNS0_19identity_decomposerEEEEEvT0_T1_jPSH_T2_SH_,comdat
.Lfunc_end160:
	.size	_ZN7rocprim17ROCPRIM_304000_NS6detail45device_block_merge_mergepath_partition_kernelINS1_37wrapped_merge_sort_block_merge_configINS0_14default_configEbN2at4cuda3cub6detail10OpaqueTypeILi8EEEEEPbjNS1_19radix_merge_compareILb1ELb0EbNS0_19identity_decomposerEEEEEvT0_T1_jPSH_T2_SH_, .Lfunc_end160-_ZN7rocprim17ROCPRIM_304000_NS6detail45device_block_merge_mergepath_partition_kernelINS1_37wrapped_merge_sort_block_merge_configINS0_14default_configEbN2at4cuda3cub6detail10OpaqueTypeILi8EEEEEPbjNS1_19radix_merge_compareILb1ELb0EbNS0_19identity_decomposerEEEEEvT0_T1_jPSH_T2_SH_
                                        ; -- End function
	.set _ZN7rocprim17ROCPRIM_304000_NS6detail45device_block_merge_mergepath_partition_kernelINS1_37wrapped_merge_sort_block_merge_configINS0_14default_configEbN2at4cuda3cub6detail10OpaqueTypeILi8EEEEEPbjNS1_19radix_merge_compareILb1ELb0EbNS0_19identity_decomposerEEEEEvT0_T1_jPSH_T2_SH_.num_vgpr, 16
	.set _ZN7rocprim17ROCPRIM_304000_NS6detail45device_block_merge_mergepath_partition_kernelINS1_37wrapped_merge_sort_block_merge_configINS0_14default_configEbN2at4cuda3cub6detail10OpaqueTypeILi8EEEEEPbjNS1_19radix_merge_compareILb1ELb0EbNS0_19identity_decomposerEEEEEvT0_T1_jPSH_T2_SH_.num_agpr, 0
	.set _ZN7rocprim17ROCPRIM_304000_NS6detail45device_block_merge_mergepath_partition_kernelINS1_37wrapped_merge_sort_block_merge_configINS0_14default_configEbN2at4cuda3cub6detail10OpaqueTypeILi8EEEEEPbjNS1_19radix_merge_compareILb1ELb0EbNS0_19identity_decomposerEEEEEvT0_T1_jPSH_T2_SH_.numbered_sgpr, 7
	.set _ZN7rocprim17ROCPRIM_304000_NS6detail45device_block_merge_mergepath_partition_kernelINS1_37wrapped_merge_sort_block_merge_configINS0_14default_configEbN2at4cuda3cub6detail10OpaqueTypeILi8EEEEEPbjNS1_19radix_merge_compareILb1ELb0EbNS0_19identity_decomposerEEEEEvT0_T1_jPSH_T2_SH_.num_named_barrier, 0
	.set _ZN7rocprim17ROCPRIM_304000_NS6detail45device_block_merge_mergepath_partition_kernelINS1_37wrapped_merge_sort_block_merge_configINS0_14default_configEbN2at4cuda3cub6detail10OpaqueTypeILi8EEEEEPbjNS1_19radix_merge_compareILb1ELb0EbNS0_19identity_decomposerEEEEEvT0_T1_jPSH_T2_SH_.private_seg_size, 0
	.set _ZN7rocprim17ROCPRIM_304000_NS6detail45device_block_merge_mergepath_partition_kernelINS1_37wrapped_merge_sort_block_merge_configINS0_14default_configEbN2at4cuda3cub6detail10OpaqueTypeILi8EEEEEPbjNS1_19radix_merge_compareILb1ELb0EbNS0_19identity_decomposerEEEEEvT0_T1_jPSH_T2_SH_.uses_vcc, 1
	.set _ZN7rocprim17ROCPRIM_304000_NS6detail45device_block_merge_mergepath_partition_kernelINS1_37wrapped_merge_sort_block_merge_configINS0_14default_configEbN2at4cuda3cub6detail10OpaqueTypeILi8EEEEEPbjNS1_19radix_merge_compareILb1ELb0EbNS0_19identity_decomposerEEEEEvT0_T1_jPSH_T2_SH_.uses_flat_scratch, 0
	.set _ZN7rocprim17ROCPRIM_304000_NS6detail45device_block_merge_mergepath_partition_kernelINS1_37wrapped_merge_sort_block_merge_configINS0_14default_configEbN2at4cuda3cub6detail10OpaqueTypeILi8EEEEEPbjNS1_19radix_merge_compareILb1ELb0EbNS0_19identity_decomposerEEEEEvT0_T1_jPSH_T2_SH_.has_dyn_sized_stack, 0
	.set _ZN7rocprim17ROCPRIM_304000_NS6detail45device_block_merge_mergepath_partition_kernelINS1_37wrapped_merge_sort_block_merge_configINS0_14default_configEbN2at4cuda3cub6detail10OpaqueTypeILi8EEEEEPbjNS1_19radix_merge_compareILb1ELb0EbNS0_19identity_decomposerEEEEEvT0_T1_jPSH_T2_SH_.has_recursion, 0
	.set _ZN7rocprim17ROCPRIM_304000_NS6detail45device_block_merge_mergepath_partition_kernelINS1_37wrapped_merge_sort_block_merge_configINS0_14default_configEbN2at4cuda3cub6detail10OpaqueTypeILi8EEEEEPbjNS1_19radix_merge_compareILb1ELb0EbNS0_19identity_decomposerEEEEEvT0_T1_jPSH_T2_SH_.has_indirect_call, 0
	.section	.AMDGPU.csdata,"",@progbits
; Kernel info:
; codeLenInByte = 320
; TotalNumSgprs: 11
; NumVgprs: 16
; ScratchSize: 0
; MemoryBound: 0
; FloatMode: 240
; IeeeMode: 1
; LDSByteSize: 0 bytes/workgroup (compile time only)
; SGPRBlocks: 1
; VGPRBlocks: 3
; NumSGPRsForWavesPerEU: 11
; NumVGPRsForWavesPerEU: 16
; Occupancy: 10
; WaveLimiterHint : 0
; COMPUTE_PGM_RSRC2:SCRATCH_EN: 0
; COMPUTE_PGM_RSRC2:USER_SGPR: 6
; COMPUTE_PGM_RSRC2:TRAP_HANDLER: 0
; COMPUTE_PGM_RSRC2:TGID_X_EN: 1
; COMPUTE_PGM_RSRC2:TGID_Y_EN: 0
; COMPUTE_PGM_RSRC2:TGID_Z_EN: 0
; COMPUTE_PGM_RSRC2:TIDIG_COMP_CNT: 0
	.section	.text._ZN7rocprim17ROCPRIM_304000_NS6detail35device_block_merge_mergepath_kernelINS1_37wrapped_merge_sort_block_merge_configINS0_14default_configEbN2at4cuda3cub6detail10OpaqueTypeILi8EEEEEPbSC_PSA_SD_jNS1_19radix_merge_compareILb1ELb0EbNS0_19identity_decomposerEEEEEvT0_T1_T2_T3_T4_SL_jT5_PKSL_NS1_7vsmem_tE,"axG",@progbits,_ZN7rocprim17ROCPRIM_304000_NS6detail35device_block_merge_mergepath_kernelINS1_37wrapped_merge_sort_block_merge_configINS0_14default_configEbN2at4cuda3cub6detail10OpaqueTypeILi8EEEEEPbSC_PSA_SD_jNS1_19radix_merge_compareILb1ELb0EbNS0_19identity_decomposerEEEEEvT0_T1_T2_T3_T4_SL_jT5_PKSL_NS1_7vsmem_tE,comdat
	.protected	_ZN7rocprim17ROCPRIM_304000_NS6detail35device_block_merge_mergepath_kernelINS1_37wrapped_merge_sort_block_merge_configINS0_14default_configEbN2at4cuda3cub6detail10OpaqueTypeILi8EEEEEPbSC_PSA_SD_jNS1_19radix_merge_compareILb1ELb0EbNS0_19identity_decomposerEEEEEvT0_T1_T2_T3_T4_SL_jT5_PKSL_NS1_7vsmem_tE ; -- Begin function _ZN7rocprim17ROCPRIM_304000_NS6detail35device_block_merge_mergepath_kernelINS1_37wrapped_merge_sort_block_merge_configINS0_14default_configEbN2at4cuda3cub6detail10OpaqueTypeILi8EEEEEPbSC_PSA_SD_jNS1_19radix_merge_compareILb1ELb0EbNS0_19identity_decomposerEEEEEvT0_T1_T2_T3_T4_SL_jT5_PKSL_NS1_7vsmem_tE
	.globl	_ZN7rocprim17ROCPRIM_304000_NS6detail35device_block_merge_mergepath_kernelINS1_37wrapped_merge_sort_block_merge_configINS0_14default_configEbN2at4cuda3cub6detail10OpaqueTypeILi8EEEEEPbSC_PSA_SD_jNS1_19radix_merge_compareILb1ELb0EbNS0_19identity_decomposerEEEEEvT0_T1_T2_T3_T4_SL_jT5_PKSL_NS1_7vsmem_tE
	.p2align	8
	.type	_ZN7rocprim17ROCPRIM_304000_NS6detail35device_block_merge_mergepath_kernelINS1_37wrapped_merge_sort_block_merge_configINS0_14default_configEbN2at4cuda3cub6detail10OpaqueTypeILi8EEEEEPbSC_PSA_SD_jNS1_19radix_merge_compareILb1ELb0EbNS0_19identity_decomposerEEEEEvT0_T1_T2_T3_T4_SL_jT5_PKSL_NS1_7vsmem_tE,@function
_ZN7rocprim17ROCPRIM_304000_NS6detail35device_block_merge_mergepath_kernelINS1_37wrapped_merge_sort_block_merge_configINS0_14default_configEbN2at4cuda3cub6detail10OpaqueTypeILi8EEEEEPbSC_PSA_SD_jNS1_19radix_merge_compareILb1ELb0EbNS0_19identity_decomposerEEEEEvT0_T1_T2_T3_T4_SL_jT5_PKSL_NS1_7vsmem_tE: ; @_ZN7rocprim17ROCPRIM_304000_NS6detail35device_block_merge_mergepath_kernelINS1_37wrapped_merge_sort_block_merge_configINS0_14default_configEbN2at4cuda3cub6detail10OpaqueTypeILi8EEEEEPbSC_PSA_SD_jNS1_19radix_merge_compareILb1ELb0EbNS0_19identity_decomposerEEEEEvT0_T1_T2_T3_T4_SL_jT5_PKSL_NS1_7vsmem_tE
; %bb.0:
	s_load_dwordx2 s[10:11], s[4:5], 0x40
	s_load_dwordx4 s[20:23], s[4:5], 0x20
	s_add_u32 s2, s4, 64
	s_addc_u32 s3, s5, 0
	s_waitcnt lgkmcnt(0)
	s_mul_i32 s0, s11, s8
	s_add_i32 s0, s0, s7
	s_mul_i32 s0, s0, s10
	s_add_i32 s0, s0, s6
	s_cmp_ge_u32 s0, s22
	s_cbranch_scc1 .LBB161_111
; %bb.1:
	s_load_dwordx8 s[12:19], s[4:5], 0x0
	s_load_dwordx2 s[8:9], s[4:5], 0x30
	s_lshr_b32 s11, s20, 10
	s_cmp_lg_u32 s0, s11
	s_mov_b32 s1, 0
	s_cselect_b64 s[22:23], -1, 0
	s_lshl_b64 s[4:5], s[0:1], 2
	s_waitcnt lgkmcnt(0)
	s_add_u32 s4, s8, s4
	s_addc_u32 s5, s9, s5
	s_load_dwordx2 s[24:25], s[4:5], 0x0
	s_lshr_b32 s4, s21, 9
	s_and_b32 s4, s4, 0x7ffffe
	s_sub_i32 s4, 0, s4
	s_and_b32 s5, s0, s4
	s_lshl_b32 s7, s5, 10
	s_lshl_b32 s28, s0, 10
	;; [unrolled: 1-line block ×3, first 2 shown]
	s_sub_i32 s8, s28, s7
	s_add_i32 s5, s5, s21
	s_add_i32 s8, s5, s8
	s_waitcnt lgkmcnt(0)
	s_sub_i32 s9, s8, s24
	s_sub_i32 s8, s8, s25
	;; [unrolled: 1-line block ×3, first 2 shown]
	s_min_u32 s26, s20, s9
	s_addk_i32 s8, 0x400
	s_or_b32 s4, s0, s4
	s_min_u32 s7, s20, s5
	s_add_i32 s5, s5, s21
	s_cmp_eq_u32 s4, -1
	s_cselect_b32 s4, s5, s8
	s_cselect_b32 s5, s7, s25
	s_min_u32 s4, s4, s20
	s_sub_i32 s21, s5, s24
	s_sub_i32 s29, s4, s26
	s_add_u32 s4, s12, s24
	s_addc_u32 s5, s13, 0
	s_add_u32 s7, s12, s26
	v_mov_b32_e32 v1, 0
	global_load_dword v2, v1, s[2:3] offset:14
	s_addc_u32 s8, s13, 0
	s_cmp_lt_u32 s6, s10
	s_cselect_b32 s6, 12, 18
	s_add_u32 s2, s2, s6
	s_addc_u32 s3, s3, 0
	global_load_ushort v1, v1, s[2:3]
	s_mov_b32 s25, s1
	s_mov_b32 s27, s1
	s_cmp_eq_u32 s0, s11
	v_cmp_gt_u32_e32 vcc, s21, v0
	s_waitcnt vmcnt(1)
	v_lshrrev_b32_e32 v3, 16, v2
	v_and_b32_e32 v2, 0xffff, v2
	v_mul_lo_u32 v2, v2, v3
	s_waitcnt vmcnt(0)
	v_mul_lo_u32 v3, v2, v1
	v_add_u32_e32 v4, v3, v0
	s_cbranch_scc1 .LBB161_3
; %bb.2:
	v_subrev_u32_e32 v1, s21, v0
	v_mov_b32_e32 v17, s7
	v_mov_b32_e32 v18, s4
	v_min_u32_e32 v1, v0, v1
	v_mov_b32_e32 v15, s8
	v_mov_b32_e32 v16, s5
	v_cndmask_b32_e32 v5, v17, v18, vcc
	v_cndmask_b32_e32 v2, v15, v16, vcc
	v_add_co_u32_e32 v1, vcc, v5, v1
	v_addc_co_u32_e32 v2, vcc, 0, v2, vcc
	v_subrev_u32_e32 v5, s21, v4
	v_cmp_gt_u32_e32 vcc, s21, v4
	v_min_u32_e32 v5, v4, v5
	v_cndmask_b32_e32 v7, v17, v18, vcc
	v_cndmask_b32_e32 v6, v15, v16, vcc
	v_add_co_u32_e32 v5, vcc, v7, v5
	v_addc_co_u32_e32 v6, vcc, 0, v6, vcc
	v_add_u32_e32 v9, v4, v3
	v_subrev_u32_e32 v7, s21, v9
	v_cmp_gt_u32_e32 vcc, s21, v9
	v_min_u32_e32 v7, v9, v7
	v_cndmask_b32_e32 v10, v17, v18, vcc
	v_cndmask_b32_e32 v8, v15, v16, vcc
	v_add_co_u32_e32 v7, vcc, v10, v7
	v_addc_co_u32_e32 v8, vcc, 0, v8, vcc
	v_add_u32_e32 v11, v9, v3
	v_subrev_u32_e32 v9, s21, v11
	v_cmp_gt_u32_e32 vcc, s21, v11
	v_min_u32_e32 v9, v11, v9
	v_cndmask_b32_e32 v12, v17, v18, vcc
	v_cndmask_b32_e32 v10, v15, v16, vcc
	v_add_co_u32_e32 v9, vcc, v12, v9
	v_addc_co_u32_e32 v10, vcc, 0, v10, vcc
	v_add_u32_e32 v13, v11, v3
	v_subrev_u32_e32 v11, s21, v13
	v_cmp_gt_u32_e32 vcc, s21, v13
	v_min_u32_e32 v11, v13, v11
	v_cndmask_b32_e32 v14, v17, v18, vcc
	v_cndmask_b32_e32 v12, v15, v16, vcc
	v_add_co_u32_e32 v11, vcc, v14, v11
	v_addc_co_u32_e32 v12, vcc, 0, v12, vcc
	v_add_u32_e32 v19, v13, v3
	v_subrev_u32_e32 v13, s21, v19
	v_cmp_gt_u32_e32 vcc, s21, v19
	v_min_u32_e32 v13, v19, v13
	v_cndmask_b32_e32 v20, v17, v18, vcc
	v_cndmask_b32_e32 v14, v15, v16, vcc
	v_add_co_u32_e32 v13, vcc, v20, v13
	v_addc_co_u32_e32 v14, vcc, 0, v14, vcc
	v_add_u32_e32 v19, v19, v3
	v_subrev_u32_e32 v20, s21, v19
	v_cmp_gt_u32_e32 vcc, s21, v19
	v_min_u32_e32 v20, v19, v20
	v_cndmask_b32_e32 v16, v15, v16, vcc
	v_cndmask_b32_e32 v15, v17, v18, vcc
	v_add_co_u32_e32 v15, vcc, v15, v20
	v_addc_co_u32_e32 v16, vcc, 0, v16, vcc
	global_load_ubyte v17, v[7:8], off
	global_load_ubyte v18, v[5:6], off
	;; [unrolled: 1-line block ×7, first 2 shown]
	s_mov_b32 s6, 0xc0c0004
	s_add_i32 s9, s29, s21
	s_mov_b64 s[0:1], -1
	v_add_u32_e32 v5, v19, v3
	v_mov_b32_e32 v7, s9
	s_waitcnt vmcnt(4)
	v_perm_b32 v1, v20, v18, s6
	s_waitcnt vmcnt(3)
	v_perm_b32 v2, v17, v21, s6
	v_lshl_or_b32 v1, v2, 16, v1
	s_waitcnt vmcnt(1)
	v_perm_b32 v2, v22, v23, s6
	s_waitcnt vmcnt(0)
	v_lshl_or_b32 v2, v24, 16, v2
	s_cbranch_execz .LBB161_4
	s_branch .LBB161_19
.LBB161_3:
	s_mov_b64 s[0:1], 0
                                        ; implicit-def: $vgpr5
                                        ; implicit-def: $vgpr1_vgpr2
                                        ; implicit-def: $vgpr7
.LBB161_4:
	s_add_i32 s2, s29, s21
	v_mov_b32_e32 v1, 0
	v_cmp_gt_u32_e32 vcc, s2, v0
	s_mov_b32 s3, 0
	v_mov_b32_e32 v2, v1
	s_and_saveexec_b64 s[0:1], vcc
	s_cbranch_execz .LBB161_6
; %bb.5:
	v_mov_b32_e32 v1, s8
	v_mov_b32_e32 v2, s5
	v_cmp_gt_u32_e32 vcc, s21, v0
	v_cndmask_b32_e32 v2, v1, v2, vcc
	v_mov_b32_e32 v1, s7
	v_mov_b32_e32 v5, s4
	v_cndmask_b32_e32 v1, v1, v5, vcc
	v_subrev_u32_e32 v5, s21, v0
	v_min_u32_e32 v5, v0, v5
	v_add_co_u32_e32 v1, vcc, v1, v5
	v_addc_co_u32_e32 v2, vcc, 0, v2, vcc
	global_load_ubyte v1, v[1:2], off
	v_mov_b32_e32 v2, s3
	s_waitcnt vmcnt(0)
	v_and_b32_e32 v1, 0xffff, v1
.LBB161_6:
	s_or_b64 exec, exec, s[0:1]
	v_cmp_gt_u32_e32 vcc, s2, v4
	s_and_saveexec_b64 s[0:1], vcc
	s_cbranch_execz .LBB161_8
; %bb.7:
	v_mov_b32_e32 v5, s8
	v_mov_b32_e32 v6, s5
	v_cmp_gt_u32_e32 vcc, s21, v4
	v_cndmask_b32_e32 v6, v5, v6, vcc
	v_mov_b32_e32 v5, s7
	v_mov_b32_e32 v7, s4
	v_cndmask_b32_e32 v5, v5, v7, vcc
	v_subrev_u32_e32 v7, s21, v4
	v_min_u32_e32 v7, v4, v7
	v_add_co_u32_e32 v5, vcc, v5, v7
	v_addc_co_u32_e32 v6, vcc, 0, v6, vcc
	global_load_ubyte v5, v[5:6], off
	s_mov_b32 s3, 0x7060004
	s_waitcnt vmcnt(0)
	v_perm_b32 v1, v1, v5, s3
.LBB161_8:
	s_or_b64 exec, exec, s[0:1]
	v_add_u32_e32 v4, v4, v3
	v_cmp_gt_u32_e32 vcc, s2, v4
	s_and_saveexec_b64 s[0:1], vcc
	s_cbranch_execz .LBB161_10
; %bb.9:
	v_mov_b32_e32 v5, s8
	v_mov_b32_e32 v6, s5
	v_cmp_gt_u32_e32 vcc, s21, v4
	v_cndmask_b32_e32 v6, v5, v6, vcc
	v_mov_b32_e32 v5, s7
	v_mov_b32_e32 v7, s4
	v_cndmask_b32_e32 v5, v5, v7, vcc
	v_subrev_u32_e32 v7, s21, v4
	v_min_u32_e32 v7, v4, v7
	v_add_co_u32_e32 v5, vcc, v5, v7
	v_addc_co_u32_e32 v6, vcc, 0, v6, vcc
	global_load_ubyte v5, v[5:6], off
	s_mov_b32 s3, 0xc0c0304
	s_waitcnt vmcnt(0)
	v_perm_b32 v5, v5, v1, s3
	v_lshlrev_b32_e32 v5, 16, v5
	s_mov_b32 s3, 0xffff
	v_and_or_b32 v1, v1, s3, v5
.LBB161_10:
	s_or_b64 exec, exec, s[0:1]
	v_add_u32_e32 v4, v4, v3
	v_cmp_gt_u32_e32 vcc, s2, v4
	s_and_saveexec_b64 s[0:1], vcc
	s_cbranch_execz .LBB161_12
; %bb.11:
	v_mov_b32_e32 v5, s8
	v_mov_b32_e32 v6, s5
	v_cmp_gt_u32_e32 vcc, s21, v4
	v_cndmask_b32_e32 v6, v5, v6, vcc
	v_mov_b32_e32 v5, s7
	v_mov_b32_e32 v7, s4
	v_cndmask_b32_e32 v5, v5, v7, vcc
	v_subrev_u32_e32 v7, s21, v4
	v_min_u32_e32 v7, v4, v7
	v_add_co_u32_e32 v5, vcc, v5, v7
	v_addc_co_u32_e32 v6, vcc, 0, v6, vcc
	global_load_ubyte v5, v[5:6], off
	s_mov_b32 s3, 0xc0c0006
	s_waitcnt vmcnt(0)
	v_perm_b32 v5, v1, v5, s3
	v_lshlrev_b32_e32 v5, 16, v5
	s_mov_b32 s3, 0xffff
	v_and_or_b32 v1, v1, s3, v5
.LBB161_12:
	s_or_b64 exec, exec, s[0:1]
	v_add_u32_e32 v4, v4, v3
	v_cmp_gt_u32_e32 vcc, s2, v4
	s_and_saveexec_b64 s[0:1], vcc
	s_cbranch_execz .LBB161_14
; %bb.13:
	v_mov_b32_e32 v5, s8
	v_mov_b32_e32 v6, s5
	v_cmp_gt_u32_e32 vcc, s21, v4
	v_cndmask_b32_e32 v6, v5, v6, vcc
	v_mov_b32_e32 v5, s7
	v_mov_b32_e32 v7, s4
	v_cndmask_b32_e32 v5, v5, v7, vcc
	v_subrev_u32_e32 v7, s21, v4
	v_min_u32_e32 v7, v4, v7
	v_add_co_u32_e32 v5, vcc, v5, v7
	v_addc_co_u32_e32 v6, vcc, 0, v6, vcc
	global_load_ubyte v5, v[5:6], off
	s_mov_b32 s3, 0x3020104
	s_waitcnt vmcnt(0)
	v_perm_b32 v2, v5, v2, s3
.LBB161_14:
	s_or_b64 exec, exec, s[0:1]
	v_add_u32_e32 v4, v4, v3
	v_cmp_gt_u32_e32 vcc, s2, v4
	s_and_saveexec_b64 s[0:1], vcc
	s_cbranch_execz .LBB161_16
; %bb.15:
	v_mov_b32_e32 v5, s8
	v_mov_b32_e32 v6, s5
	v_cmp_gt_u32_e32 vcc, s21, v4
	v_cndmask_b32_e32 v6, v5, v6, vcc
	v_mov_b32_e32 v5, s7
	v_mov_b32_e32 v7, s4
	v_cndmask_b32_e32 v5, v5, v7, vcc
	v_subrev_u32_e32 v7, s21, v4
	v_min_u32_e32 v7, v4, v7
	v_add_co_u32_e32 v5, vcc, v5, v7
	v_addc_co_u32_e32 v6, vcc, 0, v6, vcc
	global_load_ubyte v5, v[5:6], off
	s_mov_b32 s3, 0x7060004
	s_waitcnt vmcnt(0)
	v_perm_b32 v2, v2, v5, s3
.LBB161_16:
	;; [unrolled: 22-line block ×3, first 2 shown]
	s_or_b64 exec, exec, s[0:1]
	v_add_u32_e32 v5, v4, v3
	v_cmp_gt_u32_e64 s[0:1], s2, v5
	v_mov_b32_e32 v7, s2
.LBB161_19:
	s_and_saveexec_b64 s[2:3], s[0:1]
	s_cbranch_execz .LBB161_21
; %bb.20:
	v_subrev_u32_e32 v3, s21, v5
	v_mov_b32_e32 v4, s8
	v_mov_b32_e32 v6, s5
	v_cmp_gt_u32_e32 vcc, s21, v5
	v_min_u32_e32 v3, v5, v3
	v_cndmask_b32_e32 v4, v4, v6, vcc
	v_mov_b32_e32 v5, s7
	v_mov_b32_e32 v6, s4
	v_cndmask_b32_e32 v5, v5, v6, vcc
	v_add_co_u32_e32 v3, vcc, v5, v3
	v_addc_co_u32_e32 v4, vcc, 0, v4, vcc
	global_load_ubyte v3, v[3:4], off
	s_mov_b32 s0, 0x60504
	s_waitcnt vmcnt(0)
	v_perm_b32 v2, v2, v3, s0
.LBB161_21:
	s_or_b64 exec, exec, s[2:3]
	v_lshrrev_b32_e32 v3, 8, v1
	ds_write_b8 v0, v1
	ds_write_b8 v0, v3 offset:128
	ds_write_b8_d16_hi v0, v1 offset:256
	v_lshrrev_b32_e32 v3, 24, v1
	ds_write_b8 v0, v3 offset:384
	ds_write_b8 v0, v2 offset:512
	v_lshrrev_b32_e32 v3, 8, v2
	v_lshlrev_b32_e32 v8, 3, v0
	ds_write_b8 v0, v3 offset:640
	ds_write_b8_d16_hi v0, v2 offset:768
	v_lshrrev_b32_e32 v3, 24, v2
	v_min_u32_e32 v4, v7, v8
	ds_write_b8 v0, v3 offset:896
	v_sub_u32_e64 v3, v4, s29 clamp
	v_min_u32_e32 v5, s21, v4
	v_cmp_lt_u32_e32 vcc, v3, v5
	s_waitcnt lgkmcnt(0)
	s_barrier
	s_and_saveexec_b64 s[0:1], vcc
	s_cbranch_execz .LBB161_25
; %bb.22:
	v_add_u32_e32 v6, s21, v4
	s_mov_b64 s[2:3], 0
.LBB161_23:                             ; =>This Inner Loop Header: Depth=1
	v_add_u32_e32 v9, v5, v3
	v_lshrrev_b32_e32 v9, 1, v9
	v_xad_u32 v10, v9, -1, v6
	ds_read_u8 v11, v9
	ds_read_u8 v10, v10
	v_add_u32_e32 v12, 1, v9
	s_waitcnt lgkmcnt(0)
	v_cmp_gt_u16_e32 vcc, v10, v11
	v_cndmask_b32_e32 v5, v5, v9, vcc
	v_cndmask_b32_e32 v3, v12, v3, vcc
	v_cmp_ge_u32_e32 vcc, v3, v5
	s_or_b64 s[2:3], vcc, s[2:3]
	s_andn2_b64 exec, exec, s[2:3]
	s_cbranch_execnz .LBB161_23
; %bb.24:
	s_or_b64 exec, exec, s[2:3]
.LBB161_25:
	s_or_b64 exec, exec, s[0:1]
	v_sub_u32_e32 v4, v4, v3
	v_add_u32_e32 v4, s21, v4
	v_cmp_ge_u32_e32 vcc, s21, v3
	v_cmp_le_u32_e64 s[0:1], v4, v7
	s_or_b64 s[0:1], vcc, s[0:1]
	v_mov_b32_e32 v9, 0
	v_mov_b32_e32 v10, 0
	;; [unrolled: 1-line block ×8, first 2 shown]
	s_and_saveexec_b64 s[12:13], s[0:1]
	s_cbranch_execz .LBB161_31
; %bb.26:
	v_cmp_gt_u32_e32 vcc, s21, v3
                                        ; implicit-def: $vgpr1
	s_and_saveexec_b64 s[0:1], vcc
; %bb.27:
	ds_read_u8 v1, v3
; %bb.28:
	s_or_b64 exec, exec, s[0:1]
	v_cmp_ge_u32_e64 s[0:1], v4, v7
	v_cmp_lt_u32_e64 s[2:3], v4, v7
                                        ; implicit-def: $vgpr2
	s_and_saveexec_b64 s[4:5], s[2:3]
; %bb.29:
	ds_read_u8 v2, v4
; %bb.30:
	s_or_b64 exec, exec, s[4:5]
	s_waitcnt lgkmcnt(0)
	v_cmp_le_u16_sdwa s[2:3], v2, v1 src0_sel:BYTE_0 src1_sel:BYTE_0
	s_and_b64 s[2:3], vcc, s[2:3]
	s_or_b64 vcc, s[0:1], s[2:3]
	v_mov_b32_e32 v5, s21
	v_cndmask_b32_e32 v16, v4, v3, vcc
	v_cndmask_b32_e32 v6, v7, v5, vcc
	v_add_u32_e32 v9, 1, v16
	v_add_u32_e32 v6, -1, v6
	v_min_u32_e32 v6, v9, v6
	ds_read_u8 v6, v6
	v_cndmask_b32_e32 v3, v3, v9, vcc
	v_cndmask_b32_e32 v4, v9, v4, vcc
	v_cmp_gt_u32_e64 s[2:3], s21, v3
	v_cmp_ge_u32_e64 s[0:1], v4, v7
	s_waitcnt lgkmcnt(0)
	v_cndmask_b32_e32 v10, v6, v2, vcc
	v_cndmask_b32_e32 v6, v1, v6, vcc
	v_cmp_le_u16_sdwa s[4:5], v10, v6 src0_sel:BYTE_0 src1_sel:BYTE_0
	s_and_b64 s[2:3], s[2:3], s[4:5]
	s_or_b64 s[0:1], s[0:1], s[2:3]
	v_cndmask_b32_e64 v15, v4, v3, s[0:1]
	v_cndmask_b32_e64 v9, v7, v5, s[0:1]
	v_add_u32_e32 v11, 1, v15
	v_add_u32_e32 v9, -1, v9
	v_min_u32_e32 v9, v11, v9
	ds_read_u8 v9, v9
	v_cndmask_b32_e64 v3, v3, v11, s[0:1]
	v_cndmask_b32_e64 v4, v11, v4, s[0:1]
	v_cmp_gt_u32_e64 s[4:5], s21, v3
	v_cmp_ge_u32_e64 s[2:3], v4, v7
	s_waitcnt lgkmcnt(0)
	v_cndmask_b32_e64 v17, v9, v10, s[0:1]
	v_cndmask_b32_e64 v9, v6, v9, s[0:1]
	v_cmp_le_u16_sdwa s[6:7], v17, v9 src0_sel:BYTE_0 src1_sel:BYTE_0
	s_and_b64 s[4:5], s[4:5], s[6:7]
	s_or_b64 s[2:3], s[2:3], s[4:5]
	v_cndmask_b32_e64 v14, v4, v3, s[2:3]
	v_cndmask_b32_e64 v11, v7, v5, s[2:3]
	v_add_u32_e32 v12, 1, v14
	v_add_u32_e32 v11, -1, v11
	v_min_u32_e32 v11, v12, v11
	ds_read_u8 v11, v11
	v_cndmask_b32_e64 v3, v3, v12, s[2:3]
	v_cndmask_b32_e64 v4, v12, v4, s[2:3]
	v_cmp_gt_u32_e64 s[6:7], s21, v3
	v_cmp_ge_u32_e64 s[4:5], v4, v7
	s_waitcnt lgkmcnt(0)
	v_cndmask_b32_e64 v18, v11, v17, s[2:3]
	v_cndmask_b32_e64 v19, v9, v11, s[2:3]
	;; [unrolled: 16-line block ×4, first 2 shown]
	v_cmp_le_u16_sdwa s[30:31], v23, v24 src0_sel:BYTE_0 src1_sel:BYTE_0
	s_and_b64 s[10:11], s[10:11], s[30:31]
	s_or_b64 s[8:9], s[8:9], s[10:11]
	v_cndmask_b32_e64 v11, v4, v3, s[8:9]
	v_cndmask_b32_e64 v22, v7, v5, s[8:9]
	v_add_u32_e32 v25, 1, v11
	v_add_u32_e32 v22, -1, v22
	v_min_u32_e32 v22, v25, v22
	ds_read_u8 v22, v22
	v_cndmask_b32_e32 v1, v2, v1, vcc
	v_cndmask_b32_e64 v17, v17, v9, s[2:3]
	v_cndmask_b32_e64 v3, v3, v25, s[8:9]
	;; [unrolled: 1-line block ×3, first 2 shown]
	s_waitcnt lgkmcnt(0)
	v_cndmask_b32_e64 v2, v22, v23, s[8:9]
	v_cndmask_b32_e64 v9, v24, v22, s[8:9]
	;; [unrolled: 1-line block ×3, first 2 shown]
	v_cmp_gt_u32_e64 s[0:1], s21, v3
	v_cmp_le_u16_sdwa s[2:3], v2, v9 src0_sel:BYTE_0 src1_sel:BYTE_0
	v_cmp_ge_u32_e32 vcc, v4, v7
	s_and_b64 s[0:1], s[0:1], s[2:3]
	s_or_b64 vcc, vcc, s[0:1]
	v_cndmask_b32_e32 v10, v4, v3, vcc
	v_cndmask_b32_e32 v5, v7, v5, vcc
	v_add_u32_e32 v22, 1, v10
	v_add_u32_e32 v5, -1, v5
	v_min_u32_e32 v5, v22, v5
	ds_read_u8 v5, v5
	v_cndmask_b32_e64 v18, v18, v19, s[4:5]
	v_cndmask_b32_e64 v19, v20, v21, s[6:7]
	v_cndmask_b32_e32 v21, v2, v9, vcc
	v_cndmask_b32_e32 v3, v3, v22, vcc
	s_waitcnt lgkmcnt(0)
	v_cndmask_b32_e32 v2, v5, v2, vcc
	v_cndmask_b32_e32 v5, v9, v5, vcc
	;; [unrolled: 1-line block ×3, first 2 shown]
	v_cmp_gt_u32_e64 s[0:1], s21, v3
	v_cmp_le_u16_sdwa s[2:3], v2, v5 src0_sel:BYTE_0 src1_sel:BYTE_0
	v_cmp_ge_u32_e32 vcc, v4, v7
	s_and_b64 s[0:1], s[0:1], s[2:3]
	s_or_b64 vcc, vcc, s[0:1]
	v_cndmask_b32_e64 v20, v23, v24, s[8:9]
	v_cndmask_b32_e32 v2, v2, v5, vcc
	v_cndmask_b32_e32 v9, v4, v3, vcc
	v_lshlrev_b16_e32 v2, 8, v2
	v_lshlrev_b16_e32 v3, 8, v20
	v_or_b32_sdwa v2, v21, v2 dst_sel:WORD_1 dst_unused:UNUSED_PAD src0_sel:BYTE_0 src1_sel:DWORD
	v_or_b32_sdwa v3, v19, v3 dst_sel:DWORD dst_unused:UNUSED_PAD src0_sel:BYTE_0 src1_sel:DWORD
	v_or_b32_sdwa v2, v3, v2 dst_sel:DWORD dst_unused:UNUSED_PAD src0_sel:WORD_0 src1_sel:DWORD
	v_lshlrev_b16_e32 v3, 8, v18
	v_lshlrev_b16_e32 v4, 8, v6
	v_or_b32_sdwa v3, v17, v3 dst_sel:WORD_1 dst_unused:UNUSED_PAD src0_sel:BYTE_0 src1_sel:DWORD
	v_or_b32_sdwa v1, v1, v4 dst_sel:DWORD dst_unused:UNUSED_PAD src0_sel:BYTE_0 src1_sel:DWORD
	v_or_b32_sdwa v1, v1, v3 dst_sel:DWORD dst_unused:UNUSED_PAD src0_sel:WORD_0 src1_sel:DWORD
.LBB161_31:
	s_or_b64 exec, exec, s[12:13]
	s_lshl_b64 s[0:1], s[24:25], 3
	s_add_u32 s8, s16, s0
	s_addc_u32 s9, s17, s1
	s_lshl_b64 s[0:1], s[26:27], 3
	s_add_u32 s6, s16, s0
	v_cndmask_b32_e64 v3, 0, 1, s[22:23]
	s_addc_u32 s7, s17, s1
	v_cmp_gt_u32_e64 s[4:5], s21, v0
	v_cmp_ne_u32_e64 s[0:1], 1, v3
	s_andn2_b64 vcc, exec, s[22:23]
	v_cmp_le_u32_e64 s[2:3], s21, v0
	s_barrier
	s_cbranch_vccnz .LBB161_33
; %bb.32:
	v_mov_b32_e32 v3, s9
	v_add_co_u32_e32 v5, vcc, s8, v8
	v_subrev_u32_e32 v4, s21, v0
	v_addc_co_u32_e32 v3, vcc, 0, v3, vcc
	v_lshlrev_b32_e32 v4, 3, v4
	v_mov_b32_e32 v6, s7
	v_add_co_u32_e32 v17, vcc, s6, v4
	v_addc_co_u32_e32 v4, vcc, 0, v6, vcc
	v_cndmask_b32_e64 v4, v4, v3, s[4:5]
	v_cndmask_b32_e64 v3, v17, v5, s[4:5]
	v_or_b32_e32 v5, 0x80, v0
	v_subrev_u32_e32 v6, s21, v5
	v_min_u32_e32 v6, v5, v6
	v_cmp_gt_u32_e32 vcc, s21, v5
	v_mov_b32_e32 v29, s6
	v_mov_b32_e32 v30, s8
	v_mov_b32_e32 v27, s7
	v_mov_b32_e32 v28, s9
	v_cndmask_b32_e32 v5, v29, v30, vcc
	v_lshlrev_b32_e32 v6, 3, v6
	v_cndmask_b32_e32 v17, v27, v28, vcc
	v_add_co_u32_e32 v5, vcc, v5, v6
	v_addc_co_u32_e32 v6, vcc, 0, v17, vcc
	v_or_b32_e32 v17, 0x100, v0
	v_subrev_u32_e32 v18, s21, v17
	v_min_u32_e32 v18, v17, v18
	v_cmp_gt_u32_e32 vcc, s21, v17
	v_cndmask_b32_e32 v17, v29, v30, vcc
	v_lshlrev_b32_e32 v18, 3, v18
	v_cndmask_b32_e32 v19, v27, v28, vcc
	v_add_co_u32_e32 v17, vcc, v17, v18
	v_addc_co_u32_e32 v18, vcc, 0, v19, vcc
	v_or_b32_e32 v19, 0x180, v0
	v_subrev_u32_e32 v20, s21, v19
	v_min_u32_e32 v20, v19, v20
	v_cmp_gt_u32_e32 vcc, s21, v19
	;; [unrolled: 9-line block ×5, first 2 shown]
	global_load_dwordx2 v[3:4], v[3:4], off
	v_cndmask_b32_e32 v25, v29, v30, vcc
	global_load_dwordx2 v[5:6], v[5:6], off
	v_lshlrev_b32_e32 v26, 3, v26
	global_load_dwordx2 v[17:18], v[17:18], off
	v_cndmask_b32_e32 v31, v27, v28, vcc
	global_load_dwordx2 v[19:20], v[19:20], off
	v_add_co_u32_e32 v25, vcc, v25, v26
	global_load_dwordx2 v[21:22], v[21:22], off
	v_addc_co_u32_e32 v26, vcc, 0, v31, vcc
	global_load_dwordx2 v[23:24], v[23:24], off
	s_nop 0
	global_load_dwordx2 v[25:26], v[25:26], off
	s_mov_b64 s[4:5], -1
	s_waitcnt vmcnt(5)
	ds_write2st64_b64 v8, v[3:4], v[5:6] offset1:2
	s_waitcnt vmcnt(3)
	ds_write2st64_b64 v8, v[17:18], v[19:20] offset0:4 offset1:6
	s_waitcnt vmcnt(1)
	ds_write2st64_b64 v8, v[21:22], v[23:24] offset0:8 offset1:10
	s_waitcnt vmcnt(0)
	ds_write_b64 v8, v[25:26] offset:6144
	v_or_b32_e32 v17, 0x380, v0
	v_subrev_u32_e32 v3, s21, v17
	v_cmp_gt_u32_e32 vcc, s21, v17
	v_min_u32_e32 v5, v17, v3
	v_cndmask_b32_e32 v4, v27, v28, vcc
	v_cndmask_b32_e32 v3, v29, v30, vcc
	s_cbranch_execz .LBB161_34
	s_branch .LBB161_67
.LBB161_33:
	s_mov_b64 s[4:5], 0
                                        ; implicit-def: $vgpr17
                                        ; implicit-def: $vgpr3_vgpr4
                                        ; implicit-def: $vgpr5
.LBB161_34:
	s_and_saveexec_b64 s[4:5], s[2:3]
	s_xor_b64 s[2:3], exec, s[4:5]
	s_cbranch_execz .LBB161_38
; %bb.35:
	v_subrev_u32_e32 v3, s21, v0
	v_cmp_gt_u32_e32 vcc, s29, v3
	s_and_saveexec_b64 s[4:5], vcc
	s_cbranch_execz .LBB161_37
; %bb.36:
	v_lshlrev_b32_e32 v3, 3, v3
	global_load_dwordx2 v[3:4], v3, s[6:7]
	s_waitcnt vmcnt(0)
	ds_write_b64 v8, v[3:4]
.LBB161_37:
	s_or_b64 exec, exec, s[4:5]
.LBB161_38:
	s_or_saveexec_b64 s[2:3], s[2:3]
	v_mad_u32_u24 v5, v0, 7, v0
	s_xor_b64 exec, exec, s[2:3]
	s_cbranch_execz .LBB161_40
; %bb.39:
	global_load_dwordx2 v[3:4], v8, s[8:9]
	s_waitcnt vmcnt(0)
	ds_write_b64 v5, v[3:4]
.LBB161_40:
	s_or_b64 exec, exec, s[2:3]
	v_or_b32_e32 v6, 0x80, v0
	v_mov_b32_e32 v3, s24
	v_cmp_le_u32_e32 vcc, s21, v6
	s_mov_b64 s[2:3], -1
	v_mov_b32_e32 v4, s25
	s_and_saveexec_b64 s[4:5], vcc
; %bb.41:
	v_subrev_u32_e32 v6, s21, v6
	v_cmp_gt_u32_e32 vcc, s29, v6
	v_mov_b32_e32 v3, s26
	v_mov_b32_e32 v4, s27
	s_orn2_b64 s[2:3], vcc, exec
; %bb.42:
	s_or_b64 exec, exec, s[4:5]
	s_and_saveexec_b64 s[4:5], s[2:3]
	s_cbranch_execz .LBB161_44
; %bb.43:
	v_lshlrev_b64 v[3:4], 3, v[3:4]
	v_mov_b32_e32 v17, s17
	v_add_co_u32_e32 v3, vcc, s16, v3
	v_addc_co_u32_e32 v4, vcc, v17, v4, vcc
	v_lshlrev_b32_e32 v6, 3, v6
	v_add_co_u32_e32 v3, vcc, v3, v6
	v_addc_co_u32_e32 v4, vcc, 0, v4, vcc
	global_load_dwordx2 v[3:4], v[3:4], off
	s_waitcnt vmcnt(0)
	ds_write_b64 v5, v[3:4] offset:1024
.LBB161_44:
	s_or_b64 exec, exec, s[4:5]
	v_or_b32_e32 v6, 0x100, v0
	v_mov_b32_e32 v3, s24
	v_cmp_le_u32_e32 vcc, s21, v6
	s_mov_b64 s[2:3], -1
	v_mov_b32_e32 v4, s25
	s_and_saveexec_b64 s[4:5], vcc
; %bb.45:
	v_subrev_u32_e32 v6, s21, v6
	v_cmp_gt_u32_e32 vcc, s29, v6
	v_mov_b32_e32 v3, s26
	v_mov_b32_e32 v4, s27
	s_orn2_b64 s[2:3], vcc, exec
; %bb.46:
	s_or_b64 exec, exec, s[4:5]
	s_and_saveexec_b64 s[4:5], s[2:3]
	s_cbranch_execz .LBB161_48
; %bb.47:
	v_lshlrev_b64 v[3:4], 3, v[3:4]
	v_mov_b32_e32 v17, s17
	v_add_co_u32_e32 v3, vcc, s16, v3
	v_addc_co_u32_e32 v4, vcc, v17, v4, vcc
	v_lshlrev_b32_e32 v6, 3, v6
	v_add_co_u32_e32 v3, vcc, v3, v6
	v_addc_co_u32_e32 v4, vcc, 0, v4, vcc
	global_load_dwordx2 v[3:4], v[3:4], off
	s_waitcnt vmcnt(0)
	ds_write_b64 v5, v[3:4] offset:2048
.LBB161_48:
	;; [unrolled: 29-line block ×6, first 2 shown]
	s_or_b64 exec, exec, s[4:5]
	v_or_b32_e32 v17, 0x380, v0
	v_mov_b32_e32 v3, s8
	v_cmp_le_u32_e32 vcc, s21, v17
	s_mov_b64 s[4:5], -1
	v_mov_b32_e32 v4, s9
	v_mov_b32_e32 v5, v17
	s_and_saveexec_b64 s[2:3], vcc
; %bb.65:
	v_subrev_u32_e32 v5, s21, v17
	v_cmp_gt_u32_e32 vcc, s29, v5
	v_mov_b32_e32 v3, s6
	v_mov_b32_e32 v4, s7
	s_orn2_b64 s[4:5], vcc, exec
; %bb.66:
	s_or_b64 exec, exec, s[2:3]
.LBB161_67:
	s_and_saveexec_b64 s[2:3], s[4:5]
	s_cbranch_execz .LBB161_69
; %bb.68:
	v_mov_b32_e32 v6, 0
	v_lshlrev_b64 v[5:6], 3, v[5:6]
	v_add_co_u32_e32 v3, vcc, v3, v5
	v_addc_co_u32_e32 v4, vcc, v4, v6, vcc
	global_load_dwordx2 v[3:4], v[3:4], off
	v_lshlrev_b32_e32 v5, 3, v17
	s_waitcnt vmcnt(0)
	ds_write_b64 v5, v[3:4]
.LBB161_69:
	s_or_b64 exec, exec, s[2:3]
	s_and_b64 vcc, exec, s[0:1]
	v_add_u32_e32 v3, s28, v8
	s_waitcnt lgkmcnt(0)
	s_barrier
	s_cbranch_vccnz .LBB161_71
; %bb.70:
	v_lshlrev_b32_e32 v17, 3, v16
	v_lshlrev_b32_e32 v19, 3, v15
	;; [unrolled: 1-line block ×7, first 2 shown]
	v_mov_b32_e32 v4, 0
	ds_read_b64 v[17:18], v17
	ds_read_b64 v[19:20], v19
	;; [unrolled: 1-line block ×7, first 2 shown]
	v_lshlrev_b64 v[5:6], 3, v[3:4]
	v_mov_b32_e32 v31, s19
	v_add_co_u32_e32 v5, vcc, s18, v5
	v_addc_co_u32_e32 v6, vcc, v31, v6, vcc
	s_mov_b64 s[0:1], -1
	s_waitcnt lgkmcnt(5)
	global_store_dwordx4 v[5:6], v[17:20], off
	s_waitcnt lgkmcnt(3)
	global_store_dwordx4 v[5:6], v[21:24], off offset:16
	s_waitcnt lgkmcnt(1)
	global_store_dwordx4 v[5:6], v[25:28], off offset:32
	s_waitcnt lgkmcnt(0)
	global_store_dwordx2 v[5:6], v[29:30], off offset:48
	s_cbranch_execz .LBB161_72
	s_branch .LBB161_89
.LBB161_71:
	s_mov_b64 s[0:1], 0
.LBB161_72:
	v_cmp_lt_u32_e32 vcc, v8, v7
	s_and_saveexec_b64 s[2:3], vcc
	s_cbranch_execz .LBB161_74
; %bb.73:
	v_lshlrev_b32_e32 v6, 3, v16
	v_mov_b32_e32 v4, 0
	ds_read_b64 v[16:17], v6
	v_lshlrev_b64 v[4:5], 3, v[3:4]
	v_mov_b32_e32 v18, s19
	v_add_co_u32_e32 v4, vcc, s18, v4
	v_addc_co_u32_e32 v5, vcc, v18, v5, vcc
	s_waitcnt lgkmcnt(0)
	global_store_dwordx2 v[4:5], v[16:17], off
.LBB161_74:
	s_or_b64 exec, exec, s[2:3]
	v_or_b32_e32 v4, 1, v8
	v_cmp_lt_u32_e32 vcc, v4, v7
	s_and_saveexec_b64 s[2:3], vcc
	s_cbranch_execz .LBB161_76
; %bb.75:
	v_lshlrev_b32_e32 v6, 3, v15
	v_mov_b32_e32 v4, 0
	ds_read_b64 v[15:16], v6
	v_lshlrev_b64 v[4:5], 3, v[3:4]
	v_mov_b32_e32 v17, s19
	v_add_co_u32_e32 v4, vcc, s18, v4
	v_addc_co_u32_e32 v5, vcc, v17, v5, vcc
	s_waitcnt lgkmcnt(0)
	global_store_dwordx2 v[4:5], v[15:16], off offset:8
.LBB161_76:
	s_or_b64 exec, exec, s[2:3]
	v_or_b32_e32 v4, 2, v8
	v_cmp_lt_u32_e32 vcc, v4, v7
	s_and_saveexec_b64 s[2:3], vcc
	s_cbranch_execz .LBB161_78
; %bb.77:
	v_lshlrev_b32_e32 v6, 3, v14
	v_mov_b32_e32 v4, 0
	ds_read_b64 v[14:15], v6
	v_lshlrev_b64 v[4:5], 3, v[3:4]
	v_mov_b32_e32 v16, s19
	v_add_co_u32_e32 v4, vcc, s18, v4
	v_addc_co_u32_e32 v5, vcc, v16, v5, vcc
	s_waitcnt lgkmcnt(0)
	global_store_dwordx2 v[4:5], v[14:15], off offset:16
.LBB161_78:
	s_or_b64 exec, exec, s[2:3]
	v_or_b32_e32 v4, 3, v8
	v_cmp_lt_u32_e32 vcc, v4, v7
	s_and_saveexec_b64 s[2:3], vcc
	s_cbranch_execz .LBB161_80
; %bb.79:
	v_lshlrev_b32_e32 v6, 3, v13
	v_mov_b32_e32 v4, 0
	ds_read_b64 v[13:14], v6
	v_lshlrev_b64 v[4:5], 3, v[3:4]
	v_mov_b32_e32 v15, s19
	v_add_co_u32_e32 v4, vcc, s18, v4
	v_addc_co_u32_e32 v5, vcc, v15, v5, vcc
	s_waitcnt lgkmcnt(0)
	global_store_dwordx2 v[4:5], v[13:14], off offset:24
.LBB161_80:
	s_or_b64 exec, exec, s[2:3]
	v_or_b32_e32 v4, 4, v8
	v_cmp_lt_u32_e32 vcc, v4, v7
	s_and_saveexec_b64 s[2:3], vcc
	s_cbranch_execz .LBB161_82
; %bb.81:
	v_lshlrev_b32_e32 v6, 3, v12
	v_mov_b32_e32 v4, 0
	ds_read_b64 v[12:13], v6
	v_lshlrev_b64 v[4:5], 3, v[3:4]
	v_mov_b32_e32 v14, s19
	v_add_co_u32_e32 v4, vcc, s18, v4
	v_addc_co_u32_e32 v5, vcc, v14, v5, vcc
	s_waitcnt lgkmcnt(0)
	global_store_dwordx2 v[4:5], v[12:13], off offset:32
.LBB161_82:
	s_or_b64 exec, exec, s[2:3]
	v_or_b32_e32 v4, 5, v8
	v_cmp_lt_u32_e32 vcc, v4, v7
	s_and_saveexec_b64 s[2:3], vcc
	s_cbranch_execz .LBB161_84
; %bb.83:
	v_lshlrev_b32_e32 v6, 3, v11
	v_mov_b32_e32 v4, 0
	ds_read_b64 v[11:12], v6
	v_lshlrev_b64 v[4:5], 3, v[3:4]
	v_mov_b32_e32 v13, s19
	v_add_co_u32_e32 v4, vcc, s18, v4
	v_addc_co_u32_e32 v5, vcc, v13, v5, vcc
	s_waitcnt lgkmcnt(0)
	global_store_dwordx2 v[4:5], v[11:12], off offset:40
.LBB161_84:
	s_or_b64 exec, exec, s[2:3]
	v_or_b32_e32 v4, 6, v8
	v_cmp_lt_u32_e32 vcc, v4, v7
	s_and_saveexec_b64 s[2:3], vcc
	s_cbranch_execz .LBB161_86
; %bb.85:
	v_lshlrev_b32_e32 v6, 3, v10
	v_mov_b32_e32 v4, 0
	ds_read_b64 v[10:11], v6
	v_lshlrev_b64 v[4:5], 3, v[3:4]
	v_mov_b32_e32 v12, s19
	v_add_co_u32_e32 v4, vcc, s18, v4
	v_addc_co_u32_e32 v5, vcc, v12, v5, vcc
	s_waitcnt lgkmcnt(0)
	global_store_dwordx2 v[4:5], v[10:11], off offset:48
.LBB161_86:
	s_or_b64 exec, exec, s[2:3]
	v_or_b32_e32 v4, 7, v8
	v_cmp_lt_u32_e32 vcc, v4, v7
	s_and_saveexec_b64 s[2:3], vcc
; %bb.87:
	v_mov_b32_e32 v4, 0
	s_or_b64 s[0:1], s[0:1], exec
; %bb.88:
	s_or_b64 exec, exec, s[2:3]
.LBB161_89:
	s_and_saveexec_b64 s[2:3], s[0:1]
	s_cbranch_execz .LBB161_91
; %bb.90:
	v_lshlrev_b32_e32 v5, 3, v9
	ds_read_b64 v[5:6], v5
	v_lshlrev_b64 v[3:4], 3, v[3:4]
	v_mov_b32_e32 v7, s19
	v_add_co_u32_e32 v3, vcc, s18, v3
	v_addc_co_u32_e32 v4, vcc, v7, v4, vcc
	s_waitcnt lgkmcnt(0)
	global_store_dwordx2 v[3:4], v[5:6], off offset:56
.LBB161_91:
	s_or_b64 exec, exec, s[2:3]
	v_lshrrev_b32_e32 v3, 2, v0
	s_add_u32 s0, s14, s28
	v_and_b32_e32 v3, 28, v3
	s_addc_u32 s1, s15, 0
	v_add_u32_e32 v3, v3, v8
	s_waitcnt vmcnt(0)
	s_barrier
	s_barrier
	ds_write2_b32 v3, v1, v2 offset1:1
	v_mov_b32_e32 v2, s1
	v_add_co_u32_e32 v1, vcc, s0, v0
	v_addc_co_u32_e32 v2, vcc, 0, v2, vcc
	s_and_b64 vcc, exec, s[22:23]
	v_add_u32_e32 v4, 4, v0
	v_add_u32_e32 v5, 8, v0
	;; [unrolled: 1-line block ×7, first 2 shown]
	s_waitcnt lgkmcnt(0)
	s_cbranch_vccz .LBB161_93
; %bb.92:
	s_barrier
	ds_read_u8 v11, v0
	ds_read_u8 v12, v4 offset:128
	ds_read_u8 v13, v5 offset:256
	;; [unrolled: 1-line block ×7, first 2 shown]
	s_waitcnt lgkmcnt(7)
	global_store_byte v[1:2], v11, off
	s_waitcnt lgkmcnt(6)
	global_store_byte v[1:2], v12, off offset:128
	s_waitcnt lgkmcnt(5)
	global_store_byte v[1:2], v13, off offset:256
	;; [unrolled: 2-line block ×6, first 2 shown]
	s_mov_b64 s[0:1], -1
	s_cbranch_execz .LBB161_94
	s_branch .LBB161_109
.LBB161_93:
	s_mov_b64 s[0:1], 0
                                        ; implicit-def: $vgpr3
.LBB161_94:
	s_waitcnt vmcnt(0) lgkmcnt(0)
	s_barrier
	ds_read_u8 v13, v4 offset:128
	ds_read_u8 v12, v5 offset:256
	;; [unrolled: 1-line block ×7, first 2 shown]
	s_sub_i32 s2, s20, s28
	v_or_b32_e32 v7, 0x80, v0
	v_cmp_gt_u32_e32 vcc, s2, v0
	s_and_saveexec_b64 s[0:1], vcc
	s_cbranch_execz .LBB161_96
; %bb.95:
	ds_read_u8 v8, v0
	s_waitcnt lgkmcnt(0)
	global_store_byte v[1:2], v8, off
.LBB161_96:
	s_or_b64 exec, exec, s[0:1]
	v_or_b32_e32 v8, 0x100, v0
	v_cmp_gt_u32_e32 vcc, s2, v7
	s_and_saveexec_b64 s[0:1], vcc
	s_cbranch_execz .LBB161_98
; %bb.97:
	s_waitcnt lgkmcnt(6)
	global_store_byte v[1:2], v13, off offset:128
.LBB161_98:
	s_or_b64 exec, exec, s[0:1]
	v_or_b32_e32 v7, 0x180, v0
	v_cmp_gt_u32_e32 vcc, s2, v8
	s_and_saveexec_b64 s[0:1], vcc
	s_cbranch_execz .LBB161_100
; %bb.99:
	s_waitcnt lgkmcnt(5)
	global_store_byte v[1:2], v12, off offset:256
.LBB161_100:
	;; [unrolled: 9-line block ×4, first 2 shown]
	s_or_b64 exec, exec, s[0:1]
	s_waitcnt lgkmcnt(3)
	v_or_b32_e32 v6, 0x300, v0
	v_cmp_gt_u32_e32 vcc, s2, v7
	s_and_saveexec_b64 s[0:1], vcc
	s_cbranch_execz .LBB161_106
; %bb.105:
	s_waitcnt lgkmcnt(2)
	global_store_byte v[1:2], v5, off offset:640
.LBB161_106:
	s_or_b64 exec, exec, s[0:1]
	v_or_b32_e32 v0, 0x380, v0
	v_cmp_gt_u32_e32 vcc, s2, v6
	s_and_saveexec_b64 s[0:1], vcc
	s_cbranch_execz .LBB161_108
; %bb.107:
	s_waitcnt lgkmcnt(1)
	global_store_byte v[1:2], v4, off offset:768
.LBB161_108:
	s_or_b64 exec, exec, s[0:1]
	v_cmp_gt_u32_e64 s[0:1], s2, v0
.LBB161_109:
	s_and_saveexec_b64 s[2:3], s[0:1]
	s_cbranch_execz .LBB161_111
; %bb.110:
	s_waitcnt lgkmcnt(0)
	global_store_byte v[1:2], v3, off offset:896
.LBB161_111:
	s_endpgm
	.section	.rodata,"a",@progbits
	.p2align	6, 0x0
	.amdhsa_kernel _ZN7rocprim17ROCPRIM_304000_NS6detail35device_block_merge_mergepath_kernelINS1_37wrapped_merge_sort_block_merge_configINS0_14default_configEbN2at4cuda3cub6detail10OpaqueTypeILi8EEEEEPbSC_PSA_SD_jNS1_19radix_merge_compareILb1ELb0EbNS0_19identity_decomposerEEEEEvT0_T1_T2_T3_T4_SL_jT5_PKSL_NS1_7vsmem_tE
		.amdhsa_group_segment_fixed_size 8208
		.amdhsa_private_segment_fixed_size 0
		.amdhsa_kernarg_size 320
		.amdhsa_user_sgpr_count 6
		.amdhsa_user_sgpr_private_segment_buffer 1
		.amdhsa_user_sgpr_dispatch_ptr 0
		.amdhsa_user_sgpr_queue_ptr 0
		.amdhsa_user_sgpr_kernarg_segment_ptr 1
		.amdhsa_user_sgpr_dispatch_id 0
		.amdhsa_user_sgpr_flat_scratch_init 0
		.amdhsa_user_sgpr_private_segment_size 0
		.amdhsa_uses_dynamic_stack 0
		.amdhsa_system_sgpr_private_segment_wavefront_offset 0
		.amdhsa_system_sgpr_workgroup_id_x 1
		.amdhsa_system_sgpr_workgroup_id_y 1
		.amdhsa_system_sgpr_workgroup_id_z 1
		.amdhsa_system_sgpr_workgroup_info 0
		.amdhsa_system_vgpr_workitem_id 0
		.amdhsa_next_free_vgpr 49
		.amdhsa_next_free_sgpr 98
		.amdhsa_reserve_vcc 1
		.amdhsa_reserve_flat_scratch 0
		.amdhsa_float_round_mode_32 0
		.amdhsa_float_round_mode_16_64 0
		.amdhsa_float_denorm_mode_32 3
		.amdhsa_float_denorm_mode_16_64 3
		.amdhsa_dx10_clamp 1
		.amdhsa_ieee_mode 1
		.amdhsa_fp16_overflow 0
		.amdhsa_exception_fp_ieee_invalid_op 0
		.amdhsa_exception_fp_denorm_src 0
		.amdhsa_exception_fp_ieee_div_zero 0
		.amdhsa_exception_fp_ieee_overflow 0
		.amdhsa_exception_fp_ieee_underflow 0
		.amdhsa_exception_fp_ieee_inexact 0
		.amdhsa_exception_int_div_zero 0
	.end_amdhsa_kernel
	.section	.text._ZN7rocprim17ROCPRIM_304000_NS6detail35device_block_merge_mergepath_kernelINS1_37wrapped_merge_sort_block_merge_configINS0_14default_configEbN2at4cuda3cub6detail10OpaqueTypeILi8EEEEEPbSC_PSA_SD_jNS1_19radix_merge_compareILb1ELb0EbNS0_19identity_decomposerEEEEEvT0_T1_T2_T3_T4_SL_jT5_PKSL_NS1_7vsmem_tE,"axG",@progbits,_ZN7rocprim17ROCPRIM_304000_NS6detail35device_block_merge_mergepath_kernelINS1_37wrapped_merge_sort_block_merge_configINS0_14default_configEbN2at4cuda3cub6detail10OpaqueTypeILi8EEEEEPbSC_PSA_SD_jNS1_19radix_merge_compareILb1ELb0EbNS0_19identity_decomposerEEEEEvT0_T1_T2_T3_T4_SL_jT5_PKSL_NS1_7vsmem_tE,comdat
.Lfunc_end161:
	.size	_ZN7rocprim17ROCPRIM_304000_NS6detail35device_block_merge_mergepath_kernelINS1_37wrapped_merge_sort_block_merge_configINS0_14default_configEbN2at4cuda3cub6detail10OpaqueTypeILi8EEEEEPbSC_PSA_SD_jNS1_19radix_merge_compareILb1ELb0EbNS0_19identity_decomposerEEEEEvT0_T1_T2_T3_T4_SL_jT5_PKSL_NS1_7vsmem_tE, .Lfunc_end161-_ZN7rocprim17ROCPRIM_304000_NS6detail35device_block_merge_mergepath_kernelINS1_37wrapped_merge_sort_block_merge_configINS0_14default_configEbN2at4cuda3cub6detail10OpaqueTypeILi8EEEEEPbSC_PSA_SD_jNS1_19radix_merge_compareILb1ELb0EbNS0_19identity_decomposerEEEEEvT0_T1_T2_T3_T4_SL_jT5_PKSL_NS1_7vsmem_tE
                                        ; -- End function
	.set _ZN7rocprim17ROCPRIM_304000_NS6detail35device_block_merge_mergepath_kernelINS1_37wrapped_merge_sort_block_merge_configINS0_14default_configEbN2at4cuda3cub6detail10OpaqueTypeILi8EEEEEPbSC_PSA_SD_jNS1_19radix_merge_compareILb1ELb0EbNS0_19identity_decomposerEEEEEvT0_T1_T2_T3_T4_SL_jT5_PKSL_NS1_7vsmem_tE.num_vgpr, 32
	.set _ZN7rocprim17ROCPRIM_304000_NS6detail35device_block_merge_mergepath_kernelINS1_37wrapped_merge_sort_block_merge_configINS0_14default_configEbN2at4cuda3cub6detail10OpaqueTypeILi8EEEEEPbSC_PSA_SD_jNS1_19radix_merge_compareILb1ELb0EbNS0_19identity_decomposerEEEEEvT0_T1_T2_T3_T4_SL_jT5_PKSL_NS1_7vsmem_tE.num_agpr, 0
	.set _ZN7rocprim17ROCPRIM_304000_NS6detail35device_block_merge_mergepath_kernelINS1_37wrapped_merge_sort_block_merge_configINS0_14default_configEbN2at4cuda3cub6detail10OpaqueTypeILi8EEEEEPbSC_PSA_SD_jNS1_19radix_merge_compareILb1ELb0EbNS0_19identity_decomposerEEEEEvT0_T1_T2_T3_T4_SL_jT5_PKSL_NS1_7vsmem_tE.numbered_sgpr, 32
	.set _ZN7rocprim17ROCPRIM_304000_NS6detail35device_block_merge_mergepath_kernelINS1_37wrapped_merge_sort_block_merge_configINS0_14default_configEbN2at4cuda3cub6detail10OpaqueTypeILi8EEEEEPbSC_PSA_SD_jNS1_19radix_merge_compareILb1ELb0EbNS0_19identity_decomposerEEEEEvT0_T1_T2_T3_T4_SL_jT5_PKSL_NS1_7vsmem_tE.num_named_barrier, 0
	.set _ZN7rocprim17ROCPRIM_304000_NS6detail35device_block_merge_mergepath_kernelINS1_37wrapped_merge_sort_block_merge_configINS0_14default_configEbN2at4cuda3cub6detail10OpaqueTypeILi8EEEEEPbSC_PSA_SD_jNS1_19radix_merge_compareILb1ELb0EbNS0_19identity_decomposerEEEEEvT0_T1_T2_T3_T4_SL_jT5_PKSL_NS1_7vsmem_tE.private_seg_size, 0
	.set _ZN7rocprim17ROCPRIM_304000_NS6detail35device_block_merge_mergepath_kernelINS1_37wrapped_merge_sort_block_merge_configINS0_14default_configEbN2at4cuda3cub6detail10OpaqueTypeILi8EEEEEPbSC_PSA_SD_jNS1_19radix_merge_compareILb1ELb0EbNS0_19identity_decomposerEEEEEvT0_T1_T2_T3_T4_SL_jT5_PKSL_NS1_7vsmem_tE.uses_vcc, 1
	.set _ZN7rocprim17ROCPRIM_304000_NS6detail35device_block_merge_mergepath_kernelINS1_37wrapped_merge_sort_block_merge_configINS0_14default_configEbN2at4cuda3cub6detail10OpaqueTypeILi8EEEEEPbSC_PSA_SD_jNS1_19radix_merge_compareILb1ELb0EbNS0_19identity_decomposerEEEEEvT0_T1_T2_T3_T4_SL_jT5_PKSL_NS1_7vsmem_tE.uses_flat_scratch, 0
	.set _ZN7rocprim17ROCPRIM_304000_NS6detail35device_block_merge_mergepath_kernelINS1_37wrapped_merge_sort_block_merge_configINS0_14default_configEbN2at4cuda3cub6detail10OpaqueTypeILi8EEEEEPbSC_PSA_SD_jNS1_19radix_merge_compareILb1ELb0EbNS0_19identity_decomposerEEEEEvT0_T1_T2_T3_T4_SL_jT5_PKSL_NS1_7vsmem_tE.has_dyn_sized_stack, 0
	.set _ZN7rocprim17ROCPRIM_304000_NS6detail35device_block_merge_mergepath_kernelINS1_37wrapped_merge_sort_block_merge_configINS0_14default_configEbN2at4cuda3cub6detail10OpaqueTypeILi8EEEEEPbSC_PSA_SD_jNS1_19radix_merge_compareILb1ELb0EbNS0_19identity_decomposerEEEEEvT0_T1_T2_T3_T4_SL_jT5_PKSL_NS1_7vsmem_tE.has_recursion, 0
	.set _ZN7rocprim17ROCPRIM_304000_NS6detail35device_block_merge_mergepath_kernelINS1_37wrapped_merge_sort_block_merge_configINS0_14default_configEbN2at4cuda3cub6detail10OpaqueTypeILi8EEEEEPbSC_PSA_SD_jNS1_19radix_merge_compareILb1ELb0EbNS0_19identity_decomposerEEEEEvT0_T1_T2_T3_T4_SL_jT5_PKSL_NS1_7vsmem_tE.has_indirect_call, 0
	.section	.AMDGPU.csdata,"",@progbits
; Kernel info:
; codeLenInByte = 5428
; TotalNumSgprs: 36
; NumVgprs: 32
; ScratchSize: 0
; MemoryBound: 0
; FloatMode: 240
; IeeeMode: 1
; LDSByteSize: 8208 bytes/workgroup (compile time only)
; SGPRBlocks: 12
; VGPRBlocks: 12
; NumSGPRsForWavesPerEU: 102
; NumVGPRsForWavesPerEU: 49
; Occupancy: 4
; WaveLimiterHint : 1
; COMPUTE_PGM_RSRC2:SCRATCH_EN: 0
; COMPUTE_PGM_RSRC2:USER_SGPR: 6
; COMPUTE_PGM_RSRC2:TRAP_HANDLER: 0
; COMPUTE_PGM_RSRC2:TGID_X_EN: 1
; COMPUTE_PGM_RSRC2:TGID_Y_EN: 1
; COMPUTE_PGM_RSRC2:TGID_Z_EN: 1
; COMPUTE_PGM_RSRC2:TIDIG_COMP_CNT: 0
	.section	.text._ZN7rocprim17ROCPRIM_304000_NS6detail33device_block_merge_oddeven_kernelINS1_37wrapped_merge_sort_block_merge_configINS0_14default_configEbN2at4cuda3cub6detail10OpaqueTypeILi8EEEEEPbSC_PSA_SD_jNS1_19radix_merge_compareILb1ELb0EbNS0_19identity_decomposerEEEEEvT0_T1_T2_T3_T4_SL_T5_,"axG",@progbits,_ZN7rocprim17ROCPRIM_304000_NS6detail33device_block_merge_oddeven_kernelINS1_37wrapped_merge_sort_block_merge_configINS0_14default_configEbN2at4cuda3cub6detail10OpaqueTypeILi8EEEEEPbSC_PSA_SD_jNS1_19radix_merge_compareILb1ELb0EbNS0_19identity_decomposerEEEEEvT0_T1_T2_T3_T4_SL_T5_,comdat
	.protected	_ZN7rocprim17ROCPRIM_304000_NS6detail33device_block_merge_oddeven_kernelINS1_37wrapped_merge_sort_block_merge_configINS0_14default_configEbN2at4cuda3cub6detail10OpaqueTypeILi8EEEEEPbSC_PSA_SD_jNS1_19radix_merge_compareILb1ELb0EbNS0_19identity_decomposerEEEEEvT0_T1_T2_T3_T4_SL_T5_ ; -- Begin function _ZN7rocprim17ROCPRIM_304000_NS6detail33device_block_merge_oddeven_kernelINS1_37wrapped_merge_sort_block_merge_configINS0_14default_configEbN2at4cuda3cub6detail10OpaqueTypeILi8EEEEEPbSC_PSA_SD_jNS1_19radix_merge_compareILb1ELb0EbNS0_19identity_decomposerEEEEEvT0_T1_T2_T3_T4_SL_T5_
	.globl	_ZN7rocprim17ROCPRIM_304000_NS6detail33device_block_merge_oddeven_kernelINS1_37wrapped_merge_sort_block_merge_configINS0_14default_configEbN2at4cuda3cub6detail10OpaqueTypeILi8EEEEEPbSC_PSA_SD_jNS1_19radix_merge_compareILb1ELb0EbNS0_19identity_decomposerEEEEEvT0_T1_T2_T3_T4_SL_T5_
	.p2align	8
	.type	_ZN7rocprim17ROCPRIM_304000_NS6detail33device_block_merge_oddeven_kernelINS1_37wrapped_merge_sort_block_merge_configINS0_14default_configEbN2at4cuda3cub6detail10OpaqueTypeILi8EEEEEPbSC_PSA_SD_jNS1_19radix_merge_compareILb1ELb0EbNS0_19identity_decomposerEEEEEvT0_T1_T2_T3_T4_SL_T5_,@function
_ZN7rocprim17ROCPRIM_304000_NS6detail33device_block_merge_oddeven_kernelINS1_37wrapped_merge_sort_block_merge_configINS0_14default_configEbN2at4cuda3cub6detail10OpaqueTypeILi8EEEEEPbSC_PSA_SD_jNS1_19radix_merge_compareILb1ELb0EbNS0_19identity_decomposerEEEEEvT0_T1_T2_T3_T4_SL_T5_: ; @_ZN7rocprim17ROCPRIM_304000_NS6detail33device_block_merge_oddeven_kernelINS1_37wrapped_merge_sort_block_merge_configINS0_14default_configEbN2at4cuda3cub6detail10OpaqueTypeILi8EEEEEPbSC_PSA_SD_jNS1_19radix_merge_compareILb1ELb0EbNS0_19identity_decomposerEEEEEvT0_T1_T2_T3_T4_SL_T5_
; %bb.0:
	s_load_dwordx2 s[18:19], s[4:5], 0x20
	s_waitcnt lgkmcnt(0)
	s_lshr_b32 s0, s18, 8
	s_cmp_eq_u32 s6, s0
	s_cselect_b64 s[16:17], -1, 0
	s_cmp_lg_u32 s6, s0
	s_cselect_b64 s[0:1], -1, 0
	s_lshl_b32 s20, s6, 8
	s_sub_i32 s2, s18, s20
	v_cmp_gt_u32_e64 s[2:3], s2, v0
	s_or_b64 s[0:1], s[0:1], s[2:3]
	s_and_saveexec_b64 s[8:9], s[0:1]
	s_cbranch_execz .LBB162_24
; %bb.1:
	s_load_dwordx8 s[8:15], s[4:5], 0x0
	s_mov_b32 s21, 0
	v_lshlrev_b32_e32 v3, 3, v0
	s_waitcnt lgkmcnt(0)
	s_add_u32 s0, s8, s20
	s_addc_u32 s1, s9, 0
	s_lshl_b64 s[4:5], s[20:21], 3
	s_add_u32 s4, s12, s4
	s_addc_u32 s5, s13, s5
	global_load_dwordx2 v[1:2], v3, s[4:5]
	global_load_ubyte v5, v0, s[0:1]
	s_lshr_b32 s0, s19, 8
	s_sub_i32 s1, 0, s0
	s_and_b32 s1, s6, s1
	s_and_b32 s0, s1, s0
	s_lshl_b32 s13, s1, 8
	s_sub_i32 s6, 0, s19
	s_cmp_eq_u32 s0, 0
	s_cselect_b64 s[0:1], -1, 0
	s_and_b64 s[4:5], s[0:1], exec
	s_cselect_b32 s6, s19, s6
	s_add_i32 s6, s6, s13
	s_mov_b64 s[4:5], -1
	s_cmp_gt_u32 s18, s6
	v_add_u32_e32 v3, s20, v0
	s_cbranch_scc1 .LBB162_9
; %bb.2:
	s_and_b64 vcc, exec, s[16:17]
	s_cbranch_vccz .LBB162_6
; %bb.3:
	v_cmp_gt_u32_e32 vcc, s18, v3
	s_and_saveexec_b64 s[4:5], vcc
	s_cbranch_execz .LBB162_5
; %bb.4:
	v_mov_b32_e32 v4, 0
	v_lshlrev_b64 v[6:7], 3, v[3:4]
	v_mov_b32_e32 v0, s15
	v_add_co_u32_e32 v6, vcc, s14, v6
	v_addc_co_u32_e32 v7, vcc, v0, v7, vcc
	s_waitcnt vmcnt(0)
	global_store_byte v3, v5, s[10:11]
	global_store_dwordx2 v[6:7], v[1:2], off
.LBB162_5:
	s_or_b64 exec, exec, s[4:5]
	s_mov_b64 s[4:5], 0
.LBB162_6:
	s_andn2_b64 vcc, exec, s[4:5]
	s_cbranch_vccnz .LBB162_8
; %bb.7:
	v_mov_b32_e32 v4, 0
	v_lshlrev_b64 v[6:7], 3, v[3:4]
	v_mov_b32_e32 v0, s15
	v_add_co_u32_e32 v6, vcc, s14, v6
	v_addc_co_u32_e32 v7, vcc, v0, v7, vcc
	s_waitcnt vmcnt(0)
	global_store_byte v3, v5, s[10:11]
	global_store_dwordx2 v[6:7], v[1:2], off
.LBB162_8:
	s_mov_b64 s[4:5], 0
.LBB162_9:
	s_andn2_b64 vcc, exec, s[4:5]
	s_cbranch_vccnz .LBB162_24
; %bb.10:
	s_min_u32 s7, s6, s18
	s_add_i32 s4, s7, s19
	s_min_u32 s12, s4, s18
	s_min_u32 s4, s13, s7
	s_add_i32 s13, s13, s7
	v_subrev_u32_e32 v0, s13, v3
	v_add_u32_e32 v0, s4, v0
	s_andn2_b64 vcc, exec, s[16:17]
	s_mov_b64 s[4:5], -1
	s_cbranch_vccnz .LBB162_18
; %bb.11:
	s_and_saveexec_b64 s[4:5], s[2:3]
	s_cbranch_execz .LBB162_17
; %bb.12:
	s_cmp_ge_u32 s6, s12
	v_mov_b32_e32 v3, s7
	s_cbranch_scc1 .LBB162_16
; %bb.13:
	s_mov_b64 s[2:3], 0
	v_mov_b32_e32 v4, s12
	v_mov_b32_e32 v3, s7
.LBB162_14:                             ; =>This Inner Loop Header: Depth=1
	v_add_u32_e32 v6, v3, v4
	v_lshrrev_b32_e32 v6, 1, v6
	global_load_ubyte v7, v6, s[8:9]
	v_add_u32_e32 v8, 1, v6
	s_waitcnt vmcnt(0)
	v_cmp_gt_u16_sdwa s[16:17], v7, v5 src0_sel:DWORD src1_sel:BYTE_0
	v_cndmask_b32_e64 v9, 0, 1, s[16:17]
	v_cmp_le_u16_sdwa s[16:17], v5, v7 src0_sel:BYTE_0 src1_sel:DWORD
	v_cndmask_b32_e64 v7, 0, 1, s[16:17]
	v_cndmask_b32_e64 v7, v7, v9, s[0:1]
	v_and_b32_e32 v7, 1, v7
	v_cmp_eq_u32_e32 vcc, 1, v7
	v_cndmask_b32_e32 v4, v6, v4, vcc
	v_cndmask_b32_e32 v3, v3, v8, vcc
	v_cmp_ge_u32_e32 vcc, v3, v4
	s_or_b64 s[2:3], vcc, s[2:3]
	s_andn2_b64 exec, exec, s[2:3]
	s_cbranch_execnz .LBB162_14
; %bb.15:
	s_or_b64 exec, exec, s[2:3]
.LBB162_16:
	v_add_u32_e32 v3, v3, v0
	v_mov_b32_e32 v4, 0
	s_waitcnt vmcnt(0)
	global_store_byte v3, v5, s[10:11]
	v_lshlrev_b64 v[3:4], 3, v[3:4]
	v_mov_b32_e32 v6, s15
	v_add_co_u32_e32 v3, vcc, s14, v3
	v_addc_co_u32_e32 v4, vcc, v6, v4, vcc
	global_store_dwordx2 v[3:4], v[1:2], off
.LBB162_17:
	s_or_b64 exec, exec, s[4:5]
	s_mov_b64 s[4:5], 0
.LBB162_18:
	s_andn2_b64 vcc, exec, s[4:5]
	s_cbranch_vccnz .LBB162_24
; %bb.19:
	s_cmp_ge_u32 s6, s12
	v_mov_b32_e32 v3, s7
	s_cbranch_scc1 .LBB162_23
; %bb.20:
	s_mov_b64 s[2:3], 0
	v_mov_b32_e32 v4, s12
	v_mov_b32_e32 v3, s7
.LBB162_21:                             ; =>This Inner Loop Header: Depth=1
	v_add_u32_e32 v6, v3, v4
	v_lshrrev_b32_e32 v6, 1, v6
	global_load_ubyte v7, v6, s[8:9]
	v_add_u32_e32 v8, 1, v6
	s_waitcnt vmcnt(0)
	v_cmp_gt_u16_sdwa s[4:5], v7, v5 src0_sel:DWORD src1_sel:BYTE_0
	v_cndmask_b32_e64 v9, 0, 1, s[4:5]
	v_cmp_le_u16_sdwa s[4:5], v5, v7 src0_sel:BYTE_0 src1_sel:DWORD
	v_cndmask_b32_e64 v7, 0, 1, s[4:5]
	v_cndmask_b32_e64 v7, v7, v9, s[0:1]
	v_and_b32_e32 v7, 1, v7
	v_cmp_eq_u32_e32 vcc, 1, v7
	v_cndmask_b32_e32 v4, v6, v4, vcc
	v_cndmask_b32_e32 v3, v3, v8, vcc
	v_cmp_ge_u32_e32 vcc, v3, v4
	s_or_b64 s[2:3], vcc, s[2:3]
	s_andn2_b64 exec, exec, s[2:3]
	s_cbranch_execnz .LBB162_21
; %bb.22:
	s_or_b64 exec, exec, s[2:3]
.LBB162_23:
	v_add_u32_e32 v3, v3, v0
	v_mov_b32_e32 v4, 0
	s_waitcnt vmcnt(0)
	global_store_byte v3, v5, s[10:11]
	v_lshlrev_b64 v[3:4], 3, v[3:4]
	v_mov_b32_e32 v0, s15
	v_add_co_u32_e32 v3, vcc, s14, v3
	v_addc_co_u32_e32 v4, vcc, v0, v4, vcc
	global_store_dwordx2 v[3:4], v[1:2], off
.LBB162_24:
	s_endpgm
	.section	.rodata,"a",@progbits
	.p2align	6, 0x0
	.amdhsa_kernel _ZN7rocprim17ROCPRIM_304000_NS6detail33device_block_merge_oddeven_kernelINS1_37wrapped_merge_sort_block_merge_configINS0_14default_configEbN2at4cuda3cub6detail10OpaqueTypeILi8EEEEEPbSC_PSA_SD_jNS1_19radix_merge_compareILb1ELb0EbNS0_19identity_decomposerEEEEEvT0_T1_T2_T3_T4_SL_T5_
		.amdhsa_group_segment_fixed_size 0
		.amdhsa_private_segment_fixed_size 0
		.amdhsa_kernarg_size 44
		.amdhsa_user_sgpr_count 6
		.amdhsa_user_sgpr_private_segment_buffer 1
		.amdhsa_user_sgpr_dispatch_ptr 0
		.amdhsa_user_sgpr_queue_ptr 0
		.amdhsa_user_sgpr_kernarg_segment_ptr 1
		.amdhsa_user_sgpr_dispatch_id 0
		.amdhsa_user_sgpr_flat_scratch_init 0
		.amdhsa_user_sgpr_private_segment_size 0
		.amdhsa_uses_dynamic_stack 0
		.amdhsa_system_sgpr_private_segment_wavefront_offset 0
		.amdhsa_system_sgpr_workgroup_id_x 1
		.amdhsa_system_sgpr_workgroup_id_y 0
		.amdhsa_system_sgpr_workgroup_id_z 0
		.amdhsa_system_sgpr_workgroup_info 0
		.amdhsa_system_vgpr_workitem_id 0
		.amdhsa_next_free_vgpr 10
		.amdhsa_next_free_sgpr 22
		.amdhsa_reserve_vcc 1
		.amdhsa_reserve_flat_scratch 0
		.amdhsa_float_round_mode_32 0
		.amdhsa_float_round_mode_16_64 0
		.amdhsa_float_denorm_mode_32 3
		.amdhsa_float_denorm_mode_16_64 3
		.amdhsa_dx10_clamp 1
		.amdhsa_ieee_mode 1
		.amdhsa_fp16_overflow 0
		.amdhsa_exception_fp_ieee_invalid_op 0
		.amdhsa_exception_fp_denorm_src 0
		.amdhsa_exception_fp_ieee_div_zero 0
		.amdhsa_exception_fp_ieee_overflow 0
		.amdhsa_exception_fp_ieee_underflow 0
		.amdhsa_exception_fp_ieee_inexact 0
		.amdhsa_exception_int_div_zero 0
	.end_amdhsa_kernel
	.section	.text._ZN7rocprim17ROCPRIM_304000_NS6detail33device_block_merge_oddeven_kernelINS1_37wrapped_merge_sort_block_merge_configINS0_14default_configEbN2at4cuda3cub6detail10OpaqueTypeILi8EEEEEPbSC_PSA_SD_jNS1_19radix_merge_compareILb1ELb0EbNS0_19identity_decomposerEEEEEvT0_T1_T2_T3_T4_SL_T5_,"axG",@progbits,_ZN7rocprim17ROCPRIM_304000_NS6detail33device_block_merge_oddeven_kernelINS1_37wrapped_merge_sort_block_merge_configINS0_14default_configEbN2at4cuda3cub6detail10OpaqueTypeILi8EEEEEPbSC_PSA_SD_jNS1_19radix_merge_compareILb1ELb0EbNS0_19identity_decomposerEEEEEvT0_T1_T2_T3_T4_SL_T5_,comdat
.Lfunc_end162:
	.size	_ZN7rocprim17ROCPRIM_304000_NS6detail33device_block_merge_oddeven_kernelINS1_37wrapped_merge_sort_block_merge_configINS0_14default_configEbN2at4cuda3cub6detail10OpaqueTypeILi8EEEEEPbSC_PSA_SD_jNS1_19radix_merge_compareILb1ELb0EbNS0_19identity_decomposerEEEEEvT0_T1_T2_T3_T4_SL_T5_, .Lfunc_end162-_ZN7rocprim17ROCPRIM_304000_NS6detail33device_block_merge_oddeven_kernelINS1_37wrapped_merge_sort_block_merge_configINS0_14default_configEbN2at4cuda3cub6detail10OpaqueTypeILi8EEEEEPbSC_PSA_SD_jNS1_19radix_merge_compareILb1ELb0EbNS0_19identity_decomposerEEEEEvT0_T1_T2_T3_T4_SL_T5_
                                        ; -- End function
	.set _ZN7rocprim17ROCPRIM_304000_NS6detail33device_block_merge_oddeven_kernelINS1_37wrapped_merge_sort_block_merge_configINS0_14default_configEbN2at4cuda3cub6detail10OpaqueTypeILi8EEEEEPbSC_PSA_SD_jNS1_19radix_merge_compareILb1ELb0EbNS0_19identity_decomposerEEEEEvT0_T1_T2_T3_T4_SL_T5_.num_vgpr, 10
	.set _ZN7rocprim17ROCPRIM_304000_NS6detail33device_block_merge_oddeven_kernelINS1_37wrapped_merge_sort_block_merge_configINS0_14default_configEbN2at4cuda3cub6detail10OpaqueTypeILi8EEEEEPbSC_PSA_SD_jNS1_19radix_merge_compareILb1ELb0EbNS0_19identity_decomposerEEEEEvT0_T1_T2_T3_T4_SL_T5_.num_agpr, 0
	.set _ZN7rocprim17ROCPRIM_304000_NS6detail33device_block_merge_oddeven_kernelINS1_37wrapped_merge_sort_block_merge_configINS0_14default_configEbN2at4cuda3cub6detail10OpaqueTypeILi8EEEEEPbSC_PSA_SD_jNS1_19radix_merge_compareILb1ELb0EbNS0_19identity_decomposerEEEEEvT0_T1_T2_T3_T4_SL_T5_.numbered_sgpr, 22
	.set _ZN7rocprim17ROCPRIM_304000_NS6detail33device_block_merge_oddeven_kernelINS1_37wrapped_merge_sort_block_merge_configINS0_14default_configEbN2at4cuda3cub6detail10OpaqueTypeILi8EEEEEPbSC_PSA_SD_jNS1_19radix_merge_compareILb1ELb0EbNS0_19identity_decomposerEEEEEvT0_T1_T2_T3_T4_SL_T5_.num_named_barrier, 0
	.set _ZN7rocprim17ROCPRIM_304000_NS6detail33device_block_merge_oddeven_kernelINS1_37wrapped_merge_sort_block_merge_configINS0_14default_configEbN2at4cuda3cub6detail10OpaqueTypeILi8EEEEEPbSC_PSA_SD_jNS1_19radix_merge_compareILb1ELb0EbNS0_19identity_decomposerEEEEEvT0_T1_T2_T3_T4_SL_T5_.private_seg_size, 0
	.set _ZN7rocprim17ROCPRIM_304000_NS6detail33device_block_merge_oddeven_kernelINS1_37wrapped_merge_sort_block_merge_configINS0_14default_configEbN2at4cuda3cub6detail10OpaqueTypeILi8EEEEEPbSC_PSA_SD_jNS1_19radix_merge_compareILb1ELb0EbNS0_19identity_decomposerEEEEEvT0_T1_T2_T3_T4_SL_T5_.uses_vcc, 1
	.set _ZN7rocprim17ROCPRIM_304000_NS6detail33device_block_merge_oddeven_kernelINS1_37wrapped_merge_sort_block_merge_configINS0_14default_configEbN2at4cuda3cub6detail10OpaqueTypeILi8EEEEEPbSC_PSA_SD_jNS1_19radix_merge_compareILb1ELb0EbNS0_19identity_decomposerEEEEEvT0_T1_T2_T3_T4_SL_T5_.uses_flat_scratch, 0
	.set _ZN7rocprim17ROCPRIM_304000_NS6detail33device_block_merge_oddeven_kernelINS1_37wrapped_merge_sort_block_merge_configINS0_14default_configEbN2at4cuda3cub6detail10OpaqueTypeILi8EEEEEPbSC_PSA_SD_jNS1_19radix_merge_compareILb1ELb0EbNS0_19identity_decomposerEEEEEvT0_T1_T2_T3_T4_SL_T5_.has_dyn_sized_stack, 0
	.set _ZN7rocprim17ROCPRIM_304000_NS6detail33device_block_merge_oddeven_kernelINS1_37wrapped_merge_sort_block_merge_configINS0_14default_configEbN2at4cuda3cub6detail10OpaqueTypeILi8EEEEEPbSC_PSA_SD_jNS1_19radix_merge_compareILb1ELb0EbNS0_19identity_decomposerEEEEEvT0_T1_T2_T3_T4_SL_T5_.has_recursion, 0
	.set _ZN7rocprim17ROCPRIM_304000_NS6detail33device_block_merge_oddeven_kernelINS1_37wrapped_merge_sort_block_merge_configINS0_14default_configEbN2at4cuda3cub6detail10OpaqueTypeILi8EEEEEPbSC_PSA_SD_jNS1_19radix_merge_compareILb1ELb0EbNS0_19identity_decomposerEEEEEvT0_T1_T2_T3_T4_SL_T5_.has_indirect_call, 0
	.section	.AMDGPU.csdata,"",@progbits
; Kernel info:
; codeLenInByte = 724
; TotalNumSgprs: 26
; NumVgprs: 10
; ScratchSize: 0
; MemoryBound: 0
; FloatMode: 240
; IeeeMode: 1
; LDSByteSize: 0 bytes/workgroup (compile time only)
; SGPRBlocks: 3
; VGPRBlocks: 2
; NumSGPRsForWavesPerEU: 26
; NumVGPRsForWavesPerEU: 10
; Occupancy: 10
; WaveLimiterHint : 0
; COMPUTE_PGM_RSRC2:SCRATCH_EN: 0
; COMPUTE_PGM_RSRC2:USER_SGPR: 6
; COMPUTE_PGM_RSRC2:TRAP_HANDLER: 0
; COMPUTE_PGM_RSRC2:TGID_X_EN: 1
; COMPUTE_PGM_RSRC2:TGID_Y_EN: 0
; COMPUTE_PGM_RSRC2:TGID_Z_EN: 0
; COMPUTE_PGM_RSRC2:TIDIG_COMP_CNT: 0
	.section	.text._ZN7rocprim17ROCPRIM_304000_NS6detail16transform_kernelINS1_24wrapped_transform_configINS0_14default_configEbEEbPbS6_NS0_8identityIbEEEEvT1_mT2_T3_,"axG",@progbits,_ZN7rocprim17ROCPRIM_304000_NS6detail16transform_kernelINS1_24wrapped_transform_configINS0_14default_configEbEEbPbS6_NS0_8identityIbEEEEvT1_mT2_T3_,comdat
	.protected	_ZN7rocprim17ROCPRIM_304000_NS6detail16transform_kernelINS1_24wrapped_transform_configINS0_14default_configEbEEbPbS6_NS0_8identityIbEEEEvT1_mT2_T3_ ; -- Begin function _ZN7rocprim17ROCPRIM_304000_NS6detail16transform_kernelINS1_24wrapped_transform_configINS0_14default_configEbEEbPbS6_NS0_8identityIbEEEEvT1_mT2_T3_
	.globl	_ZN7rocprim17ROCPRIM_304000_NS6detail16transform_kernelINS1_24wrapped_transform_configINS0_14default_configEbEEbPbS6_NS0_8identityIbEEEEvT1_mT2_T3_
	.p2align	8
	.type	_ZN7rocprim17ROCPRIM_304000_NS6detail16transform_kernelINS1_24wrapped_transform_configINS0_14default_configEbEEbPbS6_NS0_8identityIbEEEEvT1_mT2_T3_,@function
_ZN7rocprim17ROCPRIM_304000_NS6detail16transform_kernelINS1_24wrapped_transform_configINS0_14default_configEbEEbPbS6_NS0_8identityIbEEEEvT1_mT2_T3_: ; @_ZN7rocprim17ROCPRIM_304000_NS6detail16transform_kernelINS1_24wrapped_transform_configINS0_14default_configEbEEbPbS6_NS0_8identityIbEEEEvT1_mT2_T3_
; %bb.0:
	s_load_dword s7, s[4:5], 0x20
	s_load_dwordx4 s[0:3], s[4:5], 0x0
	s_load_dwordx2 s[34:35], s[4:5], 0x10
	s_lshl_b32 s33, s6, 10
	s_waitcnt lgkmcnt(0)
	s_add_i32 s7, s7, -1
	s_add_u32 s0, s0, s33
	s_addc_u32 s1, s1, 0
	v_mov_b32_e32 v2, s1
	v_add_co_u32_e32 v1, vcc, s0, v0
	s_cmp_lg_u32 s6, s7
	v_addc_co_u32_e32 v2, vcc, 0, v2, vcc
	s_cbranch_scc0 .LBB163_2
; %bb.1:
	s_add_u32 s0, s34, s33
	s_addc_u32 s1, s35, 0
	global_load_ubyte v3, v[1:2], off
	global_load_ubyte v7, v[1:2], off offset:64
	global_load_ubyte v8, v[1:2], off offset:128
	global_load_ubyte v9, v[1:2], off offset:192
	global_load_ubyte v10, v[1:2], off offset:256
	global_load_ubyte v11, v[1:2], off offset:320
	global_load_ubyte v12, v[1:2], off offset:384
	global_load_ubyte v13, v[1:2], off offset:448
	v_mov_b32_e32 v4, s1
	v_add_co_u32_e32 v5, vcc, s0, v0
	v_addc_co_u32_e32 v6, vcc, 0, v4, vcc
	global_load_ubyte v14, v[1:2], off offset:512
	global_load_ubyte v15, v[1:2], off offset:576
	global_load_ubyte v16, v[1:2], off offset:640
	global_load_ubyte v17, v[1:2], off offset:704
	global_load_ubyte v18, v[1:2], off offset:768
	global_load_ubyte v19, v[1:2], off offset:832
	global_load_ubyte v20, v[1:2], off offset:896
	global_load_ubyte v4, v[1:2], off offset:960
	s_mov_b64 s[36:37], -1
	s_waitcnt vmcnt(15)
	global_store_byte v[5:6], v3, off
	s_waitcnt vmcnt(15)
	global_store_byte v[5:6], v7, off offset:64
	s_waitcnt vmcnt(15)
	global_store_byte v[5:6], v8, off offset:128
	;; [unrolled: 2-line block ×14, first 2 shown]
	s_cbranch_execz .LBB163_3
	s_branch .LBB163_53
.LBB163_2:
	s_mov_b64 s[36:37], 0
                                        ; implicit-def: $vgpr4
.LBB163_3:
	s_sub_i32 s30, s2, s33
	v_cmp_gt_u32_e32 vcc, s30, v0
	v_mov_b32_e32 v13, 0
	v_mov_b32_e32 v17, 0
	v_mov_b32_e32 v16, 0
	v_mov_b32_e32 v15, 0
	v_mov_b32_e32 v14, 0
	v_mov_b32_e32 v12, 0
	v_mov_b32_e32 v11, 0
	v_mov_b32_e32 v10, 0
	v_mov_b32_e32 v9, 0
	v_mov_b32_e32 v8, 0
	v_mov_b32_e32 v7, 0
	v_mov_b32_e32 v6, 0
	v_mov_b32_e32 v5, 0
	s_waitcnt vmcnt(15)
	v_mov_b32_e32 v4, 0
	v_mov_b32_e32 v3, 0
	s_and_saveexec_b64 s[0:1], vcc
	s_cbranch_execz .LBB163_5
; %bb.4:
	global_load_ubyte v17, v[1:2], off
	v_mov_b32_e32 v16, 0
	v_mov_b32_e32 v15, 0
	;; [unrolled: 1-line block ×13, first 2 shown]
.LBB163_5:
	s_or_b64 exec, exec, s[0:1]
	v_or_b32_e32 v18, 64, v0
	v_cmp_gt_u32_e64 s[0:1], s30, v18
	v_mov_b32_e32 v18, v13
	s_and_saveexec_b64 s[2:3], s[0:1]
	s_cbranch_execz .LBB163_7
; %bb.6:
	global_load_ubyte v18, v[1:2], off offset:64
.LBB163_7:
	s_or_b64 exec, exec, s[2:3]
	v_or_b32_e32 v19, 0x80, v0
	v_cmp_gt_u32_e64 s[2:3], s30, v19
	s_and_saveexec_b64 s[4:5], s[2:3]
	s_cbranch_execz .LBB163_9
; %bb.8:
	global_load_ubyte v13, v[1:2], off offset:128
.LBB163_9:
	s_or_b64 exec, exec, s[4:5]
	v_or_b32_e32 v19, 0xc0, v0
	v_cmp_gt_u32_e64 s[4:5], s30, v19
	;; [unrolled: 8-line block ×14, first 2 shown]
	s_and_saveexec_b64 s[30:31], s[28:29]
	s_cbranch_execz .LBB163_35
; %bb.34:
	global_load_ubyte v3, v[1:2], off offset:960
.LBB163_35:
	s_or_b64 exec, exec, s[30:31]
	s_waitcnt vmcnt(0)
	v_and_b32_e32 v1, 1, v17
	v_and_b32_e32 v1, 0xffff, v1
	v_mov_b32_e32 v2, 1
	v_cndmask_b32_e32 v1, 0, v1, vcc
	v_and_b32_sdwa v17, v18, v2 dst_sel:BYTE_1 dst_unused:UNUSED_PAD src0_sel:DWORD src1_sel:DWORD
	v_or_b32_e32 v17, v1, v17
	v_and_b32_e32 v17, 0xffff, v17
	v_cndmask_b32_e64 v1, v1, v17, s[0:1]
	v_and_b32_sdwa v13, v13, v2 dst_sel:WORD_1 dst_unused:UNUSED_PAD src0_sel:DWORD src1_sel:DWORD
	v_or_b32_e32 v13, v1, v13
	v_cndmask_b32_e64 v1, v1, v13, s[2:3]
	s_movk_i32 s31, 0xff
	v_and_b32_sdwa v13, v1, s31 dst_sel:DWORD dst_unused:UNUSED_PAD src0_sel:WORD_1 src1_sel:DWORD
	v_and_b32_sdwa v16, v16, v2 dst_sel:BYTE_1 dst_unused:UNUSED_PAD src0_sel:DWORD src1_sel:DWORD
	s_mov_b32 s30, 0xffff
	v_or_b32_sdwa v13, v13, v16 dst_sel:WORD_1 dst_unused:UNUSED_PAD src0_sel:DWORD src1_sel:DWORD
	v_and_or_b32 v13, v1, s30, v13
	v_cndmask_b32_e64 v13, v1, v13, s[4:5]
	v_and_b32_e32 v1, 1, v15
	v_and_b32_e32 v1, 0xffff, v1
	v_cndmask_b32_e64 v1, 0, v1, s[6:7]
	v_and_b32_sdwa v14, v14, v2 dst_sel:BYTE_1 dst_unused:UNUSED_PAD src0_sel:DWORD src1_sel:DWORD
	v_or_b32_sdwa v14, v1, v14 dst_sel:DWORD dst_unused:UNUSED_PAD src0_sel:BYTE_0 src1_sel:DWORD
	v_and_b32_e32 v14, 0xffff, v14
	s_movk_i32 s38, 0xff00
	v_cndmask_b32_e64 v1, v1, v14, s[8:9]
	v_and_b32_sdwa v14, v1, s38 dst_sel:DWORD dst_unused:UNUSED_PAD src0_sel:WORD_1 src1_sel:DWORD
	v_and_b32_e32 v12, 1, v12
	v_or_b32_sdwa v12, v12, v14 dst_sel:WORD_1 dst_unused:UNUSED_PAD src0_sel:DWORD src1_sel:DWORD
	v_and_or_b32 v12, v1, s30, v12
	v_cndmask_b32_e64 v1, v1, v12, s[10:11]
	v_and_b32_sdwa v12, v1, s31 dst_sel:DWORD dst_unused:UNUSED_PAD src0_sel:WORD_1 src1_sel:DWORD
	v_and_b32_sdwa v11, v11, v2 dst_sel:BYTE_1 dst_unused:UNUSED_PAD src0_sel:DWORD src1_sel:DWORD
	v_or_b32_sdwa v11, v12, v11 dst_sel:WORD_1 dst_unused:UNUSED_PAD src0_sel:DWORD src1_sel:DWORD
	v_and_or_b32 v11, v1, s30, v11
	v_cndmask_b32_e64 v11, v1, v11, s[12:13]
	v_and_b32_e32 v1, 1, v10
	v_and_b32_e32 v1, 0xffff, v1
	v_cndmask_b32_e64 v1, 0, v1, s[14:15]
	v_and_b32_sdwa v9, v9, v2 dst_sel:BYTE_1 dst_unused:UNUSED_PAD src0_sel:DWORD src1_sel:DWORD
	v_or_b32_e32 v9, v1, v9
	v_and_b32_e32 v9, 0xffff, v9
	v_cndmask_b32_e64 v1, v1, v9, s[16:17]
	v_and_b32_sdwa v8, v8, v2 dst_sel:WORD_1 dst_unused:UNUSED_PAD src0_sel:DWORD src1_sel:DWORD
	s_movk_i32 s39, 0x1ff
	v_and_or_b32 v8, v1, s39, v8
	v_cndmask_b32_e64 v1, v1, v8, s[18:19]
	v_and_b32_sdwa v8, v1, s31 dst_sel:DWORD dst_unused:UNUSED_PAD src0_sel:WORD_1 src1_sel:DWORD
	v_and_b32_sdwa v7, v7, v2 dst_sel:BYTE_1 dst_unused:UNUSED_PAD src0_sel:DWORD src1_sel:DWORD
	v_or_b32_sdwa v7, v8, v7 dst_sel:WORD_1 dst_unused:UNUSED_PAD src0_sel:DWORD src1_sel:DWORD
	v_and_or_b32 v7, v1, s30, v7
	v_cndmask_b32_e64 v7, v1, v7, s[20:21]
	v_and_b32_e32 v1, 1, v6
	v_and_b32_e32 v1, 0xffff, v1
	v_cndmask_b32_e64 v1, 0, v1, s[22:23]
	v_and_b32_sdwa v5, v5, v2 dst_sel:BYTE_1 dst_unused:UNUSED_PAD src0_sel:DWORD src1_sel:DWORD
	v_or_b32_sdwa v5, v1, v5 dst_sel:DWORD dst_unused:UNUSED_PAD src0_sel:BYTE_0 src1_sel:DWORD
	v_and_b32_e32 v5, 0xffff, v5
	v_cndmask_b32_e64 v1, v1, v5, s[24:25]
	v_and_b32_sdwa v5, v1, s38 dst_sel:DWORD dst_unused:UNUSED_PAD src0_sel:WORD_1 src1_sel:DWORD
	v_and_b32_e32 v4, 1, v4
	v_or_b32_sdwa v4, v4, v5 dst_sel:WORD_1 dst_unused:UNUSED_PAD src0_sel:DWORD src1_sel:DWORD
	v_and_or_b32 v4, v1, s30, v4
	v_cndmask_b32_e64 v1, v1, v4, s[26:27]
	v_and_b32_sdwa v4, v1, s31 dst_sel:DWORD dst_unused:UNUSED_PAD src0_sel:WORD_1 src1_sel:DWORD
	v_and_b32_sdwa v2, v3, v2 dst_sel:BYTE_1 dst_unused:UNUSED_PAD src0_sel:DWORD src1_sel:DWORD
	v_or_b32_sdwa v2, v4, v2 dst_sel:WORD_1 dst_unused:UNUSED_PAD src0_sel:DWORD src1_sel:DWORD
	v_and_or_b32 v2, v1, s30, v2
	s_add_u32 s30, s34, s33
	s_addc_u32 s31, s35, 0
	v_cndmask_b32_e64 v3, v1, v2, s[28:29]
	v_mov_b32_e32 v2, s31
	v_add_co_u32_e64 v1, s[30:31], s30, v0
	v_addc_co_u32_e64 v2, s[30:31], 0, v2, s[30:31]
	s_and_saveexec_b64 s[30:31], vcc
	s_cbranch_execnz .LBB163_56
; %bb.36:
	s_or_b64 exec, exec, s[30:31]
	s_and_saveexec_b64 s[30:31], s[0:1]
	s_cbranch_execnz .LBB163_57
.LBB163_37:
	s_or_b64 exec, exec, s[30:31]
	s_and_saveexec_b64 s[0:1], s[2:3]
	s_cbranch_execnz .LBB163_58
.LBB163_38:
	s_or_b64 exec, exec, s[0:1]
	s_and_saveexec_b64 s[0:1], s[4:5]
	s_cbranch_execnz .LBB163_59
.LBB163_39:
	s_or_b64 exec, exec, s[0:1]
	s_and_saveexec_b64 s[0:1], s[6:7]
	s_cbranch_execnz .LBB163_60
.LBB163_40:
	s_or_b64 exec, exec, s[0:1]
	s_and_saveexec_b64 s[0:1], s[8:9]
	s_cbranch_execnz .LBB163_61
.LBB163_41:
	s_or_b64 exec, exec, s[0:1]
	s_and_saveexec_b64 s[0:1], s[10:11]
	s_cbranch_execnz .LBB163_62
.LBB163_42:
	s_or_b64 exec, exec, s[0:1]
	s_and_saveexec_b64 s[0:1], s[12:13]
	s_cbranch_execnz .LBB163_63
.LBB163_43:
	s_or_b64 exec, exec, s[0:1]
	s_and_saveexec_b64 s[0:1], s[14:15]
	s_cbranch_execnz .LBB163_64
.LBB163_44:
	s_or_b64 exec, exec, s[0:1]
	s_and_saveexec_b64 s[0:1], s[16:17]
	s_cbranch_execnz .LBB163_65
.LBB163_45:
	s_or_b64 exec, exec, s[0:1]
	s_and_saveexec_b64 s[0:1], s[18:19]
	s_cbranch_execnz .LBB163_66
.LBB163_46:
	s_or_b64 exec, exec, s[0:1]
	s_and_saveexec_b64 s[0:1], s[20:21]
	s_cbranch_execnz .LBB163_67
.LBB163_47:
	s_or_b64 exec, exec, s[0:1]
	s_and_saveexec_b64 s[0:1], s[22:23]
	s_cbranch_execnz .LBB163_68
.LBB163_48:
	s_or_b64 exec, exec, s[0:1]
	s_and_saveexec_b64 s[0:1], s[24:25]
	s_cbranch_execnz .LBB163_69
.LBB163_49:
	s_or_b64 exec, exec, s[0:1]
	s_and_saveexec_b64 s[0:1], s[26:27]
	s_cbranch_execnz .LBB163_70
.LBB163_50:
	s_or_b64 exec, exec, s[0:1]
                                        ; implicit-def: $vgpr4
	s_and_saveexec_b64 s[0:1], s[28:29]
.LBB163_51:
	v_lshrrev_b32_e32 v4, 24, v3
	s_or_b64 s[36:37], s[36:37], exec
.LBB163_52:
	s_or_b64 exec, exec, s[0:1]
.LBB163_53:
	s_and_saveexec_b64 s[0:1], s[36:37]
	s_cbranch_execnz .LBB163_55
; %bb.54:
	s_endpgm
.LBB163_55:
	s_add_u32 s0, s34, s33
	s_addc_u32 s1, s35, 0
	v_mov_b32_e32 v1, s1
	v_add_co_u32_e32 v0, vcc, s0, v0
	v_addc_co_u32_e32 v1, vcc, 0, v1, vcc
	s_waitcnt vmcnt(15)
	global_store_byte v[0:1], v4, off offset:960
	s_endpgm
.LBB163_56:
	global_store_byte v[1:2], v13, off
	s_or_b64 exec, exec, s[30:31]
	s_and_saveexec_b64 s[30:31], s[0:1]
	s_cbranch_execz .LBB163_37
.LBB163_57:
	v_lshrrev_b32_e32 v4, 8, v13
	global_store_byte v[1:2], v4, off offset:64
	s_or_b64 exec, exec, s[30:31]
	s_and_saveexec_b64 s[0:1], s[2:3]
	s_cbranch_execz .LBB163_38
.LBB163_58:
	global_store_byte_d16_hi v[1:2], v13, off offset:128
	s_or_b64 exec, exec, s[0:1]
	s_and_saveexec_b64 s[0:1], s[4:5]
	s_cbranch_execz .LBB163_39
.LBB163_59:
	v_lshrrev_b32_e32 v4, 24, v13
	global_store_byte v[1:2], v4, off offset:192
	s_or_b64 exec, exec, s[0:1]
	s_and_saveexec_b64 s[0:1], s[6:7]
	s_cbranch_execz .LBB163_40
.LBB163_60:
	global_store_byte v[1:2], v11, off offset:256
	s_or_b64 exec, exec, s[0:1]
	s_and_saveexec_b64 s[0:1], s[8:9]
	s_cbranch_execz .LBB163_41
.LBB163_61:
	v_lshrrev_b32_e32 v4, 8, v11
	global_store_byte v[1:2], v4, off offset:320
	s_or_b64 exec, exec, s[0:1]
	s_and_saveexec_b64 s[0:1], s[10:11]
	s_cbranch_execz .LBB163_42
.LBB163_62:
	global_store_byte_d16_hi v[1:2], v11, off offset:384
	s_or_b64 exec, exec, s[0:1]
	s_and_saveexec_b64 s[0:1], s[12:13]
	s_cbranch_execz .LBB163_43
.LBB163_63:
	v_lshrrev_b32_e32 v4, 24, v11
	global_store_byte v[1:2], v4, off offset:448
	s_or_b64 exec, exec, s[0:1]
	s_and_saveexec_b64 s[0:1], s[14:15]
	s_cbranch_execz .LBB163_44
.LBB163_64:
	global_store_byte v[1:2], v7, off offset:512
	s_or_b64 exec, exec, s[0:1]
	s_and_saveexec_b64 s[0:1], s[16:17]
	s_cbranch_execz .LBB163_45
.LBB163_65:
	v_lshrrev_b32_e32 v4, 8, v7
	global_store_byte v[1:2], v4, off offset:576
	s_or_b64 exec, exec, s[0:1]
	s_and_saveexec_b64 s[0:1], s[18:19]
	s_cbranch_execz .LBB163_46
.LBB163_66:
	global_store_byte_d16_hi v[1:2], v7, off offset:640
	s_or_b64 exec, exec, s[0:1]
	s_and_saveexec_b64 s[0:1], s[20:21]
	s_cbranch_execz .LBB163_47
.LBB163_67:
	v_lshrrev_b32_e32 v4, 24, v7
	global_store_byte v[1:2], v4, off offset:704
	s_or_b64 exec, exec, s[0:1]
	s_and_saveexec_b64 s[0:1], s[22:23]
	s_cbranch_execz .LBB163_48
.LBB163_68:
	global_store_byte v[1:2], v3, off offset:768
	s_or_b64 exec, exec, s[0:1]
	s_and_saveexec_b64 s[0:1], s[24:25]
	s_cbranch_execz .LBB163_49
.LBB163_69:
	v_lshrrev_b32_e32 v4, 8, v3
	global_store_byte v[1:2], v4, off offset:832
	s_or_b64 exec, exec, s[0:1]
	s_and_saveexec_b64 s[0:1], s[26:27]
	s_cbranch_execz .LBB163_50
.LBB163_70:
	global_store_byte_d16_hi v[1:2], v3, off offset:896
	s_or_b64 exec, exec, s[0:1]
                                        ; implicit-def: $vgpr4
	s_and_saveexec_b64 s[0:1], s[28:29]
	s_cbranch_execnz .LBB163_51
	s_branch .LBB163_52
	.section	.rodata,"a",@progbits
	.p2align	6, 0x0
	.amdhsa_kernel _ZN7rocprim17ROCPRIM_304000_NS6detail16transform_kernelINS1_24wrapped_transform_configINS0_14default_configEbEEbPbS6_NS0_8identityIbEEEEvT1_mT2_T3_
		.amdhsa_group_segment_fixed_size 0
		.amdhsa_private_segment_fixed_size 0
		.amdhsa_kernarg_size 288
		.amdhsa_user_sgpr_count 6
		.amdhsa_user_sgpr_private_segment_buffer 1
		.amdhsa_user_sgpr_dispatch_ptr 0
		.amdhsa_user_sgpr_queue_ptr 0
		.amdhsa_user_sgpr_kernarg_segment_ptr 1
		.amdhsa_user_sgpr_dispatch_id 0
		.amdhsa_user_sgpr_flat_scratch_init 0
		.amdhsa_user_sgpr_private_segment_size 0
		.amdhsa_uses_dynamic_stack 0
		.amdhsa_system_sgpr_private_segment_wavefront_offset 0
		.amdhsa_system_sgpr_workgroup_id_x 1
		.amdhsa_system_sgpr_workgroup_id_y 0
		.amdhsa_system_sgpr_workgroup_id_z 0
		.amdhsa_system_sgpr_workgroup_info 0
		.amdhsa_system_vgpr_workitem_id 0
		.amdhsa_next_free_vgpr 21
		.amdhsa_next_free_sgpr 40
		.amdhsa_reserve_vcc 1
		.amdhsa_reserve_flat_scratch 0
		.amdhsa_float_round_mode_32 0
		.amdhsa_float_round_mode_16_64 0
		.amdhsa_float_denorm_mode_32 3
		.amdhsa_float_denorm_mode_16_64 3
		.amdhsa_dx10_clamp 1
		.amdhsa_ieee_mode 1
		.amdhsa_fp16_overflow 0
		.amdhsa_exception_fp_ieee_invalid_op 0
		.amdhsa_exception_fp_denorm_src 0
		.amdhsa_exception_fp_ieee_div_zero 0
		.amdhsa_exception_fp_ieee_overflow 0
		.amdhsa_exception_fp_ieee_underflow 0
		.amdhsa_exception_fp_ieee_inexact 0
		.amdhsa_exception_int_div_zero 0
	.end_amdhsa_kernel
	.section	.text._ZN7rocprim17ROCPRIM_304000_NS6detail16transform_kernelINS1_24wrapped_transform_configINS0_14default_configEbEEbPbS6_NS0_8identityIbEEEEvT1_mT2_T3_,"axG",@progbits,_ZN7rocprim17ROCPRIM_304000_NS6detail16transform_kernelINS1_24wrapped_transform_configINS0_14default_configEbEEbPbS6_NS0_8identityIbEEEEvT1_mT2_T3_,comdat
.Lfunc_end163:
	.size	_ZN7rocprim17ROCPRIM_304000_NS6detail16transform_kernelINS1_24wrapped_transform_configINS0_14default_configEbEEbPbS6_NS0_8identityIbEEEEvT1_mT2_T3_, .Lfunc_end163-_ZN7rocprim17ROCPRIM_304000_NS6detail16transform_kernelINS1_24wrapped_transform_configINS0_14default_configEbEEbPbS6_NS0_8identityIbEEEEvT1_mT2_T3_
                                        ; -- End function
	.set _ZN7rocprim17ROCPRIM_304000_NS6detail16transform_kernelINS1_24wrapped_transform_configINS0_14default_configEbEEbPbS6_NS0_8identityIbEEEEvT1_mT2_T3_.num_vgpr, 21
	.set _ZN7rocprim17ROCPRIM_304000_NS6detail16transform_kernelINS1_24wrapped_transform_configINS0_14default_configEbEEbPbS6_NS0_8identityIbEEEEvT1_mT2_T3_.num_agpr, 0
	.set _ZN7rocprim17ROCPRIM_304000_NS6detail16transform_kernelINS1_24wrapped_transform_configINS0_14default_configEbEEbPbS6_NS0_8identityIbEEEEvT1_mT2_T3_.numbered_sgpr, 40
	.set _ZN7rocprim17ROCPRIM_304000_NS6detail16transform_kernelINS1_24wrapped_transform_configINS0_14default_configEbEEbPbS6_NS0_8identityIbEEEEvT1_mT2_T3_.num_named_barrier, 0
	.set _ZN7rocprim17ROCPRIM_304000_NS6detail16transform_kernelINS1_24wrapped_transform_configINS0_14default_configEbEEbPbS6_NS0_8identityIbEEEEvT1_mT2_T3_.private_seg_size, 0
	.set _ZN7rocprim17ROCPRIM_304000_NS6detail16transform_kernelINS1_24wrapped_transform_configINS0_14default_configEbEEbPbS6_NS0_8identityIbEEEEvT1_mT2_T3_.uses_vcc, 1
	.set _ZN7rocprim17ROCPRIM_304000_NS6detail16transform_kernelINS1_24wrapped_transform_configINS0_14default_configEbEEbPbS6_NS0_8identityIbEEEEvT1_mT2_T3_.uses_flat_scratch, 0
	.set _ZN7rocprim17ROCPRIM_304000_NS6detail16transform_kernelINS1_24wrapped_transform_configINS0_14default_configEbEEbPbS6_NS0_8identityIbEEEEvT1_mT2_T3_.has_dyn_sized_stack, 0
	.set _ZN7rocprim17ROCPRIM_304000_NS6detail16transform_kernelINS1_24wrapped_transform_configINS0_14default_configEbEEbPbS6_NS0_8identityIbEEEEvT1_mT2_T3_.has_recursion, 0
	.set _ZN7rocprim17ROCPRIM_304000_NS6detail16transform_kernelINS1_24wrapped_transform_configINS0_14default_configEbEEbPbS6_NS0_8identityIbEEEEvT1_mT2_T3_.has_indirect_call, 0
	.section	.AMDGPU.csdata,"",@progbits
; Kernel info:
; codeLenInByte = 2196
; TotalNumSgprs: 44
; NumVgprs: 21
; ScratchSize: 0
; MemoryBound: 0
; FloatMode: 240
; IeeeMode: 1
; LDSByteSize: 0 bytes/workgroup (compile time only)
; SGPRBlocks: 5
; VGPRBlocks: 5
; NumSGPRsForWavesPerEU: 44
; NumVGPRsForWavesPerEU: 21
; Occupancy: 10
; WaveLimiterHint : 0
; COMPUTE_PGM_RSRC2:SCRATCH_EN: 0
; COMPUTE_PGM_RSRC2:USER_SGPR: 6
; COMPUTE_PGM_RSRC2:TRAP_HANDLER: 0
; COMPUTE_PGM_RSRC2:TGID_X_EN: 1
; COMPUTE_PGM_RSRC2:TGID_Y_EN: 0
; COMPUTE_PGM_RSRC2:TGID_Z_EN: 0
; COMPUTE_PGM_RSRC2:TIDIG_COMP_CNT: 0
	.section	.text._ZN7rocprim17ROCPRIM_304000_NS6detail45device_block_merge_mergepath_partition_kernelINS1_37wrapped_merge_sort_block_merge_configINS0_14default_configEbN2at4cuda3cub6detail10OpaqueTypeILi8EEEEEPbjNS1_19radix_merge_compareILb1ELb1EbNS0_19identity_decomposerEEEEEvT0_T1_jPSH_T2_SH_,"axG",@progbits,_ZN7rocprim17ROCPRIM_304000_NS6detail45device_block_merge_mergepath_partition_kernelINS1_37wrapped_merge_sort_block_merge_configINS0_14default_configEbN2at4cuda3cub6detail10OpaqueTypeILi8EEEEEPbjNS1_19radix_merge_compareILb1ELb1EbNS0_19identity_decomposerEEEEEvT0_T1_jPSH_T2_SH_,comdat
	.protected	_ZN7rocprim17ROCPRIM_304000_NS6detail45device_block_merge_mergepath_partition_kernelINS1_37wrapped_merge_sort_block_merge_configINS0_14default_configEbN2at4cuda3cub6detail10OpaqueTypeILi8EEEEEPbjNS1_19radix_merge_compareILb1ELb1EbNS0_19identity_decomposerEEEEEvT0_T1_jPSH_T2_SH_ ; -- Begin function _ZN7rocprim17ROCPRIM_304000_NS6detail45device_block_merge_mergepath_partition_kernelINS1_37wrapped_merge_sort_block_merge_configINS0_14default_configEbN2at4cuda3cub6detail10OpaqueTypeILi8EEEEEPbjNS1_19radix_merge_compareILb1ELb1EbNS0_19identity_decomposerEEEEEvT0_T1_jPSH_T2_SH_
	.globl	_ZN7rocprim17ROCPRIM_304000_NS6detail45device_block_merge_mergepath_partition_kernelINS1_37wrapped_merge_sort_block_merge_configINS0_14default_configEbN2at4cuda3cub6detail10OpaqueTypeILi8EEEEEPbjNS1_19radix_merge_compareILb1ELb1EbNS0_19identity_decomposerEEEEEvT0_T1_jPSH_T2_SH_
	.p2align	8
	.type	_ZN7rocprim17ROCPRIM_304000_NS6detail45device_block_merge_mergepath_partition_kernelINS1_37wrapped_merge_sort_block_merge_configINS0_14default_configEbN2at4cuda3cub6detail10OpaqueTypeILi8EEEEEPbjNS1_19radix_merge_compareILb1ELb1EbNS0_19identity_decomposerEEEEEvT0_T1_jPSH_T2_SH_,@function
_ZN7rocprim17ROCPRIM_304000_NS6detail45device_block_merge_mergepath_partition_kernelINS1_37wrapped_merge_sort_block_merge_configINS0_14default_configEbN2at4cuda3cub6detail10OpaqueTypeILi8EEEEEPbjNS1_19radix_merge_compareILb1ELb1EbNS0_19identity_decomposerEEEEEvT0_T1_jPSH_T2_SH_: ; @_ZN7rocprim17ROCPRIM_304000_NS6detail45device_block_merge_mergepath_partition_kernelINS1_37wrapped_merge_sort_block_merge_configINS0_14default_configEbN2at4cuda3cub6detail10OpaqueTypeILi8EEEEEPbjNS1_19radix_merge_compareILb1ELb1EbNS0_19identity_decomposerEEEEEvT0_T1_jPSH_T2_SH_
; %bb.0:
	s_load_dwordx2 s[10:11], s[4:5], 0x4
	s_load_dwordx2 s[0:1], s[6:7], 0x8
	s_load_dwordx2 s[2:3], s[6:7], 0x18
	s_waitcnt lgkmcnt(0)
	s_lshr_b32 s4, s10, 16
	s_mul_i32 s4, s4, s11
	v_mul_u32_u24_e32 v3, s4, v0
	v_mul_u32_u24_e32 v1, s11, v1
	s_and_b32 s2, s2, 1
	v_lshl_or_b32 v0, s8, 7, v0
	v_add3_u32 v5, v3, v1, v2
	v_mov_b32_e32 v1, s2
	v_cmp_gt_u32_e32 vcc, s1, v0
	ds_write_b8 v5, v1
	s_and_saveexec_b64 s[4:5], vcc
	s_cbranch_execz .LBB164_6
; %bb.1:
	s_lshr_b32 s1, s3, 9
	s_and_b32 s1, s1, 0x7ffffe
	s_add_i32 s2, s1, -1
	s_sub_i32 s1, 0, s1
	v_and_b32_e32 v1, s1, v0
	v_lshlrev_b32_e32 v3, 10, v1
	v_min_u32_e32 v1, s0, v3
	v_add_u32_e32 v3, s3, v3
	ds_read_u8 v6, v5
	v_min_u32_e32 v8, s0, v3
	v_add_u32_e32 v3, s3, v8
	v_and_b32_e32 v2, s2, v0
	v_min_u32_e32 v4, s0, v3
	v_sub_u32_e32 v3, v4, v1
	v_lshlrev_b32_e32 v2, 10, v2
	v_min_u32_e32 v3, v3, v2
	v_sub_u32_e32 v7, v8, v1
	v_sub_u32_e32 v2, v4, v8
	s_waitcnt lgkmcnt(0)
	v_and_b32_e32 v4, 1, v6
	ds_write_b8 v5, v4 offset:128
	v_sub_u32_e64 v2, v3, v2 clamp
	v_min_u32_e32 v4, v3, v7
	v_cmp_lt_u32_e32 vcc, v2, v4
	s_and_saveexec_b64 s[0:1], vcc
	s_cbranch_execz .LBB164_5
; %bb.2:
	s_load_dwordx2 s[2:3], s[6:7], 0x0
	ds_read_u8 v5, v5 offset:128
	s_waitcnt lgkmcnt(0)
	v_mov_b32_e32 v9, s3
	v_add_co_u32_e32 v6, vcc, s2, v1
	v_addc_co_u32_e32 v7, vcc, 0, v9, vcc
	v_add_co_u32_e32 v8, vcc, s2, v8
	v_addc_co_u32_e32 v9, vcc, 0, v9, vcc
	s_mov_b64 s[2:3], 0
.LBB164_3:                              ; =>This Inner Loop Header: Depth=1
	v_add_u32_e32 v10, v4, v2
	v_lshrrev_b32_e32 v14, 1, v10
	v_add_co_u32_e32 v10, vcc, v6, v14
	v_xad_u32 v12, v14, -1, v3
	v_addc_co_u32_e32 v11, vcc, 0, v7, vcc
	v_add_co_u32_e32 v12, vcc, v8, v12
	v_addc_co_u32_e32 v13, vcc, 0, v9, vcc
	global_load_ubyte v15, v[10:11], off
	global_load_ubyte v16, v[12:13], off
	v_add_u32_e32 v10, 1, v14
	s_waitcnt vmcnt(1)
	v_and_b32_e32 v11, v15, v5
	s_waitcnt vmcnt(0)
	v_and_b32_e32 v12, v16, v5
	v_and_b32_e32 v11, 1, v11
	;; [unrolled: 1-line block ×3, first 2 shown]
	v_cmp_gt_u16_e32 vcc, v12, v11
	v_cndmask_b32_e32 v4, v4, v14, vcc
	v_cndmask_b32_e32 v2, v10, v2, vcc
	v_cmp_ge_u32_e32 vcc, v2, v4
	s_or_b64 s[2:3], vcc, s[2:3]
	s_andn2_b64 exec, exec, s[2:3]
	s_cbranch_execnz .LBB164_3
; %bb.4:
	s_or_b64 exec, exec, s[2:3]
.LBB164_5:
	s_or_b64 exec, exec, s[0:1]
	s_load_dwordx2 s[0:1], s[6:7], 0x10
	v_add_u32_e32 v2, v2, v1
	v_mov_b32_e32 v1, 0
	v_lshlrev_b64 v[0:1], 2, v[0:1]
	s_waitcnt lgkmcnt(0)
	v_mov_b32_e32 v3, s1
	v_add_co_u32_e32 v0, vcc, s0, v0
	v_addc_co_u32_e32 v1, vcc, v3, v1, vcc
	global_store_dword v[0:1], v2, off
.LBB164_6:
	s_endpgm
	.section	.rodata,"a",@progbits
	.p2align	6, 0x0
	.amdhsa_kernel _ZN7rocprim17ROCPRIM_304000_NS6detail45device_block_merge_mergepath_partition_kernelINS1_37wrapped_merge_sort_block_merge_configINS0_14default_configEbN2at4cuda3cub6detail10OpaqueTypeILi8EEEEEPbjNS1_19radix_merge_compareILb1ELb1EbNS0_19identity_decomposerEEEEEvT0_T1_jPSH_T2_SH_
		.amdhsa_group_segment_fixed_size 256
		.amdhsa_private_segment_fixed_size 0
		.amdhsa_kernarg_size 32
		.amdhsa_user_sgpr_count 8
		.amdhsa_user_sgpr_private_segment_buffer 1
		.amdhsa_user_sgpr_dispatch_ptr 1
		.amdhsa_user_sgpr_queue_ptr 0
		.amdhsa_user_sgpr_kernarg_segment_ptr 1
		.amdhsa_user_sgpr_dispatch_id 0
		.amdhsa_user_sgpr_flat_scratch_init 0
		.amdhsa_user_sgpr_private_segment_size 0
		.amdhsa_uses_dynamic_stack 0
		.amdhsa_system_sgpr_private_segment_wavefront_offset 0
		.amdhsa_system_sgpr_workgroup_id_x 1
		.amdhsa_system_sgpr_workgroup_id_y 0
		.amdhsa_system_sgpr_workgroup_id_z 0
		.amdhsa_system_sgpr_workgroup_info 0
		.amdhsa_system_vgpr_workitem_id 2
		.amdhsa_next_free_vgpr 17
		.amdhsa_next_free_sgpr 12
		.amdhsa_reserve_vcc 1
		.amdhsa_reserve_flat_scratch 0
		.amdhsa_float_round_mode_32 0
		.amdhsa_float_round_mode_16_64 0
		.amdhsa_float_denorm_mode_32 3
		.amdhsa_float_denorm_mode_16_64 3
		.amdhsa_dx10_clamp 1
		.amdhsa_ieee_mode 1
		.amdhsa_fp16_overflow 0
		.amdhsa_exception_fp_ieee_invalid_op 0
		.amdhsa_exception_fp_denorm_src 0
		.amdhsa_exception_fp_ieee_div_zero 0
		.amdhsa_exception_fp_ieee_overflow 0
		.amdhsa_exception_fp_ieee_underflow 0
		.amdhsa_exception_fp_ieee_inexact 0
		.amdhsa_exception_int_div_zero 0
	.end_amdhsa_kernel
	.section	.text._ZN7rocprim17ROCPRIM_304000_NS6detail45device_block_merge_mergepath_partition_kernelINS1_37wrapped_merge_sort_block_merge_configINS0_14default_configEbN2at4cuda3cub6detail10OpaqueTypeILi8EEEEEPbjNS1_19radix_merge_compareILb1ELb1EbNS0_19identity_decomposerEEEEEvT0_T1_jPSH_T2_SH_,"axG",@progbits,_ZN7rocprim17ROCPRIM_304000_NS6detail45device_block_merge_mergepath_partition_kernelINS1_37wrapped_merge_sort_block_merge_configINS0_14default_configEbN2at4cuda3cub6detail10OpaqueTypeILi8EEEEEPbjNS1_19radix_merge_compareILb1ELb1EbNS0_19identity_decomposerEEEEEvT0_T1_jPSH_T2_SH_,comdat
.Lfunc_end164:
	.size	_ZN7rocprim17ROCPRIM_304000_NS6detail45device_block_merge_mergepath_partition_kernelINS1_37wrapped_merge_sort_block_merge_configINS0_14default_configEbN2at4cuda3cub6detail10OpaqueTypeILi8EEEEEPbjNS1_19radix_merge_compareILb1ELb1EbNS0_19identity_decomposerEEEEEvT0_T1_jPSH_T2_SH_, .Lfunc_end164-_ZN7rocprim17ROCPRIM_304000_NS6detail45device_block_merge_mergepath_partition_kernelINS1_37wrapped_merge_sort_block_merge_configINS0_14default_configEbN2at4cuda3cub6detail10OpaqueTypeILi8EEEEEPbjNS1_19radix_merge_compareILb1ELb1EbNS0_19identity_decomposerEEEEEvT0_T1_jPSH_T2_SH_
                                        ; -- End function
	.set _ZN7rocprim17ROCPRIM_304000_NS6detail45device_block_merge_mergepath_partition_kernelINS1_37wrapped_merge_sort_block_merge_configINS0_14default_configEbN2at4cuda3cub6detail10OpaqueTypeILi8EEEEEPbjNS1_19radix_merge_compareILb1ELb1EbNS0_19identity_decomposerEEEEEvT0_T1_jPSH_T2_SH_.num_vgpr, 17
	.set _ZN7rocprim17ROCPRIM_304000_NS6detail45device_block_merge_mergepath_partition_kernelINS1_37wrapped_merge_sort_block_merge_configINS0_14default_configEbN2at4cuda3cub6detail10OpaqueTypeILi8EEEEEPbjNS1_19radix_merge_compareILb1ELb1EbNS0_19identity_decomposerEEEEEvT0_T1_jPSH_T2_SH_.num_agpr, 0
	.set _ZN7rocprim17ROCPRIM_304000_NS6detail45device_block_merge_mergepath_partition_kernelINS1_37wrapped_merge_sort_block_merge_configINS0_14default_configEbN2at4cuda3cub6detail10OpaqueTypeILi8EEEEEPbjNS1_19radix_merge_compareILb1ELb1EbNS0_19identity_decomposerEEEEEvT0_T1_jPSH_T2_SH_.numbered_sgpr, 12
	.set _ZN7rocprim17ROCPRIM_304000_NS6detail45device_block_merge_mergepath_partition_kernelINS1_37wrapped_merge_sort_block_merge_configINS0_14default_configEbN2at4cuda3cub6detail10OpaqueTypeILi8EEEEEPbjNS1_19radix_merge_compareILb1ELb1EbNS0_19identity_decomposerEEEEEvT0_T1_jPSH_T2_SH_.num_named_barrier, 0
	.set _ZN7rocprim17ROCPRIM_304000_NS6detail45device_block_merge_mergepath_partition_kernelINS1_37wrapped_merge_sort_block_merge_configINS0_14default_configEbN2at4cuda3cub6detail10OpaqueTypeILi8EEEEEPbjNS1_19radix_merge_compareILb1ELb1EbNS0_19identity_decomposerEEEEEvT0_T1_jPSH_T2_SH_.private_seg_size, 0
	.set _ZN7rocprim17ROCPRIM_304000_NS6detail45device_block_merge_mergepath_partition_kernelINS1_37wrapped_merge_sort_block_merge_configINS0_14default_configEbN2at4cuda3cub6detail10OpaqueTypeILi8EEEEEPbjNS1_19radix_merge_compareILb1ELb1EbNS0_19identity_decomposerEEEEEvT0_T1_jPSH_T2_SH_.uses_vcc, 1
	.set _ZN7rocprim17ROCPRIM_304000_NS6detail45device_block_merge_mergepath_partition_kernelINS1_37wrapped_merge_sort_block_merge_configINS0_14default_configEbN2at4cuda3cub6detail10OpaqueTypeILi8EEEEEPbjNS1_19radix_merge_compareILb1ELb1EbNS0_19identity_decomposerEEEEEvT0_T1_jPSH_T2_SH_.uses_flat_scratch, 0
	.set _ZN7rocprim17ROCPRIM_304000_NS6detail45device_block_merge_mergepath_partition_kernelINS1_37wrapped_merge_sort_block_merge_configINS0_14default_configEbN2at4cuda3cub6detail10OpaqueTypeILi8EEEEEPbjNS1_19radix_merge_compareILb1ELb1EbNS0_19identity_decomposerEEEEEvT0_T1_jPSH_T2_SH_.has_dyn_sized_stack, 0
	.set _ZN7rocprim17ROCPRIM_304000_NS6detail45device_block_merge_mergepath_partition_kernelINS1_37wrapped_merge_sort_block_merge_configINS0_14default_configEbN2at4cuda3cub6detail10OpaqueTypeILi8EEEEEPbjNS1_19radix_merge_compareILb1ELb1EbNS0_19identity_decomposerEEEEEvT0_T1_jPSH_T2_SH_.has_recursion, 0
	.set _ZN7rocprim17ROCPRIM_304000_NS6detail45device_block_merge_mergepath_partition_kernelINS1_37wrapped_merge_sort_block_merge_configINS0_14default_configEbN2at4cuda3cub6detail10OpaqueTypeILi8EEEEEPbjNS1_19radix_merge_compareILb1ELb1EbNS0_19identity_decomposerEEEEEvT0_T1_jPSH_T2_SH_.has_indirect_call, 0
	.section	.AMDGPU.csdata,"",@progbits
; Kernel info:
; codeLenInByte = 416
; TotalNumSgprs: 16
; NumVgprs: 17
; ScratchSize: 0
; MemoryBound: 0
; FloatMode: 240
; IeeeMode: 1
; LDSByteSize: 256 bytes/workgroup (compile time only)
; SGPRBlocks: 1
; VGPRBlocks: 4
; NumSGPRsForWavesPerEU: 16
; NumVGPRsForWavesPerEU: 17
; Occupancy: 10
; WaveLimiterHint : 0
; COMPUTE_PGM_RSRC2:SCRATCH_EN: 0
; COMPUTE_PGM_RSRC2:USER_SGPR: 8
; COMPUTE_PGM_RSRC2:TRAP_HANDLER: 0
; COMPUTE_PGM_RSRC2:TGID_X_EN: 1
; COMPUTE_PGM_RSRC2:TGID_Y_EN: 0
; COMPUTE_PGM_RSRC2:TGID_Z_EN: 0
; COMPUTE_PGM_RSRC2:TIDIG_COMP_CNT: 2
	.section	.text._ZN7rocprim17ROCPRIM_304000_NS6detail35device_block_merge_mergepath_kernelINS1_37wrapped_merge_sort_block_merge_configINS0_14default_configEbN2at4cuda3cub6detail10OpaqueTypeILi8EEEEEPbSC_PSA_SD_jNS1_19radix_merge_compareILb1ELb1EbNS0_19identity_decomposerEEEEEvT0_T1_T2_T3_T4_SL_jT5_PKSL_NS1_7vsmem_tE,"axG",@progbits,_ZN7rocprim17ROCPRIM_304000_NS6detail35device_block_merge_mergepath_kernelINS1_37wrapped_merge_sort_block_merge_configINS0_14default_configEbN2at4cuda3cub6detail10OpaqueTypeILi8EEEEEPbSC_PSA_SD_jNS1_19radix_merge_compareILb1ELb1EbNS0_19identity_decomposerEEEEEvT0_T1_T2_T3_T4_SL_jT5_PKSL_NS1_7vsmem_tE,comdat
	.protected	_ZN7rocprim17ROCPRIM_304000_NS6detail35device_block_merge_mergepath_kernelINS1_37wrapped_merge_sort_block_merge_configINS0_14default_configEbN2at4cuda3cub6detail10OpaqueTypeILi8EEEEEPbSC_PSA_SD_jNS1_19radix_merge_compareILb1ELb1EbNS0_19identity_decomposerEEEEEvT0_T1_T2_T3_T4_SL_jT5_PKSL_NS1_7vsmem_tE ; -- Begin function _ZN7rocprim17ROCPRIM_304000_NS6detail35device_block_merge_mergepath_kernelINS1_37wrapped_merge_sort_block_merge_configINS0_14default_configEbN2at4cuda3cub6detail10OpaqueTypeILi8EEEEEPbSC_PSA_SD_jNS1_19radix_merge_compareILb1ELb1EbNS0_19identity_decomposerEEEEEvT0_T1_T2_T3_T4_SL_jT5_PKSL_NS1_7vsmem_tE
	.globl	_ZN7rocprim17ROCPRIM_304000_NS6detail35device_block_merge_mergepath_kernelINS1_37wrapped_merge_sort_block_merge_configINS0_14default_configEbN2at4cuda3cub6detail10OpaqueTypeILi8EEEEEPbSC_PSA_SD_jNS1_19radix_merge_compareILb1ELb1EbNS0_19identity_decomposerEEEEEvT0_T1_T2_T3_T4_SL_jT5_PKSL_NS1_7vsmem_tE
	.p2align	8
	.type	_ZN7rocprim17ROCPRIM_304000_NS6detail35device_block_merge_mergepath_kernelINS1_37wrapped_merge_sort_block_merge_configINS0_14default_configEbN2at4cuda3cub6detail10OpaqueTypeILi8EEEEEPbSC_PSA_SD_jNS1_19radix_merge_compareILb1ELb1EbNS0_19identity_decomposerEEEEEvT0_T1_T2_T3_T4_SL_jT5_PKSL_NS1_7vsmem_tE,@function
_ZN7rocprim17ROCPRIM_304000_NS6detail35device_block_merge_mergepath_kernelINS1_37wrapped_merge_sort_block_merge_configINS0_14default_configEbN2at4cuda3cub6detail10OpaqueTypeILi8EEEEEPbSC_PSA_SD_jNS1_19radix_merge_compareILb1ELb1EbNS0_19identity_decomposerEEEEEvT0_T1_T2_T3_T4_SL_jT5_PKSL_NS1_7vsmem_tE: ; @_ZN7rocprim17ROCPRIM_304000_NS6detail35device_block_merge_mergepath_kernelINS1_37wrapped_merge_sort_block_merge_configINS0_14default_configEbN2at4cuda3cub6detail10OpaqueTypeILi8EEEEEPbSC_PSA_SD_jNS1_19radix_merge_compareILb1ELb1EbNS0_19identity_decomposerEEEEEvT0_T1_T2_T3_T4_SL_jT5_PKSL_NS1_7vsmem_tE
; %bb.0:
	s_load_dwordx4 s[16:19], s[4:5], 0x20
	s_load_dwordx2 s[24:25], s[4:5], 0x40
	s_add_u32 s0, s0, s9
	s_addc_u32 s1, s1, 0
	s_waitcnt lgkmcnt(0)
	s_and_b32 s9, s19, 1
	v_mov_b32_e32 v1, s9
	buffer_store_byte v1, off, s[0:3], 0 offset:4
	buffer_load_ubyte v1, off, s[0:3], 0 offset:4
	s_mul_i32 s8, s25, s8
	s_add_u32 s28, s4, 64
	s_addc_u32 s29, s5, 0
	s_add_i32 s7, s8, s7
	s_mul_i32 s7, s7, s24
	s_add_i32 s26, s7, s6
	s_cmp_ge_u32 s26, s18
	s_waitcnt vmcnt(0)
	v_and_b32_e32 v1, 1, v1
	buffer_store_byte v1, off, s[0:3], 0 offset:3
	s_cbranch_scc1 .LBB165_111
; %bb.1:
	s_load_dwordx8 s[8:15], s[4:5], 0x0
	s_load_dwordx2 s[20:21], s[4:5], 0x30
	s_lshr_b32 s7, s16, 10
	s_cmp_lg_u32 s26, s7
	s_mov_b32 s27, 0
	s_cselect_b64 s[18:19], -1, 0
	s_lshl_b64 s[4:5], s[26:27], 2
	s_waitcnt lgkmcnt(0)
	s_add_u32 s4, s20, s4
	s_addc_u32 s5, s21, s5
	s_load_dwordx2 s[20:21], s[4:5], 0x0
	s_lshr_b32 s4, s17, 9
	s_and_b32 s4, s4, 0x7ffffe
	s_sub_i32 s4, 0, s4
	s_and_b32 s5, s26, s4
	s_lshl_b32 s23, s5, 10
	s_lshl_b32 s30, s26, 10
	;; [unrolled: 1-line block ×3, first 2 shown]
	s_sub_i32 s22, s30, s23
	s_add_i32 s5, s5, s17
	s_add_i32 s25, s5, s22
	s_waitcnt lgkmcnt(0)
	s_sub_i32 s22, s25, s20
	s_sub_i32 s25, s25, s21
	;; [unrolled: 1-line block ×3, first 2 shown]
	s_min_u32 s22, s16, s22
	s_addk_i32 s25, 0x400
	s_or_b32 s4, s26, s4
	s_min_u32 s23, s16, s5
	s_add_i32 s5, s5, s17
	s_cmp_eq_u32 s4, -1
	s_cselect_b32 s4, s5, s25
	s_cselect_b32 s5, s23, s21
	s_min_u32 s4, s4, s16
	s_sub_i32 s17, s5, s20
	s_sub_i32 s31, s4, s22
	s_add_u32 s25, s8, s20
	s_addc_u32 s33, s9, 0
	s_add_u32 s8, s8, s22
	v_mov_b32_e32 v1, 0
	global_load_dword v2, v1, s[28:29] offset:14
	s_addc_u32 s9, s9, 0
	s_cmp_lt_u32 s6, s24
	s_cselect_b32 s4, 12, 18
	s_add_u32 s4, s28, s4
	s_addc_u32 s5, s29, 0
	global_load_ushort v1, v1, s[4:5]
	s_mov_b32 s21, s27
	s_mov_b32 s23, s27
	s_cmp_eq_u32 s26, s7
	v_cmp_gt_u32_e32 vcc, s17, v0
	s_waitcnt vmcnt(1)
	v_lshrrev_b32_e32 v3, 16, v2
	v_and_b32_e32 v2, 0xffff, v2
	v_mul_lo_u32 v2, v2, v3
	s_waitcnt vmcnt(0)
	v_mul_lo_u32 v3, v2, v1
	v_add_u32_e32 v4, v3, v0
	s_cbranch_scc1 .LBB165_3
; %bb.2:
	v_subrev_u32_e32 v1, s17, v0
	v_mov_b32_e32 v17, s8
	v_mov_b32_e32 v18, s25
	v_min_u32_e32 v1, v0, v1
	v_mov_b32_e32 v15, s9
	v_mov_b32_e32 v16, s33
	v_cndmask_b32_e32 v5, v17, v18, vcc
	v_cndmask_b32_e32 v2, v15, v16, vcc
	v_add_co_u32_e32 v1, vcc, v5, v1
	v_addc_co_u32_e32 v2, vcc, 0, v2, vcc
	v_subrev_u32_e32 v5, s17, v4
	v_cmp_gt_u32_e32 vcc, s17, v4
	v_min_u32_e32 v5, v4, v5
	v_cndmask_b32_e32 v7, v17, v18, vcc
	v_cndmask_b32_e32 v6, v15, v16, vcc
	v_add_co_u32_e32 v5, vcc, v7, v5
	v_addc_co_u32_e32 v6, vcc, 0, v6, vcc
	v_add_u32_e32 v9, v4, v3
	v_subrev_u32_e32 v7, s17, v9
	v_cmp_gt_u32_e32 vcc, s17, v9
	v_min_u32_e32 v7, v9, v7
	v_cndmask_b32_e32 v10, v17, v18, vcc
	v_cndmask_b32_e32 v8, v15, v16, vcc
	v_add_co_u32_e32 v7, vcc, v10, v7
	v_addc_co_u32_e32 v8, vcc, 0, v8, vcc
	v_add_u32_e32 v11, v9, v3
	;; [unrolled: 8-line block ×5, first 2 shown]
	v_subrev_u32_e32 v20, s17, v19
	v_cmp_gt_u32_e32 vcc, s17, v19
	v_min_u32_e32 v20, v19, v20
	v_cndmask_b32_e32 v16, v15, v16, vcc
	v_cndmask_b32_e32 v15, v17, v18, vcc
	v_add_co_u32_e32 v15, vcc, v15, v20
	v_addc_co_u32_e32 v16, vcc, 0, v16, vcc
	global_load_ubyte v17, v[7:8], off
	global_load_ubyte v18, v[5:6], off
	;; [unrolled: 1-line block ×7, first 2 shown]
	s_mov_b32 s24, 0xc0c0004
	s_add_i32 s26, s31, s17
	s_mov_b64 s[4:5], -1
	v_add_u32_e32 v5, v19, v3
	v_mov_b32_e32 v7, s26
	s_waitcnt vmcnt(4)
	v_perm_b32 v1, v20, v18, s24
	s_waitcnt vmcnt(3)
	v_perm_b32 v2, v17, v21, s24
	v_lshl_or_b32 v1, v2, 16, v1
	s_waitcnt vmcnt(1)
	v_perm_b32 v2, v22, v23, s24
	s_waitcnt vmcnt(0)
	v_lshl_or_b32 v2, v24, 16, v2
	s_cbranch_execz .LBB165_4
	s_branch .LBB165_19
.LBB165_3:
	s_mov_b64 s[4:5], 0
                                        ; implicit-def: $vgpr5
                                        ; implicit-def: $vgpr1_vgpr2
                                        ; implicit-def: $vgpr7
.LBB165_4:
	s_add_i32 s6, s31, s17
	v_mov_b32_e32 v1, 0
	v_cmp_gt_u32_e32 vcc, s6, v0
	s_mov_b32 s7, 0
	v_mov_b32_e32 v2, v1
	s_and_saveexec_b64 s[4:5], vcc
	s_cbranch_execz .LBB165_6
; %bb.5:
	v_mov_b32_e32 v1, s9
	v_mov_b32_e32 v2, s33
	v_cmp_gt_u32_e32 vcc, s17, v0
	v_cndmask_b32_e32 v2, v1, v2, vcc
	v_mov_b32_e32 v1, s8
	v_mov_b32_e32 v5, s25
	v_cndmask_b32_e32 v1, v1, v5, vcc
	v_subrev_u32_e32 v5, s17, v0
	v_min_u32_e32 v5, v0, v5
	v_add_co_u32_e32 v1, vcc, v1, v5
	v_addc_co_u32_e32 v2, vcc, 0, v2, vcc
	global_load_ubyte v1, v[1:2], off
	v_mov_b32_e32 v2, s7
	s_waitcnt vmcnt(0)
	v_and_b32_e32 v1, 0xffff, v1
.LBB165_6:
	s_or_b64 exec, exec, s[4:5]
	v_cmp_gt_u32_e32 vcc, s6, v4
	s_and_saveexec_b64 s[4:5], vcc
	s_cbranch_execz .LBB165_8
; %bb.7:
	v_mov_b32_e32 v5, s9
	v_mov_b32_e32 v6, s33
	v_cmp_gt_u32_e32 vcc, s17, v4
	v_cndmask_b32_e32 v6, v5, v6, vcc
	v_mov_b32_e32 v5, s8
	v_mov_b32_e32 v7, s25
	v_cndmask_b32_e32 v5, v5, v7, vcc
	v_subrev_u32_e32 v7, s17, v4
	v_min_u32_e32 v7, v4, v7
	v_add_co_u32_e32 v5, vcc, v5, v7
	v_addc_co_u32_e32 v6, vcc, 0, v6, vcc
	global_load_ubyte v5, v[5:6], off
	s_mov_b32 s7, 0x7060004
	s_waitcnt vmcnt(0)
	v_perm_b32 v1, v1, v5, s7
.LBB165_8:
	s_or_b64 exec, exec, s[4:5]
	v_add_u32_e32 v4, v4, v3
	v_cmp_gt_u32_e32 vcc, s6, v4
	s_and_saveexec_b64 s[4:5], vcc
	s_cbranch_execz .LBB165_10
; %bb.9:
	v_mov_b32_e32 v5, s9
	v_mov_b32_e32 v6, s33
	v_cmp_gt_u32_e32 vcc, s17, v4
	v_cndmask_b32_e32 v6, v5, v6, vcc
	v_mov_b32_e32 v5, s8
	v_mov_b32_e32 v7, s25
	v_cndmask_b32_e32 v5, v5, v7, vcc
	v_subrev_u32_e32 v7, s17, v4
	v_min_u32_e32 v7, v4, v7
	v_add_co_u32_e32 v5, vcc, v5, v7
	v_addc_co_u32_e32 v6, vcc, 0, v6, vcc
	global_load_ubyte v5, v[5:6], off
	s_mov_b32 s7, 0xc0c0304
	s_waitcnt vmcnt(0)
	v_perm_b32 v5, v5, v1, s7
	v_lshlrev_b32_e32 v5, 16, v5
	s_mov_b32 s7, 0xffff
	v_and_or_b32 v1, v1, s7, v5
.LBB165_10:
	s_or_b64 exec, exec, s[4:5]
	v_add_u32_e32 v4, v4, v3
	v_cmp_gt_u32_e32 vcc, s6, v4
	s_and_saveexec_b64 s[4:5], vcc
	s_cbranch_execz .LBB165_12
; %bb.11:
	v_mov_b32_e32 v5, s9
	v_mov_b32_e32 v6, s33
	v_cmp_gt_u32_e32 vcc, s17, v4
	v_cndmask_b32_e32 v6, v5, v6, vcc
	v_mov_b32_e32 v5, s8
	v_mov_b32_e32 v7, s25
	v_cndmask_b32_e32 v5, v5, v7, vcc
	v_subrev_u32_e32 v7, s17, v4
	v_min_u32_e32 v7, v4, v7
	v_add_co_u32_e32 v5, vcc, v5, v7
	v_addc_co_u32_e32 v6, vcc, 0, v6, vcc
	global_load_ubyte v5, v[5:6], off
	s_mov_b32 s7, 0xc0c0006
	s_waitcnt vmcnt(0)
	v_perm_b32 v5, v1, v5, s7
	v_lshlrev_b32_e32 v5, 16, v5
	s_mov_b32 s7, 0xffff
	v_and_or_b32 v1, v1, s7, v5
.LBB165_12:
	s_or_b64 exec, exec, s[4:5]
	v_add_u32_e32 v4, v4, v3
	v_cmp_gt_u32_e32 vcc, s6, v4
	s_and_saveexec_b64 s[4:5], vcc
	s_cbranch_execz .LBB165_14
; %bb.13:
	v_mov_b32_e32 v5, s9
	v_mov_b32_e32 v6, s33
	v_cmp_gt_u32_e32 vcc, s17, v4
	v_cndmask_b32_e32 v6, v5, v6, vcc
	v_mov_b32_e32 v5, s8
	v_mov_b32_e32 v7, s25
	v_cndmask_b32_e32 v5, v5, v7, vcc
	v_subrev_u32_e32 v7, s17, v4
	v_min_u32_e32 v7, v4, v7
	v_add_co_u32_e32 v5, vcc, v5, v7
	v_addc_co_u32_e32 v6, vcc, 0, v6, vcc
	global_load_ubyte v5, v[5:6], off
	s_mov_b32 s7, 0x3020104
	s_waitcnt vmcnt(0)
	v_perm_b32 v2, v5, v2, s7
.LBB165_14:
	s_or_b64 exec, exec, s[4:5]
	v_add_u32_e32 v4, v4, v3
	v_cmp_gt_u32_e32 vcc, s6, v4
	s_and_saveexec_b64 s[4:5], vcc
	s_cbranch_execz .LBB165_16
; %bb.15:
	v_mov_b32_e32 v5, s9
	v_mov_b32_e32 v6, s33
	v_cmp_gt_u32_e32 vcc, s17, v4
	v_cndmask_b32_e32 v6, v5, v6, vcc
	v_mov_b32_e32 v5, s8
	v_mov_b32_e32 v7, s25
	v_cndmask_b32_e32 v5, v5, v7, vcc
	v_subrev_u32_e32 v7, s17, v4
	v_min_u32_e32 v7, v4, v7
	v_add_co_u32_e32 v5, vcc, v5, v7
	v_addc_co_u32_e32 v6, vcc, 0, v6, vcc
	global_load_ubyte v5, v[5:6], off
	s_mov_b32 s7, 0x7060004
	s_waitcnt vmcnt(0)
	v_perm_b32 v2, v2, v5, s7
.LBB165_16:
	;; [unrolled: 22-line block ×3, first 2 shown]
	s_or_b64 exec, exec, s[4:5]
	v_add_u32_e32 v5, v4, v3
	v_cmp_gt_u32_e64 s[4:5], s6, v5
	v_mov_b32_e32 v7, s6
.LBB165_19:
	s_and_saveexec_b64 s[6:7], s[4:5]
	s_cbranch_execz .LBB165_21
; %bb.20:
	v_subrev_u32_e32 v3, s17, v5
	v_mov_b32_e32 v4, s9
	v_mov_b32_e32 v6, s33
	v_cmp_gt_u32_e32 vcc, s17, v5
	v_min_u32_e32 v3, v5, v3
	v_cndmask_b32_e32 v4, v4, v6, vcc
	v_mov_b32_e32 v5, s8
	v_mov_b32_e32 v6, s25
	v_cndmask_b32_e32 v5, v5, v6, vcc
	v_add_co_u32_e32 v3, vcc, v5, v3
	v_addc_co_u32_e32 v4, vcc, 0, v4, vcc
	global_load_ubyte v3, v[3:4], off
	s_mov_b32 s4, 0x60504
	s_waitcnt vmcnt(0)
	v_perm_b32 v2, v2, v3, s4
.LBB165_21:
	s_or_b64 exec, exec, s[6:7]
	v_lshrrev_b32_e32 v3, 8, v1
	ds_write_b8 v0, v1
	ds_write_b8 v0, v3 offset:128
	ds_write_b8_d16_hi v0, v1 offset:256
	v_lshrrev_b32_e32 v3, 24, v1
	ds_write_b8 v0, v3 offset:384
	ds_write_b8 v0, v2 offset:512
	v_lshrrev_b32_e32 v3, 8, v2
	ds_write_b8 v0, v3 offset:640
	ds_write_b8_d16_hi v0, v2 offset:768
	v_lshrrev_b32_e32 v3, 24, v2
	ds_write_b8 v0, v3 offset:896
	s_waitcnt lgkmcnt(0)
	s_barrier
	buffer_load_ubyte v6, off, s[0:3], 0 offset:3
	v_lshlrev_b32_e32 v8, 3, v0
	v_min_u32_e32 v4, v7, v8
	v_sub_u32_e64 v3, v4, s31 clamp
	v_min_u32_e32 v5, s17, v4
	v_cmp_lt_u32_e64 s[4:5], v3, v5
	s_waitcnt vmcnt(0)
	v_and_b32_e32 v6, 1, v6
	v_cmp_eq_u32_e32 vcc, 1, v6
	buffer_store_byte v6, off, s[0:3], 0 offset:2
	s_and_saveexec_b64 s[6:7], s[4:5]
	s_cbranch_execz .LBB165_25
; %bb.22:
	buffer_load_ubyte v6, off, s[0:3], 0 offset:2
	v_add_u32_e32 v9, s17, v4
	s_mov_b64 s[8:9], 0
.LBB165_23:                             ; =>This Inner Loop Header: Depth=1
	v_add_u32_e32 v10, v5, v3
	v_lshrrev_b32_e32 v10, 1, v10
	v_xad_u32 v11, v10, -1, v9
	ds_read_u8 v12, v10
	ds_read_u8 v11, v11
	v_add_u32_e32 v13, 1, v10
	s_waitcnt vmcnt(0) lgkmcnt(1)
	v_and_b32_e32 v12, v12, v6
	s_waitcnt lgkmcnt(0)
	v_and_b32_e32 v11, v11, v6
	v_and_b32_e32 v12, 1, v12
	;; [unrolled: 1-line block ×3, first 2 shown]
	v_cmp_gt_u16_e64 s[4:5], v11, v12
	v_cndmask_b32_e64 v5, v5, v10, s[4:5]
	v_cndmask_b32_e64 v3, v13, v3, s[4:5]
	v_cmp_ge_u32_e64 s[4:5], v3, v5
	s_or_b64 s[8:9], s[4:5], s[8:9]
	s_andn2_b64 exec, exec, s[8:9]
	s_cbranch_execnz .LBB165_23
; %bb.24:
	s_or_b64 exec, exec, s[8:9]
.LBB165_25:
	s_or_b64 exec, exec, s[6:7]
	v_cndmask_b32_e64 v5, 0, 1, vcc
	buffer_store_byte v5, off, s[0:3], 0 offset:1
	buffer_load_ubyte v5, off, s[0:3], 0 offset:1
	v_sub_u32_e32 v4, v4, v3
	v_add_u32_e32 v4, s17, v4
	v_cmp_ge_u32_e32 vcc, s17, v3
	v_cmp_le_u32_e64 s[4:5], v4, v7
	v_mov_b32_e32 v11, 0
	v_mov_b32_e32 v12, 0
	;; [unrolled: 1-line block ×7, first 2 shown]
	s_or_b64 s[4:5], vcc, s[4:5]
	v_mov_b32_e32 v10, 0
	s_waitcnt vmcnt(0)
	v_and_b32_e32 v5, 1, v5
	buffer_store_byte v5, off, s[0:3], 0
	s_and_saveexec_b64 s[8:9], s[4:5]
	s_cbranch_execz .LBB165_31
; %bb.26:
	v_cmp_le_u32_e32 vcc, s17, v3
	v_cmp_gt_u32_e64 s[4:5], s17, v3
                                        ; implicit-def: $vgpr1
	s_and_saveexec_b64 s[6:7], s[4:5]
; %bb.27:
	ds_read_u8 v1, v3
; %bb.28:
	s_or_b64 exec, exec, s[6:7]
	v_cmp_ge_u32_e64 s[4:5], v4, v7
	v_cmp_lt_u32_e64 s[6:7], v4, v7
                                        ; implicit-def: $vgpr2
	s_and_saveexec_b64 s[24:25], s[6:7]
; %bb.29:
	ds_read_u8 v2, v4
; %bb.30:
	s_or_b64 exec, exec, s[24:25]
	buffer_load_ubyte v5, off, s[0:3], 0
	v_cndmask_b32_e64 v6, 0, 1, s[4:5]
	s_or_b64 vcc, vcc, s[4:5]
	v_mov_b32_e32 v11, s17
	s_waitcnt vmcnt(0) lgkmcnt(0)
	v_and_b32_e32 v9, v5, v2
	v_and_b32_e32 v10, v5, v1
	;; [unrolled: 1-line block ×4, first 2 shown]
	v_cmp_le_u16_e64 s[6:7], v9, v10
	v_cndmask_b32_e64 v9, 0, 1, s[6:7]
	v_cndmask_b32_e32 v6, v9, v6, vcc
	v_and_b32_e32 v6, 1, v6
	v_cmp_eq_u32_e32 vcc, 1, v6
	v_cndmask_b32_e32 v10, v4, v3, vcc
	v_cndmask_b32_e32 v6, v7, v11, vcc
	v_add_u32_e32 v9, 1, v10
	v_add_u32_e32 v6, -1, v6
	v_min_u32_e32 v6, v9, v6
	ds_read_u8 v6, v6
	v_cndmask_b32_e32 v12, v2, v1, vcc
	v_cndmask_b32_e32 v4, v9, v4, vcc
	v_cndmask_b32_e32 v3, v3, v9, vcc
	v_cmp_gt_u32_e64 s[6:7], s17, v3
	s_waitcnt lgkmcnt(0)
	v_cndmask_b32_e32 v2, v6, v2, vcc
	v_cndmask_b32_e32 v1, v1, v6, vcc
	v_and_b32_e32 v6, v2, v5
	v_and_b32_e32 v9, v1, v5
	v_cmp_le_u16_sdwa s[24:25], v6, v9 src0_sel:BYTE_0 src1_sel:BYTE_0
	v_cmp_ge_u32_e64 s[4:5], v4, v7
	s_and_b64 s[6:7], s[6:7], s[24:25]
	s_or_b64 vcc, s[4:5], s[6:7]
	v_cndmask_b32_e32 v9, v4, v3, vcc
	v_cndmask_b32_e32 v6, v7, v11, vcc
	v_add_u32_e32 v14, 1, v9
	v_add_u32_e32 v6, -1, v6
	v_min_u32_e32 v6, v14, v6
	ds_read_u8 v6, v6
	v_cndmask_b32_e32 v13, v2, v1, vcc
	v_lshlrev_b16_e32 v13, 8, v13
	v_cndmask_b32_e32 v3, v3, v14, vcc
	v_or_b32_sdwa v17, v12, v13 dst_sel:DWORD dst_unused:UNUSED_PAD src0_sel:BYTE_0 src1_sel:DWORD
	s_waitcnt lgkmcnt(0)
	v_cndmask_b32_e32 v2, v6, v2, vcc
	v_cndmask_b32_e32 v1, v1, v6, vcc
	v_and_b32_e32 v6, v2, v5
	v_and_b32_e32 v12, v1, v5
	v_cndmask_b32_e32 v4, v14, v4, vcc
	v_cmp_gt_u32_e64 s[6:7], s17, v3
	v_cmp_le_u16_sdwa s[24:25], v6, v12 src0_sel:BYTE_0 src1_sel:BYTE_0
	v_cmp_ge_u32_e64 s[4:5], v4, v7
	s_and_b64 s[6:7], s[6:7], s[24:25]
	s_or_b64 vcc, s[4:5], s[6:7]
	v_cndmask_b32_e32 v16, v4, v3, vcc
	v_cndmask_b32_e32 v6, v7, v11, vcc
	v_add_u32_e32 v13, 1, v16
	v_add_u32_e32 v6, -1, v6
	v_min_u32_e32 v6, v13, v6
	ds_read_u8 v6, v6
	v_cndmask_b32_e32 v12, v2, v1, vcc
	v_cndmask_b32_e32 v4, v13, v4, vcc
	;; [unrolled: 1-line block ×3, first 2 shown]
	v_cmp_gt_u32_e64 s[6:7], s17, v3
	s_waitcnt lgkmcnt(0)
	v_cndmask_b32_e32 v2, v6, v2, vcc
	v_cndmask_b32_e32 v1, v1, v6, vcc
	v_and_b32_e32 v6, v2, v5
	v_and_b32_e32 v13, v1, v5
	v_cmp_le_u16_sdwa s[24:25], v6, v13 src0_sel:BYTE_0 src1_sel:BYTE_0
	v_cmp_ge_u32_e64 s[4:5], v4, v7
	s_and_b64 s[6:7], s[6:7], s[24:25]
	s_or_b64 vcc, s[4:5], s[6:7]
	v_cndmask_b32_e32 v15, v4, v3, vcc
	v_cndmask_b32_e32 v6, v7, v11, vcc
	v_add_u32_e32 v14, 1, v15
	v_add_u32_e32 v6, -1, v6
	v_min_u32_e32 v6, v14, v6
	ds_read_u8 v6, v6
	v_cndmask_b32_e32 v13, v2, v1, vcc
	v_lshlrev_b16_e32 v13, 8, v13
	v_cndmask_b32_e32 v3, v3, v14, vcc
	v_or_b32_sdwa v18, v12, v13 dst_sel:WORD_1 dst_unused:UNUSED_PAD src0_sel:BYTE_0 src1_sel:DWORD
	s_waitcnt lgkmcnt(0)
	v_cndmask_b32_e32 v2, v6, v2, vcc
	v_cndmask_b32_e32 v1, v1, v6, vcc
	v_and_b32_e32 v6, v2, v5
	v_and_b32_e32 v12, v1, v5
	v_cndmask_b32_e32 v4, v14, v4, vcc
	v_cmp_gt_u32_e64 s[6:7], s17, v3
	v_cmp_le_u16_sdwa s[24:25], v6, v12 src0_sel:BYTE_0 src1_sel:BYTE_0
	v_cmp_ge_u32_e64 s[4:5], v4, v7
	s_and_b64 s[6:7], s[6:7], s[24:25]
	s_or_b64 vcc, s[4:5], s[6:7]
	v_cndmask_b32_e32 v14, v4, v3, vcc
	v_cndmask_b32_e32 v6, v7, v11, vcc
	v_add_u32_e32 v13, 1, v14
	v_add_u32_e32 v6, -1, v6
	v_min_u32_e32 v6, v13, v6
	ds_read_u8 v6, v6
	v_cndmask_b32_e32 v12, v2, v1, vcc
	v_cndmask_b32_e32 v4, v13, v4, vcc
	v_cndmask_b32_e32 v3, v3, v13, vcc
	v_cmp_gt_u32_e64 s[6:7], s17, v3
	s_waitcnt lgkmcnt(0)
	v_cndmask_b32_e32 v2, v6, v2, vcc
	v_cndmask_b32_e32 v1, v1, v6, vcc
	v_and_b32_e32 v6, v2, v5
	v_and_b32_e32 v13, v1, v5
	v_cmp_le_u16_sdwa s[24:25], v6, v13 src0_sel:BYTE_0 src1_sel:BYTE_0
	v_cmp_ge_u32_e64 s[4:5], v4, v7
	s_and_b64 s[6:7], s[6:7], s[24:25]
	s_or_b64 vcc, s[4:5], s[6:7]
	v_cndmask_b32_e32 v13, v4, v3, vcc
	v_cndmask_b32_e32 v6, v7, v11, vcc
	v_add_u32_e32 v20, 1, v13
	v_add_u32_e32 v6, -1, v6
	v_min_u32_e32 v6, v20, v6
	ds_read_u8 v6, v6
	v_cndmask_b32_e32 v19, v2, v1, vcc
	v_lshlrev_b16_e32 v19, 8, v19
	v_cndmask_b32_e32 v3, v3, v20, vcc
	v_or_b32_sdwa v19, v12, v19 dst_sel:DWORD dst_unused:UNUSED_PAD src0_sel:BYTE_0 src1_sel:DWORD
	s_waitcnt lgkmcnt(0)
	v_cndmask_b32_e32 v2, v6, v2, vcc
	v_cndmask_b32_e32 v1, v1, v6, vcc
	v_and_b32_e32 v6, v2, v5
	v_and_b32_e32 v12, v1, v5
	v_cndmask_b32_e32 v4, v20, v4, vcc
	v_cmp_gt_u32_e64 s[6:7], s17, v3
	v_cmp_le_u16_sdwa s[24:25], v6, v12 src0_sel:BYTE_0 src1_sel:BYTE_0
	v_cmp_ge_u32_e64 s[4:5], v4, v7
	s_and_b64 s[6:7], s[6:7], s[24:25]
	s_or_b64 vcc, s[4:5], s[6:7]
	v_cndmask_b32_e32 v12, v4, v3, vcc
	v_cndmask_b32_e32 v6, v7, v11, vcc
	v_add_u32_e32 v11, 1, v12
	v_add_u32_e32 v6, -1, v6
	v_min_u32_e32 v6, v11, v6
	ds_read_u8 v6, v6
	v_cndmask_b32_e32 v20, v2, v1, vcc
	v_cndmask_b32_e32 v3, v3, v11, vcc
	;; [unrolled: 1-line block ×3, first 2 shown]
	v_cmp_gt_u32_e64 s[6:7], s17, v3
	s_waitcnt lgkmcnt(0)
	v_cndmask_b32_e32 v2, v6, v2, vcc
	v_cndmask_b32_e32 v1, v1, v6, vcc
	v_and_b32_e32 v6, v2, v5
	v_and_b32_e32 v5, v1, v5
	v_cmp_le_u16_sdwa s[24:25], v6, v5 src0_sel:BYTE_0 src1_sel:BYTE_0
	v_cmp_ge_u32_e64 s[4:5], v4, v7
	s_and_b64 s[6:7], s[6:7], s[24:25]
	s_or_b64 vcc, s[4:5], s[6:7]
	v_cndmask_b32_e32 v1, v2, v1, vcc
	v_lshlrev_b16_e32 v1, 8, v1
	v_or_b32_sdwa v1, v20, v1 dst_sel:WORD_1 dst_unused:UNUSED_PAD src0_sel:BYTE_0 src1_sel:DWORD
	v_cndmask_b32_e32 v11, v4, v3, vcc
	v_or_b32_sdwa v2, v19, v1 dst_sel:DWORD dst_unused:UNUSED_PAD src0_sel:WORD_0 src1_sel:DWORD
	v_or_b32_sdwa v1, v17, v18 dst_sel:DWORD dst_unused:UNUSED_PAD src0_sel:WORD_0 src1_sel:DWORD
.LBB165_31:
	s_or_b64 exec, exec, s[8:9]
	s_lshl_b64 s[4:5], s[20:21], 3
	s_add_u32 s26, s12, s4
	s_addc_u32 s27, s13, s5
	s_lshl_b64 s[4:5], s[22:23], 3
	s_add_u32 s24, s12, s4
	v_cndmask_b32_e64 v3, 0, 1, s[18:19]
	s_addc_u32 s25, s13, s5
	v_cmp_gt_u32_e64 s[8:9], s17, v0
	v_cmp_ne_u32_e64 s[4:5], 1, v3
	s_andn2_b64 vcc, exec, s[18:19]
	v_cmp_le_u32_e64 s[6:7], s17, v0
	s_waitcnt vmcnt(0)
	s_barrier
	s_cbranch_vccnz .LBB165_33
; %bb.32:
	v_mov_b32_e32 v3, s27
	v_add_co_u32_e32 v5, vcc, s26, v8
	v_subrev_u32_e32 v4, s17, v0
	v_addc_co_u32_e32 v3, vcc, 0, v3, vcc
	v_lshlrev_b32_e32 v4, 3, v4
	v_mov_b32_e32 v6, s25
	v_add_co_u32_e32 v17, vcc, s24, v4
	v_addc_co_u32_e32 v4, vcc, 0, v6, vcc
	v_cndmask_b32_e64 v4, v4, v3, s[8:9]
	v_cndmask_b32_e64 v3, v17, v5, s[8:9]
	v_or_b32_e32 v5, 0x80, v0
	v_subrev_u32_e32 v6, s17, v5
	v_min_u32_e32 v6, v5, v6
	v_cmp_gt_u32_e32 vcc, s17, v5
	v_mov_b32_e32 v29, s24
	v_mov_b32_e32 v30, s26
	;; [unrolled: 1-line block ×4, first 2 shown]
	v_cndmask_b32_e32 v5, v29, v30, vcc
	v_lshlrev_b32_e32 v6, 3, v6
	v_cndmask_b32_e32 v17, v27, v28, vcc
	v_add_co_u32_e32 v5, vcc, v5, v6
	v_addc_co_u32_e32 v6, vcc, 0, v17, vcc
	v_or_b32_e32 v17, 0x100, v0
	v_subrev_u32_e32 v18, s17, v17
	v_min_u32_e32 v18, v17, v18
	v_cmp_gt_u32_e32 vcc, s17, v17
	v_cndmask_b32_e32 v17, v29, v30, vcc
	v_lshlrev_b32_e32 v18, 3, v18
	v_cndmask_b32_e32 v19, v27, v28, vcc
	v_add_co_u32_e32 v17, vcc, v17, v18
	v_addc_co_u32_e32 v18, vcc, 0, v19, vcc
	v_or_b32_e32 v19, 0x180, v0
	v_subrev_u32_e32 v20, s17, v19
	v_min_u32_e32 v20, v19, v20
	v_cmp_gt_u32_e32 vcc, s17, v19
	;; [unrolled: 9-line block ×5, first 2 shown]
	global_load_dwordx2 v[3:4], v[3:4], off
	v_cndmask_b32_e32 v25, v29, v30, vcc
	global_load_dwordx2 v[5:6], v[5:6], off
	v_lshlrev_b32_e32 v26, 3, v26
	global_load_dwordx2 v[17:18], v[17:18], off
	v_cndmask_b32_e32 v31, v27, v28, vcc
	global_load_dwordx2 v[19:20], v[19:20], off
	v_add_co_u32_e32 v25, vcc, v25, v26
	global_load_dwordx2 v[21:22], v[21:22], off
	v_addc_co_u32_e32 v26, vcc, 0, v31, vcc
	global_load_dwordx2 v[23:24], v[23:24], off
	s_nop 0
	global_load_dwordx2 v[25:26], v[25:26], off
	s_mov_b64 s[8:9], -1
	s_waitcnt vmcnt(5)
	ds_write2st64_b64 v8, v[3:4], v[5:6] offset1:2
	s_waitcnt vmcnt(3)
	ds_write2st64_b64 v8, v[17:18], v[19:20] offset0:4 offset1:6
	s_waitcnt vmcnt(1)
	ds_write2st64_b64 v8, v[21:22], v[23:24] offset0:8 offset1:10
	s_waitcnt vmcnt(0)
	ds_write_b64 v8, v[25:26] offset:6144
	v_or_b32_e32 v17, 0x380, v0
	v_subrev_u32_e32 v3, s17, v17
	v_cmp_gt_u32_e32 vcc, s17, v17
	v_min_u32_e32 v5, v17, v3
	v_cndmask_b32_e32 v4, v27, v28, vcc
	v_cndmask_b32_e32 v3, v29, v30, vcc
	s_cbranch_execz .LBB165_34
	s_branch .LBB165_67
.LBB165_33:
	s_mov_b64 s[8:9], 0
                                        ; implicit-def: $vgpr17
                                        ; implicit-def: $vgpr3_vgpr4
                                        ; implicit-def: $vgpr5
.LBB165_34:
	s_and_saveexec_b64 s[8:9], s[6:7]
	s_xor_b64 s[6:7], exec, s[8:9]
	s_cbranch_execz .LBB165_38
; %bb.35:
	v_subrev_u32_e32 v3, s17, v0
	v_cmp_gt_u32_e32 vcc, s31, v3
	s_and_saveexec_b64 s[8:9], vcc
	s_cbranch_execz .LBB165_37
; %bb.36:
	v_lshlrev_b32_e32 v3, 3, v3
	global_load_dwordx2 v[3:4], v3, s[24:25]
	s_waitcnt vmcnt(0)
	ds_write_b64 v8, v[3:4]
.LBB165_37:
	s_or_b64 exec, exec, s[8:9]
.LBB165_38:
	s_or_saveexec_b64 s[6:7], s[6:7]
	v_mad_u32_u24 v5, v0, 7, v0
	s_xor_b64 exec, exec, s[6:7]
	s_cbranch_execz .LBB165_40
; %bb.39:
	global_load_dwordx2 v[3:4], v8, s[26:27]
	s_waitcnt vmcnt(0)
	ds_write_b64 v5, v[3:4]
.LBB165_40:
	s_or_b64 exec, exec, s[6:7]
	v_or_b32_e32 v6, 0x80, v0
	v_mov_b32_e32 v3, s20
	v_cmp_le_u32_e32 vcc, s17, v6
	s_mov_b64 s[6:7], -1
	v_mov_b32_e32 v4, s21
	s_and_saveexec_b64 s[8:9], vcc
; %bb.41:
	v_subrev_u32_e32 v6, s17, v6
	v_cmp_gt_u32_e32 vcc, s31, v6
	v_mov_b32_e32 v3, s22
	v_mov_b32_e32 v4, s23
	s_orn2_b64 s[6:7], vcc, exec
; %bb.42:
	s_or_b64 exec, exec, s[8:9]
	s_and_saveexec_b64 s[8:9], s[6:7]
	s_cbranch_execz .LBB165_44
; %bb.43:
	v_lshlrev_b64 v[3:4], 3, v[3:4]
	v_mov_b32_e32 v17, s13
	v_add_co_u32_e32 v3, vcc, s12, v3
	v_addc_co_u32_e32 v4, vcc, v17, v4, vcc
	v_lshlrev_b32_e32 v6, 3, v6
	v_add_co_u32_e32 v3, vcc, v3, v6
	v_addc_co_u32_e32 v4, vcc, 0, v4, vcc
	global_load_dwordx2 v[3:4], v[3:4], off
	s_waitcnt vmcnt(0)
	ds_write_b64 v5, v[3:4] offset:1024
.LBB165_44:
	s_or_b64 exec, exec, s[8:9]
	v_or_b32_e32 v6, 0x100, v0
	v_mov_b32_e32 v3, s20
	v_cmp_le_u32_e32 vcc, s17, v6
	s_mov_b64 s[6:7], -1
	v_mov_b32_e32 v4, s21
	s_and_saveexec_b64 s[8:9], vcc
; %bb.45:
	v_subrev_u32_e32 v6, s17, v6
	v_cmp_gt_u32_e32 vcc, s31, v6
	v_mov_b32_e32 v3, s22
	v_mov_b32_e32 v4, s23
	s_orn2_b64 s[6:7], vcc, exec
; %bb.46:
	s_or_b64 exec, exec, s[8:9]
	s_and_saveexec_b64 s[8:9], s[6:7]
	s_cbranch_execz .LBB165_48
; %bb.47:
	v_lshlrev_b64 v[3:4], 3, v[3:4]
	v_mov_b32_e32 v17, s13
	v_add_co_u32_e32 v3, vcc, s12, v3
	v_addc_co_u32_e32 v4, vcc, v17, v4, vcc
	v_lshlrev_b32_e32 v6, 3, v6
	v_add_co_u32_e32 v3, vcc, v3, v6
	v_addc_co_u32_e32 v4, vcc, 0, v4, vcc
	global_load_dwordx2 v[3:4], v[3:4], off
	s_waitcnt vmcnt(0)
	ds_write_b64 v5, v[3:4] offset:2048
.LBB165_48:
	;; [unrolled: 29-line block ×6, first 2 shown]
	s_or_b64 exec, exec, s[8:9]
	v_or_b32_e32 v17, 0x380, v0
	v_mov_b32_e32 v3, s26
	v_cmp_le_u32_e32 vcc, s17, v17
	s_mov_b64 s[8:9], -1
	v_mov_b32_e32 v4, s27
	v_mov_b32_e32 v5, v17
	s_and_saveexec_b64 s[6:7], vcc
; %bb.65:
	v_subrev_u32_e32 v5, s17, v17
	v_cmp_gt_u32_e32 vcc, s31, v5
	v_mov_b32_e32 v3, s24
	v_mov_b32_e32 v4, s25
	s_orn2_b64 s[8:9], vcc, exec
; %bb.66:
	s_or_b64 exec, exec, s[6:7]
.LBB165_67:
	s_and_saveexec_b64 s[6:7], s[8:9]
	s_cbranch_execz .LBB165_69
; %bb.68:
	v_mov_b32_e32 v6, 0
	v_lshlrev_b64 v[5:6], 3, v[5:6]
	v_add_co_u32_e32 v3, vcc, v3, v5
	v_addc_co_u32_e32 v4, vcc, v4, v6, vcc
	global_load_dwordx2 v[3:4], v[3:4], off
	v_lshlrev_b32_e32 v5, 3, v17
	s_waitcnt vmcnt(0)
	ds_write_b64 v5, v[3:4]
.LBB165_69:
	s_or_b64 exec, exec, s[6:7]
	s_and_b64 vcc, exec, s[4:5]
	v_add_u32_e32 v3, s30, v8
	s_waitcnt lgkmcnt(0)
	s_barrier
	s_cbranch_vccnz .LBB165_71
; %bb.70:
	v_lshlrev_b32_e32 v17, 3, v10
	v_lshlrev_b32_e32 v19, 3, v9
	;; [unrolled: 1-line block ×7, first 2 shown]
	v_mov_b32_e32 v4, 0
	ds_read_b64 v[17:18], v17
	ds_read_b64 v[19:20], v19
	ds_read_b64 v[21:22], v21
	ds_read_b64 v[23:24], v23
	ds_read_b64 v[25:26], v25
	ds_read_b64 v[27:28], v27
	ds_read_b64 v[29:30], v29
	v_lshlrev_b64 v[5:6], 3, v[3:4]
	v_mov_b32_e32 v31, s15
	v_add_co_u32_e32 v5, vcc, s14, v5
	v_addc_co_u32_e32 v6, vcc, v31, v6, vcc
	s_mov_b64 s[4:5], -1
	s_waitcnt lgkmcnt(5)
	global_store_dwordx4 v[5:6], v[17:20], off
	s_waitcnt lgkmcnt(3)
	global_store_dwordx4 v[5:6], v[21:24], off offset:16
	s_waitcnt lgkmcnt(1)
	global_store_dwordx4 v[5:6], v[25:28], off offset:32
	s_waitcnt lgkmcnt(0)
	global_store_dwordx2 v[5:6], v[29:30], off offset:48
	s_cbranch_execz .LBB165_72
	s_branch .LBB165_89
.LBB165_71:
	s_mov_b64 s[4:5], 0
.LBB165_72:
	v_cmp_lt_u32_e32 vcc, v8, v7
	s_and_saveexec_b64 s[6:7], vcc
	s_cbranch_execz .LBB165_74
; %bb.73:
	v_lshlrev_b32_e32 v6, 3, v10
	v_mov_b32_e32 v4, 0
	ds_read_b64 v[17:18], v6
	v_lshlrev_b64 v[4:5], 3, v[3:4]
	v_mov_b32_e32 v10, s15
	v_add_co_u32_e32 v4, vcc, s14, v4
	v_addc_co_u32_e32 v5, vcc, v10, v5, vcc
	s_waitcnt lgkmcnt(0)
	global_store_dwordx2 v[4:5], v[17:18], off
.LBB165_74:
	s_or_b64 exec, exec, s[6:7]
	v_or_b32_e32 v4, 1, v8
	v_cmp_lt_u32_e32 vcc, v4, v7
	s_and_saveexec_b64 s[6:7], vcc
	s_cbranch_execz .LBB165_76
; %bb.75:
	v_lshlrev_b32_e32 v6, 3, v9
	v_mov_b32_e32 v4, 0
	ds_read_b64 v[9:10], v6
	v_lshlrev_b64 v[4:5], 3, v[3:4]
	v_mov_b32_e32 v17, s15
	v_add_co_u32_e32 v4, vcc, s14, v4
	v_addc_co_u32_e32 v5, vcc, v17, v5, vcc
	s_waitcnt lgkmcnt(0)
	global_store_dwordx2 v[4:5], v[9:10], off offset:8
.LBB165_76:
	s_or_b64 exec, exec, s[6:7]
	v_or_b32_e32 v4, 2, v8
	v_cmp_lt_u32_e32 vcc, v4, v7
	s_and_saveexec_b64 s[6:7], vcc
	s_cbranch_execz .LBB165_78
; %bb.77:
	v_lshlrev_b32_e32 v6, 3, v16
	v_mov_b32_e32 v4, 0
	ds_read_b64 v[9:10], v6
	v_lshlrev_b64 v[4:5], 3, v[3:4]
	v_mov_b32_e32 v16, s15
	v_add_co_u32_e32 v4, vcc, s14, v4
	v_addc_co_u32_e32 v5, vcc, v16, v5, vcc
	s_waitcnt lgkmcnt(0)
	global_store_dwordx2 v[4:5], v[9:10], off offset:16
.LBB165_78:
	;; [unrolled: 16-line block ×6, first 2 shown]
	s_or_b64 exec, exec, s[6:7]
	v_or_b32_e32 v4, 7, v8
	v_cmp_lt_u32_e32 vcc, v4, v7
	s_and_saveexec_b64 s[6:7], vcc
; %bb.87:
	v_mov_b32_e32 v4, 0
	s_or_b64 s[4:5], s[4:5], exec
; %bb.88:
	s_or_b64 exec, exec, s[6:7]
.LBB165_89:
	s_and_saveexec_b64 s[6:7], s[4:5]
	s_cbranch_execz .LBB165_91
; %bb.90:
	v_lshlrev_b32_e32 v5, 3, v11
	ds_read_b64 v[5:6], v5
	v_lshlrev_b64 v[3:4], 3, v[3:4]
	v_mov_b32_e32 v7, s15
	v_add_co_u32_e32 v3, vcc, s14, v3
	v_addc_co_u32_e32 v4, vcc, v7, v4, vcc
	s_waitcnt lgkmcnt(0)
	global_store_dwordx2 v[3:4], v[5:6], off offset:56
.LBB165_91:
	s_or_b64 exec, exec, s[6:7]
	v_lshrrev_b32_e32 v3, 2, v0
	s_add_u32 s4, s10, s30
	v_and_b32_e32 v3, 28, v3
	s_addc_u32 s5, s11, 0
	v_add_u32_e32 v3, v3, v8
	s_waitcnt vmcnt(0)
	s_barrier
	s_barrier
	ds_write2_b32 v3, v1, v2 offset1:1
	v_mov_b32_e32 v2, s5
	v_add_co_u32_e32 v1, vcc, s4, v0
	v_addc_co_u32_e32 v2, vcc, 0, v2, vcc
	s_and_b64 vcc, exec, s[18:19]
	v_add_u32_e32 v4, 4, v0
	v_add_u32_e32 v5, 8, v0
	;; [unrolled: 1-line block ×7, first 2 shown]
	s_waitcnt lgkmcnt(0)
	s_cbranch_vccz .LBB165_93
; %bb.92:
	s_barrier
	ds_read_u8 v11, v0
	ds_read_u8 v12, v4 offset:128
	ds_read_u8 v13, v5 offset:256
	;; [unrolled: 1-line block ×7, first 2 shown]
	s_waitcnt lgkmcnt(7)
	global_store_byte v[1:2], v11, off
	s_waitcnt lgkmcnt(6)
	global_store_byte v[1:2], v12, off offset:128
	s_waitcnt lgkmcnt(5)
	global_store_byte v[1:2], v13, off offset:256
	;; [unrolled: 2-line block ×6, first 2 shown]
	s_mov_b64 s[4:5], -1
	s_cbranch_execz .LBB165_94
	s_branch .LBB165_109
.LBB165_93:
	s_mov_b64 s[4:5], 0
                                        ; implicit-def: $vgpr3
.LBB165_94:
	s_waitcnt vmcnt(0) lgkmcnt(0)
	s_barrier
	ds_read_u8 v13, v4 offset:128
	ds_read_u8 v12, v5 offset:256
	;; [unrolled: 1-line block ×7, first 2 shown]
	s_sub_i32 s6, s16, s30
	v_or_b32_e32 v7, 0x80, v0
	v_cmp_gt_u32_e32 vcc, s6, v0
	s_and_saveexec_b64 s[4:5], vcc
	s_cbranch_execz .LBB165_96
; %bb.95:
	ds_read_u8 v8, v0
	s_waitcnt lgkmcnt(0)
	global_store_byte v[1:2], v8, off
.LBB165_96:
	s_or_b64 exec, exec, s[4:5]
	v_or_b32_e32 v8, 0x100, v0
	v_cmp_gt_u32_e32 vcc, s6, v7
	s_and_saveexec_b64 s[4:5], vcc
	s_cbranch_execz .LBB165_98
; %bb.97:
	s_waitcnt lgkmcnt(6)
	global_store_byte v[1:2], v13, off offset:128
.LBB165_98:
	s_or_b64 exec, exec, s[4:5]
	v_or_b32_e32 v7, 0x180, v0
	v_cmp_gt_u32_e32 vcc, s6, v8
	s_and_saveexec_b64 s[4:5], vcc
	s_cbranch_execz .LBB165_100
; %bb.99:
	s_waitcnt lgkmcnt(5)
	global_store_byte v[1:2], v12, off offset:256
.LBB165_100:
	;; [unrolled: 9-line block ×4, first 2 shown]
	s_or_b64 exec, exec, s[4:5]
	s_waitcnt lgkmcnt(3)
	v_or_b32_e32 v6, 0x300, v0
	v_cmp_gt_u32_e32 vcc, s6, v7
	s_and_saveexec_b64 s[4:5], vcc
	s_cbranch_execz .LBB165_106
; %bb.105:
	s_waitcnt lgkmcnt(2)
	global_store_byte v[1:2], v5, off offset:640
.LBB165_106:
	s_or_b64 exec, exec, s[4:5]
	v_or_b32_e32 v0, 0x380, v0
	v_cmp_gt_u32_e32 vcc, s6, v6
	s_and_saveexec_b64 s[4:5], vcc
	s_cbranch_execz .LBB165_108
; %bb.107:
	s_waitcnt lgkmcnt(1)
	global_store_byte v[1:2], v4, off offset:768
.LBB165_108:
	s_or_b64 exec, exec, s[4:5]
	v_cmp_gt_u32_e64 s[4:5], s6, v0
.LBB165_109:
	s_and_saveexec_b64 s[6:7], s[4:5]
	s_cbranch_execz .LBB165_111
; %bb.110:
	s_waitcnt lgkmcnt(0)
	global_store_byte v[1:2], v3, off offset:896
.LBB165_111:
	s_endpgm
	.section	.rodata,"a",@progbits
	.p2align	6, 0x0
	.amdhsa_kernel _ZN7rocprim17ROCPRIM_304000_NS6detail35device_block_merge_mergepath_kernelINS1_37wrapped_merge_sort_block_merge_configINS0_14default_configEbN2at4cuda3cub6detail10OpaqueTypeILi8EEEEEPbSC_PSA_SD_jNS1_19radix_merge_compareILb1ELb1EbNS0_19identity_decomposerEEEEEvT0_T1_T2_T3_T4_SL_jT5_PKSL_NS1_7vsmem_tE
		.amdhsa_group_segment_fixed_size 8208
		.amdhsa_private_segment_fixed_size 12
		.amdhsa_kernarg_size 320
		.amdhsa_user_sgpr_count 6
		.amdhsa_user_sgpr_private_segment_buffer 1
		.amdhsa_user_sgpr_dispatch_ptr 0
		.amdhsa_user_sgpr_queue_ptr 0
		.amdhsa_user_sgpr_kernarg_segment_ptr 1
		.amdhsa_user_sgpr_dispatch_id 0
		.amdhsa_user_sgpr_flat_scratch_init 0
		.amdhsa_user_sgpr_private_segment_size 0
		.amdhsa_uses_dynamic_stack 0
		.amdhsa_system_sgpr_private_segment_wavefront_offset 1
		.amdhsa_system_sgpr_workgroup_id_x 1
		.amdhsa_system_sgpr_workgroup_id_y 1
		.amdhsa_system_sgpr_workgroup_id_z 1
		.amdhsa_system_sgpr_workgroup_info 0
		.amdhsa_system_vgpr_workitem_id 0
		.amdhsa_next_free_vgpr 49
		.amdhsa_next_free_sgpr 98
		.amdhsa_reserve_vcc 1
		.amdhsa_reserve_flat_scratch 0
		.amdhsa_float_round_mode_32 0
		.amdhsa_float_round_mode_16_64 0
		.amdhsa_float_denorm_mode_32 3
		.amdhsa_float_denorm_mode_16_64 3
		.amdhsa_dx10_clamp 1
		.amdhsa_ieee_mode 1
		.amdhsa_fp16_overflow 0
		.amdhsa_exception_fp_ieee_invalid_op 0
		.amdhsa_exception_fp_denorm_src 0
		.amdhsa_exception_fp_ieee_div_zero 0
		.amdhsa_exception_fp_ieee_overflow 0
		.amdhsa_exception_fp_ieee_underflow 0
		.amdhsa_exception_fp_ieee_inexact 0
		.amdhsa_exception_int_div_zero 0
	.end_amdhsa_kernel
	.section	.text._ZN7rocprim17ROCPRIM_304000_NS6detail35device_block_merge_mergepath_kernelINS1_37wrapped_merge_sort_block_merge_configINS0_14default_configEbN2at4cuda3cub6detail10OpaqueTypeILi8EEEEEPbSC_PSA_SD_jNS1_19radix_merge_compareILb1ELb1EbNS0_19identity_decomposerEEEEEvT0_T1_T2_T3_T4_SL_jT5_PKSL_NS1_7vsmem_tE,"axG",@progbits,_ZN7rocprim17ROCPRIM_304000_NS6detail35device_block_merge_mergepath_kernelINS1_37wrapped_merge_sort_block_merge_configINS0_14default_configEbN2at4cuda3cub6detail10OpaqueTypeILi8EEEEEPbSC_PSA_SD_jNS1_19radix_merge_compareILb1ELb1EbNS0_19identity_decomposerEEEEEvT0_T1_T2_T3_T4_SL_jT5_PKSL_NS1_7vsmem_tE,comdat
.Lfunc_end165:
	.size	_ZN7rocprim17ROCPRIM_304000_NS6detail35device_block_merge_mergepath_kernelINS1_37wrapped_merge_sort_block_merge_configINS0_14default_configEbN2at4cuda3cub6detail10OpaqueTypeILi8EEEEEPbSC_PSA_SD_jNS1_19radix_merge_compareILb1ELb1EbNS0_19identity_decomposerEEEEEvT0_T1_T2_T3_T4_SL_jT5_PKSL_NS1_7vsmem_tE, .Lfunc_end165-_ZN7rocprim17ROCPRIM_304000_NS6detail35device_block_merge_mergepath_kernelINS1_37wrapped_merge_sort_block_merge_configINS0_14default_configEbN2at4cuda3cub6detail10OpaqueTypeILi8EEEEEPbSC_PSA_SD_jNS1_19radix_merge_compareILb1ELb1EbNS0_19identity_decomposerEEEEEvT0_T1_T2_T3_T4_SL_jT5_PKSL_NS1_7vsmem_tE
                                        ; -- End function
	.set _ZN7rocprim17ROCPRIM_304000_NS6detail35device_block_merge_mergepath_kernelINS1_37wrapped_merge_sort_block_merge_configINS0_14default_configEbN2at4cuda3cub6detail10OpaqueTypeILi8EEEEEPbSC_PSA_SD_jNS1_19radix_merge_compareILb1ELb1EbNS0_19identity_decomposerEEEEEvT0_T1_T2_T3_T4_SL_jT5_PKSL_NS1_7vsmem_tE.num_vgpr, 32
	.set _ZN7rocprim17ROCPRIM_304000_NS6detail35device_block_merge_mergepath_kernelINS1_37wrapped_merge_sort_block_merge_configINS0_14default_configEbN2at4cuda3cub6detail10OpaqueTypeILi8EEEEEPbSC_PSA_SD_jNS1_19radix_merge_compareILb1ELb1EbNS0_19identity_decomposerEEEEEvT0_T1_T2_T3_T4_SL_jT5_PKSL_NS1_7vsmem_tE.num_agpr, 0
	.set _ZN7rocprim17ROCPRIM_304000_NS6detail35device_block_merge_mergepath_kernelINS1_37wrapped_merge_sort_block_merge_configINS0_14default_configEbN2at4cuda3cub6detail10OpaqueTypeILi8EEEEEPbSC_PSA_SD_jNS1_19radix_merge_compareILb1ELb1EbNS0_19identity_decomposerEEEEEvT0_T1_T2_T3_T4_SL_jT5_PKSL_NS1_7vsmem_tE.numbered_sgpr, 34
	.set _ZN7rocprim17ROCPRIM_304000_NS6detail35device_block_merge_mergepath_kernelINS1_37wrapped_merge_sort_block_merge_configINS0_14default_configEbN2at4cuda3cub6detail10OpaqueTypeILi8EEEEEPbSC_PSA_SD_jNS1_19radix_merge_compareILb1ELb1EbNS0_19identity_decomposerEEEEEvT0_T1_T2_T3_T4_SL_jT5_PKSL_NS1_7vsmem_tE.num_named_barrier, 0
	.set _ZN7rocprim17ROCPRIM_304000_NS6detail35device_block_merge_mergepath_kernelINS1_37wrapped_merge_sort_block_merge_configINS0_14default_configEbN2at4cuda3cub6detail10OpaqueTypeILi8EEEEEPbSC_PSA_SD_jNS1_19radix_merge_compareILb1ELb1EbNS0_19identity_decomposerEEEEEvT0_T1_T2_T3_T4_SL_jT5_PKSL_NS1_7vsmem_tE.private_seg_size, 12
	.set _ZN7rocprim17ROCPRIM_304000_NS6detail35device_block_merge_mergepath_kernelINS1_37wrapped_merge_sort_block_merge_configINS0_14default_configEbN2at4cuda3cub6detail10OpaqueTypeILi8EEEEEPbSC_PSA_SD_jNS1_19radix_merge_compareILb1ELb1EbNS0_19identity_decomposerEEEEEvT0_T1_T2_T3_T4_SL_jT5_PKSL_NS1_7vsmem_tE.uses_vcc, 1
	.set _ZN7rocprim17ROCPRIM_304000_NS6detail35device_block_merge_mergepath_kernelINS1_37wrapped_merge_sort_block_merge_configINS0_14default_configEbN2at4cuda3cub6detail10OpaqueTypeILi8EEEEEPbSC_PSA_SD_jNS1_19radix_merge_compareILb1ELb1EbNS0_19identity_decomposerEEEEEvT0_T1_T2_T3_T4_SL_jT5_PKSL_NS1_7vsmem_tE.uses_flat_scratch, 0
	.set _ZN7rocprim17ROCPRIM_304000_NS6detail35device_block_merge_mergepath_kernelINS1_37wrapped_merge_sort_block_merge_configINS0_14default_configEbN2at4cuda3cub6detail10OpaqueTypeILi8EEEEEPbSC_PSA_SD_jNS1_19radix_merge_compareILb1ELb1EbNS0_19identity_decomposerEEEEEvT0_T1_T2_T3_T4_SL_jT5_PKSL_NS1_7vsmem_tE.has_dyn_sized_stack, 0
	.set _ZN7rocprim17ROCPRIM_304000_NS6detail35device_block_merge_mergepath_kernelINS1_37wrapped_merge_sort_block_merge_configINS0_14default_configEbN2at4cuda3cub6detail10OpaqueTypeILi8EEEEEPbSC_PSA_SD_jNS1_19radix_merge_compareILb1ELb1EbNS0_19identity_decomposerEEEEEvT0_T1_T2_T3_T4_SL_jT5_PKSL_NS1_7vsmem_tE.has_recursion, 0
	.set _ZN7rocprim17ROCPRIM_304000_NS6detail35device_block_merge_mergepath_kernelINS1_37wrapped_merge_sort_block_merge_configINS0_14default_configEbN2at4cuda3cub6detail10OpaqueTypeILi8EEEEEPbSC_PSA_SD_jNS1_19radix_merge_compareILb1ELb1EbNS0_19identity_decomposerEEEEEvT0_T1_T2_T3_T4_SL_jT5_PKSL_NS1_7vsmem_tE.has_indirect_call, 0
	.section	.AMDGPU.csdata,"",@progbits
; Kernel info:
; codeLenInByte = 5576
; TotalNumSgprs: 38
; NumVgprs: 32
; ScratchSize: 12
; MemoryBound: 0
; FloatMode: 240
; IeeeMode: 1
; LDSByteSize: 8208 bytes/workgroup (compile time only)
; SGPRBlocks: 12
; VGPRBlocks: 12
; NumSGPRsForWavesPerEU: 102
; NumVGPRsForWavesPerEU: 49
; Occupancy: 4
; WaveLimiterHint : 1
; COMPUTE_PGM_RSRC2:SCRATCH_EN: 1
; COMPUTE_PGM_RSRC2:USER_SGPR: 6
; COMPUTE_PGM_RSRC2:TRAP_HANDLER: 0
; COMPUTE_PGM_RSRC2:TGID_X_EN: 1
; COMPUTE_PGM_RSRC2:TGID_Y_EN: 1
; COMPUTE_PGM_RSRC2:TGID_Z_EN: 1
; COMPUTE_PGM_RSRC2:TIDIG_COMP_CNT: 0
	.section	.text._ZN7rocprim17ROCPRIM_304000_NS6detail33device_block_merge_oddeven_kernelINS1_37wrapped_merge_sort_block_merge_configINS0_14default_configEbN2at4cuda3cub6detail10OpaqueTypeILi8EEEEEPbSC_PSA_SD_jNS1_19radix_merge_compareILb1ELb1EbNS0_19identity_decomposerEEEEEvT0_T1_T2_T3_T4_SL_T5_,"axG",@progbits,_ZN7rocprim17ROCPRIM_304000_NS6detail33device_block_merge_oddeven_kernelINS1_37wrapped_merge_sort_block_merge_configINS0_14default_configEbN2at4cuda3cub6detail10OpaqueTypeILi8EEEEEPbSC_PSA_SD_jNS1_19radix_merge_compareILb1ELb1EbNS0_19identity_decomposerEEEEEvT0_T1_T2_T3_T4_SL_T5_,comdat
	.protected	_ZN7rocprim17ROCPRIM_304000_NS6detail33device_block_merge_oddeven_kernelINS1_37wrapped_merge_sort_block_merge_configINS0_14default_configEbN2at4cuda3cub6detail10OpaqueTypeILi8EEEEEPbSC_PSA_SD_jNS1_19radix_merge_compareILb1ELb1EbNS0_19identity_decomposerEEEEEvT0_T1_T2_T3_T4_SL_T5_ ; -- Begin function _ZN7rocprim17ROCPRIM_304000_NS6detail33device_block_merge_oddeven_kernelINS1_37wrapped_merge_sort_block_merge_configINS0_14default_configEbN2at4cuda3cub6detail10OpaqueTypeILi8EEEEEPbSC_PSA_SD_jNS1_19radix_merge_compareILb1ELb1EbNS0_19identity_decomposerEEEEEvT0_T1_T2_T3_T4_SL_T5_
	.globl	_ZN7rocprim17ROCPRIM_304000_NS6detail33device_block_merge_oddeven_kernelINS1_37wrapped_merge_sort_block_merge_configINS0_14default_configEbN2at4cuda3cub6detail10OpaqueTypeILi8EEEEEPbSC_PSA_SD_jNS1_19radix_merge_compareILb1ELb1EbNS0_19identity_decomposerEEEEEvT0_T1_T2_T3_T4_SL_T5_
	.p2align	8
	.type	_ZN7rocprim17ROCPRIM_304000_NS6detail33device_block_merge_oddeven_kernelINS1_37wrapped_merge_sort_block_merge_configINS0_14default_configEbN2at4cuda3cub6detail10OpaqueTypeILi8EEEEEPbSC_PSA_SD_jNS1_19radix_merge_compareILb1ELb1EbNS0_19identity_decomposerEEEEEvT0_T1_T2_T3_T4_SL_T5_,@function
_ZN7rocprim17ROCPRIM_304000_NS6detail33device_block_merge_oddeven_kernelINS1_37wrapped_merge_sort_block_merge_configINS0_14default_configEbN2at4cuda3cub6detail10OpaqueTypeILi8EEEEEPbSC_PSA_SD_jNS1_19radix_merge_compareILb1ELb1EbNS0_19identity_decomposerEEEEEvT0_T1_T2_T3_T4_SL_T5_: ; @_ZN7rocprim17ROCPRIM_304000_NS6detail33device_block_merge_oddeven_kernelINS1_37wrapped_merge_sort_block_merge_configINS0_14default_configEbN2at4cuda3cub6detail10OpaqueTypeILi8EEEEEPbSC_PSA_SD_jNS1_19radix_merge_compareILb1ELb1EbNS0_19identity_decomposerEEEEEvT0_T1_T2_T3_T4_SL_T5_
; %bb.0:
	s_load_dwordx2 s[0:1], s[4:5], 0x4
	s_load_dwordx4 s[20:23], s[6:7], 0x20
	s_waitcnt lgkmcnt(0)
	s_lshr_b32 s0, s0, 16
	s_mul_i32 s0, s0, s1
	v_mul_lo_u32 v3, s0, v0
	v_mul_u32_u24_e32 v1, s1, v1
	s_and_b32 s0, s22, 1
	v_add3_u32 v6, v3, v1, v2
	v_mov_b32_e32 v1, s0
	ds_write_b8 v6, v1
	s_lshr_b32 s0, s20, 8
	ds_read_u8 v1, v6
	s_cmp_eq_u32 s8, s0
	s_cselect_b64 s[4:5], -1, 0
	s_cmp_lg_u32 s8, s0
	s_cselect_b64 s[0:1], -1, 0
	s_lshl_b32 s10, s8, 8
	s_sub_i32 s2, s20, s10
	v_cmp_gt_u32_e64 s[2:3], s2, v0
	s_waitcnt lgkmcnt(0)
	v_and_b32_e32 v1, 1, v1
	s_or_b64 s[0:1], s[0:1], s[2:3]
	ds_write_b8 v6, v1 offset:256
	s_and_saveexec_b64 s[12:13], s[0:1]
	s_cbranch_execz .LBB166_24
; %bb.1:
	s_load_dwordx8 s[12:19], s[6:7], 0x0
	s_mov_b32 s11, 0
	v_lshlrev_b32_e32 v3, 3, v0
	s_waitcnt lgkmcnt(0)
	s_add_u32 s0, s12, s10
	s_addc_u32 s1, s13, 0
	s_lshl_b64 s[6:7], s[10:11], 3
	s_add_u32 s6, s16, s6
	s_addc_u32 s7, s17, s7
	global_load_dwordx2 v[1:2], v3, s[6:7]
	global_load_ubyte v5, v0, s[0:1]
	s_lshr_b32 s0, s21, 8
	s_sub_i32 s1, 0, s0
	s_and_b32 s1, s8, s1
	s_and_b32 s0, s1, s0
	s_lshl_b32 s11, s1, 8
	s_sub_i32 s8, 0, s21
	s_cmp_eq_u32 s0, 0
	s_cselect_b64 s[0:1], -1, 0
	s_and_b64 s[6:7], s[0:1], exec
	s_cselect_b32 s8, s21, s8
	s_add_i32 s8, s8, s11
	s_mov_b64 s[6:7], -1
	s_cmp_gt_u32 s20, s8
	v_add_u32_e32 v3, s10, v0
	s_cbranch_scc1 .LBB166_9
; %bb.2:
	s_and_b64 vcc, exec, s[4:5]
	s_cbranch_vccz .LBB166_6
; %bb.3:
	v_cmp_gt_u32_e32 vcc, s20, v3
	s_and_saveexec_b64 s[6:7], vcc
	s_cbranch_execz .LBB166_5
; %bb.4:
	v_mov_b32_e32 v4, 0
	v_lshlrev_b64 v[7:8], 3, v[3:4]
	v_mov_b32_e32 v0, s19
	v_add_co_u32_e32 v7, vcc, s18, v7
	v_addc_co_u32_e32 v8, vcc, v0, v8, vcc
	s_waitcnt vmcnt(0)
	global_store_byte v3, v5, s[14:15]
	global_store_dwordx2 v[7:8], v[1:2], off
.LBB166_5:
	s_or_b64 exec, exec, s[6:7]
	s_mov_b64 s[6:7], 0
.LBB166_6:
	s_andn2_b64 vcc, exec, s[6:7]
	s_cbranch_vccnz .LBB166_8
; %bb.7:
	v_mov_b32_e32 v4, 0
	v_lshlrev_b64 v[7:8], 3, v[3:4]
	v_mov_b32_e32 v0, s19
	v_add_co_u32_e32 v7, vcc, s18, v7
	v_addc_co_u32_e32 v8, vcc, v0, v8, vcc
	s_waitcnt vmcnt(0)
	global_store_byte v3, v5, s[14:15]
	global_store_dwordx2 v[7:8], v[1:2], off
.LBB166_8:
	s_mov_b64 s[6:7], 0
.LBB166_9:
	s_andn2_b64 vcc, exec, s[6:7]
	s_cbranch_vccnz .LBB166_24
; %bb.10:
	ds_read_u8 v4, v6 offset:256
	s_min_u32 s9, s8, s20
	s_add_i32 s6, s9, s21
	s_min_u32 s10, s6, s20
	s_min_u32 s6, s11, s9
	s_add_i32 s11, s11, s9
	v_subrev_u32_e32 v0, s11, v3
	v_add_u32_e32 v0, s6, v0
	s_waitcnt vmcnt(0) lgkmcnt(0)
	v_and_b32_e32 v3, v4, v5
	s_mov_b64 s[6:7], -1
	s_and_b64 vcc, exec, s[4:5]
	s_cbranch_vccz .LBB166_18
; %bb.11:
	s_and_saveexec_b64 s[4:5], s[2:3]
	s_cbranch_execz .LBB166_17
; %bb.12:
	s_cmp_ge_u32 s8, s10
	v_mov_b32_e32 v6, s9
	s_cbranch_scc1 .LBB166_16
; %bb.13:
	s_mov_b64 s[2:3], 0
	v_mov_b32_e32 v7, s10
	v_mov_b32_e32 v6, s9
.LBB166_14:                             ; =>This Inner Loop Header: Depth=1
	v_add_u32_e32 v8, v6, v7
	v_lshrrev_b32_e32 v8, 1, v8
	global_load_ubyte v9, v8, s[12:13]
	v_add_u32_e32 v10, 1, v8
	s_waitcnt vmcnt(0)
	v_and_b32_e32 v9, v4, v9
	v_cmp_gt_u16_sdwa s[6:7], v9, v3 src0_sel:DWORD src1_sel:BYTE_0
	v_cndmask_b32_e64 v11, 0, 1, s[6:7]
	v_cmp_le_u16_sdwa s[6:7], v3, v9 src0_sel:BYTE_0 src1_sel:DWORD
	v_cndmask_b32_e64 v9, 0, 1, s[6:7]
	v_cndmask_b32_e64 v9, v9, v11, s[0:1]
	v_and_b32_e32 v9, 1, v9
	v_cmp_eq_u32_e32 vcc, 1, v9
	v_cndmask_b32_e32 v7, v8, v7, vcc
	v_cndmask_b32_e32 v6, v6, v10, vcc
	v_cmp_ge_u32_e32 vcc, v6, v7
	s_or_b64 s[2:3], vcc, s[2:3]
	s_andn2_b64 exec, exec, s[2:3]
	s_cbranch_execnz .LBB166_14
; %bb.15:
	s_or_b64 exec, exec, s[2:3]
.LBB166_16:
	v_add_u32_e32 v6, v6, v0
	v_mov_b32_e32 v7, 0
	global_store_byte v6, v5, s[14:15]
	v_lshlrev_b64 v[6:7], 3, v[6:7]
	v_mov_b32_e32 v8, s19
	v_add_co_u32_e32 v6, vcc, s18, v6
	v_addc_co_u32_e32 v7, vcc, v8, v7, vcc
	global_store_dwordx2 v[6:7], v[1:2], off
.LBB166_17:
	s_or_b64 exec, exec, s[4:5]
	s_mov_b64 s[6:7], 0
.LBB166_18:
	s_andn2_b64 vcc, exec, s[6:7]
	s_cbranch_vccnz .LBB166_24
; %bb.19:
	s_cmp_ge_u32 s8, s10
	v_mov_b32_e32 v6, s9
	s_cbranch_scc1 .LBB166_23
; %bb.20:
	s_mov_b64 s[2:3], 0
	v_mov_b32_e32 v7, s10
	v_mov_b32_e32 v6, s9
.LBB166_21:                             ; =>This Inner Loop Header: Depth=1
	v_add_u32_e32 v8, v6, v7
	v_lshrrev_b32_e32 v8, 1, v8
	global_load_ubyte v9, v8, s[12:13]
	v_add_u32_e32 v10, 1, v8
	s_waitcnt vmcnt(0)
	v_and_b32_e32 v9, v4, v9
	v_cmp_gt_u16_sdwa s[4:5], v9, v3 src0_sel:DWORD src1_sel:BYTE_0
	v_cndmask_b32_e64 v11, 0, 1, s[4:5]
	v_cmp_le_u16_sdwa s[4:5], v3, v9 src0_sel:BYTE_0 src1_sel:DWORD
	v_cndmask_b32_e64 v9, 0, 1, s[4:5]
	v_cndmask_b32_e64 v9, v9, v11, s[0:1]
	v_and_b32_e32 v9, 1, v9
	v_cmp_eq_u32_e32 vcc, 1, v9
	v_cndmask_b32_e32 v7, v8, v7, vcc
	v_cndmask_b32_e32 v6, v6, v10, vcc
	v_cmp_ge_u32_e32 vcc, v6, v7
	s_or_b64 s[2:3], vcc, s[2:3]
	s_andn2_b64 exec, exec, s[2:3]
	s_cbranch_execnz .LBB166_21
; %bb.22:
	s_or_b64 exec, exec, s[2:3]
.LBB166_23:
	v_add_u32_e32 v3, v6, v0
	v_mov_b32_e32 v4, 0
	global_store_byte v3, v5, s[14:15]
	v_lshlrev_b64 v[3:4], 3, v[3:4]
	v_mov_b32_e32 v0, s19
	v_add_co_u32_e32 v3, vcc, s18, v3
	v_addc_co_u32_e32 v4, vcc, v0, v4, vcc
	global_store_dwordx2 v[3:4], v[1:2], off
.LBB166_24:
	s_endpgm
	.section	.rodata,"a",@progbits
	.p2align	6, 0x0
	.amdhsa_kernel _ZN7rocprim17ROCPRIM_304000_NS6detail33device_block_merge_oddeven_kernelINS1_37wrapped_merge_sort_block_merge_configINS0_14default_configEbN2at4cuda3cub6detail10OpaqueTypeILi8EEEEEPbSC_PSA_SD_jNS1_19radix_merge_compareILb1ELb1EbNS0_19identity_decomposerEEEEEvT0_T1_T2_T3_T4_SL_T5_
		.amdhsa_group_segment_fixed_size 512
		.amdhsa_private_segment_fixed_size 0
		.amdhsa_kernarg_size 44
		.amdhsa_user_sgpr_count 8
		.amdhsa_user_sgpr_private_segment_buffer 1
		.amdhsa_user_sgpr_dispatch_ptr 1
		.amdhsa_user_sgpr_queue_ptr 0
		.amdhsa_user_sgpr_kernarg_segment_ptr 1
		.amdhsa_user_sgpr_dispatch_id 0
		.amdhsa_user_sgpr_flat_scratch_init 0
		.amdhsa_user_sgpr_private_segment_size 0
		.amdhsa_uses_dynamic_stack 0
		.amdhsa_system_sgpr_private_segment_wavefront_offset 0
		.amdhsa_system_sgpr_workgroup_id_x 1
		.amdhsa_system_sgpr_workgroup_id_y 0
		.amdhsa_system_sgpr_workgroup_id_z 0
		.amdhsa_system_sgpr_workgroup_info 0
		.amdhsa_system_vgpr_workitem_id 2
		.amdhsa_next_free_vgpr 12
		.amdhsa_next_free_sgpr 24
		.amdhsa_reserve_vcc 1
		.amdhsa_reserve_flat_scratch 0
		.amdhsa_float_round_mode_32 0
		.amdhsa_float_round_mode_16_64 0
		.amdhsa_float_denorm_mode_32 3
		.amdhsa_float_denorm_mode_16_64 3
		.amdhsa_dx10_clamp 1
		.amdhsa_ieee_mode 1
		.amdhsa_fp16_overflow 0
		.amdhsa_exception_fp_ieee_invalid_op 0
		.amdhsa_exception_fp_denorm_src 0
		.amdhsa_exception_fp_ieee_div_zero 0
		.amdhsa_exception_fp_ieee_overflow 0
		.amdhsa_exception_fp_ieee_underflow 0
		.amdhsa_exception_fp_ieee_inexact 0
		.amdhsa_exception_int_div_zero 0
	.end_amdhsa_kernel
	.section	.text._ZN7rocprim17ROCPRIM_304000_NS6detail33device_block_merge_oddeven_kernelINS1_37wrapped_merge_sort_block_merge_configINS0_14default_configEbN2at4cuda3cub6detail10OpaqueTypeILi8EEEEEPbSC_PSA_SD_jNS1_19radix_merge_compareILb1ELb1EbNS0_19identity_decomposerEEEEEvT0_T1_T2_T3_T4_SL_T5_,"axG",@progbits,_ZN7rocprim17ROCPRIM_304000_NS6detail33device_block_merge_oddeven_kernelINS1_37wrapped_merge_sort_block_merge_configINS0_14default_configEbN2at4cuda3cub6detail10OpaqueTypeILi8EEEEEPbSC_PSA_SD_jNS1_19radix_merge_compareILb1ELb1EbNS0_19identity_decomposerEEEEEvT0_T1_T2_T3_T4_SL_T5_,comdat
.Lfunc_end166:
	.size	_ZN7rocprim17ROCPRIM_304000_NS6detail33device_block_merge_oddeven_kernelINS1_37wrapped_merge_sort_block_merge_configINS0_14default_configEbN2at4cuda3cub6detail10OpaqueTypeILi8EEEEEPbSC_PSA_SD_jNS1_19radix_merge_compareILb1ELb1EbNS0_19identity_decomposerEEEEEvT0_T1_T2_T3_T4_SL_T5_, .Lfunc_end166-_ZN7rocprim17ROCPRIM_304000_NS6detail33device_block_merge_oddeven_kernelINS1_37wrapped_merge_sort_block_merge_configINS0_14default_configEbN2at4cuda3cub6detail10OpaqueTypeILi8EEEEEPbSC_PSA_SD_jNS1_19radix_merge_compareILb1ELb1EbNS0_19identity_decomposerEEEEEvT0_T1_T2_T3_T4_SL_T5_
                                        ; -- End function
	.set _ZN7rocprim17ROCPRIM_304000_NS6detail33device_block_merge_oddeven_kernelINS1_37wrapped_merge_sort_block_merge_configINS0_14default_configEbN2at4cuda3cub6detail10OpaqueTypeILi8EEEEEPbSC_PSA_SD_jNS1_19radix_merge_compareILb1ELb1EbNS0_19identity_decomposerEEEEEvT0_T1_T2_T3_T4_SL_T5_.num_vgpr, 12
	.set _ZN7rocprim17ROCPRIM_304000_NS6detail33device_block_merge_oddeven_kernelINS1_37wrapped_merge_sort_block_merge_configINS0_14default_configEbN2at4cuda3cub6detail10OpaqueTypeILi8EEEEEPbSC_PSA_SD_jNS1_19radix_merge_compareILb1ELb1EbNS0_19identity_decomposerEEEEEvT0_T1_T2_T3_T4_SL_T5_.num_agpr, 0
	.set _ZN7rocprim17ROCPRIM_304000_NS6detail33device_block_merge_oddeven_kernelINS1_37wrapped_merge_sort_block_merge_configINS0_14default_configEbN2at4cuda3cub6detail10OpaqueTypeILi8EEEEEPbSC_PSA_SD_jNS1_19radix_merge_compareILb1ELb1EbNS0_19identity_decomposerEEEEEvT0_T1_T2_T3_T4_SL_T5_.numbered_sgpr, 24
	.set _ZN7rocprim17ROCPRIM_304000_NS6detail33device_block_merge_oddeven_kernelINS1_37wrapped_merge_sort_block_merge_configINS0_14default_configEbN2at4cuda3cub6detail10OpaqueTypeILi8EEEEEPbSC_PSA_SD_jNS1_19radix_merge_compareILb1ELb1EbNS0_19identity_decomposerEEEEEvT0_T1_T2_T3_T4_SL_T5_.num_named_barrier, 0
	.set _ZN7rocprim17ROCPRIM_304000_NS6detail33device_block_merge_oddeven_kernelINS1_37wrapped_merge_sort_block_merge_configINS0_14default_configEbN2at4cuda3cub6detail10OpaqueTypeILi8EEEEEPbSC_PSA_SD_jNS1_19radix_merge_compareILb1ELb1EbNS0_19identity_decomposerEEEEEvT0_T1_T2_T3_T4_SL_T5_.private_seg_size, 0
	.set _ZN7rocprim17ROCPRIM_304000_NS6detail33device_block_merge_oddeven_kernelINS1_37wrapped_merge_sort_block_merge_configINS0_14default_configEbN2at4cuda3cub6detail10OpaqueTypeILi8EEEEEPbSC_PSA_SD_jNS1_19radix_merge_compareILb1ELb1EbNS0_19identity_decomposerEEEEEvT0_T1_T2_T3_T4_SL_T5_.uses_vcc, 1
	.set _ZN7rocprim17ROCPRIM_304000_NS6detail33device_block_merge_oddeven_kernelINS1_37wrapped_merge_sort_block_merge_configINS0_14default_configEbN2at4cuda3cub6detail10OpaqueTypeILi8EEEEEPbSC_PSA_SD_jNS1_19radix_merge_compareILb1ELb1EbNS0_19identity_decomposerEEEEEvT0_T1_T2_T3_T4_SL_T5_.uses_flat_scratch, 0
	.set _ZN7rocprim17ROCPRIM_304000_NS6detail33device_block_merge_oddeven_kernelINS1_37wrapped_merge_sort_block_merge_configINS0_14default_configEbN2at4cuda3cub6detail10OpaqueTypeILi8EEEEEPbSC_PSA_SD_jNS1_19radix_merge_compareILb1ELb1EbNS0_19identity_decomposerEEEEEvT0_T1_T2_T3_T4_SL_T5_.has_dyn_sized_stack, 0
	.set _ZN7rocprim17ROCPRIM_304000_NS6detail33device_block_merge_oddeven_kernelINS1_37wrapped_merge_sort_block_merge_configINS0_14default_configEbN2at4cuda3cub6detail10OpaqueTypeILi8EEEEEPbSC_PSA_SD_jNS1_19radix_merge_compareILb1ELb1EbNS0_19identity_decomposerEEEEEvT0_T1_T2_T3_T4_SL_T5_.has_recursion, 0
	.set _ZN7rocprim17ROCPRIM_304000_NS6detail33device_block_merge_oddeven_kernelINS1_37wrapped_merge_sort_block_merge_configINS0_14default_configEbN2at4cuda3cub6detail10OpaqueTypeILi8EEEEEPbSC_PSA_SD_jNS1_19radix_merge_compareILb1ELb1EbNS0_19identity_decomposerEEEEEvT0_T1_T2_T3_T4_SL_T5_.has_indirect_call, 0
	.section	.AMDGPU.csdata,"",@progbits
; Kernel info:
; codeLenInByte = 816
; TotalNumSgprs: 28
; NumVgprs: 12
; ScratchSize: 0
; MemoryBound: 0
; FloatMode: 240
; IeeeMode: 1
; LDSByteSize: 512 bytes/workgroup (compile time only)
; SGPRBlocks: 3
; VGPRBlocks: 2
; NumSGPRsForWavesPerEU: 28
; NumVGPRsForWavesPerEU: 12
; Occupancy: 10
; WaveLimiterHint : 0
; COMPUTE_PGM_RSRC2:SCRATCH_EN: 0
; COMPUTE_PGM_RSRC2:USER_SGPR: 8
; COMPUTE_PGM_RSRC2:TRAP_HANDLER: 0
; COMPUTE_PGM_RSRC2:TGID_X_EN: 1
; COMPUTE_PGM_RSRC2:TGID_Y_EN: 0
; COMPUTE_PGM_RSRC2:TGID_Z_EN: 0
; COMPUTE_PGM_RSRC2:TIDIG_COMP_CNT: 2
	.section	.text._ZN7rocprim17ROCPRIM_304000_NS6detail26onesweep_histograms_kernelINS1_34wrapped_radix_sort_onesweep_configINS0_14default_configEbN2at4cuda3cub6detail10OpaqueTypeILi8EEEEELb1EPKbmNS0_19identity_decomposerEEEvT1_PT2_SG_SG_T3_jj,"axG",@progbits,_ZN7rocprim17ROCPRIM_304000_NS6detail26onesweep_histograms_kernelINS1_34wrapped_radix_sort_onesweep_configINS0_14default_configEbN2at4cuda3cub6detail10OpaqueTypeILi8EEEEELb1EPKbmNS0_19identity_decomposerEEEvT1_PT2_SG_SG_T3_jj,comdat
	.protected	_ZN7rocprim17ROCPRIM_304000_NS6detail26onesweep_histograms_kernelINS1_34wrapped_radix_sort_onesweep_configINS0_14default_configEbN2at4cuda3cub6detail10OpaqueTypeILi8EEEEELb1EPKbmNS0_19identity_decomposerEEEvT1_PT2_SG_SG_T3_jj ; -- Begin function _ZN7rocprim17ROCPRIM_304000_NS6detail26onesweep_histograms_kernelINS1_34wrapped_radix_sort_onesweep_configINS0_14default_configEbN2at4cuda3cub6detail10OpaqueTypeILi8EEEEELb1EPKbmNS0_19identity_decomposerEEEvT1_PT2_SG_SG_T3_jj
	.globl	_ZN7rocprim17ROCPRIM_304000_NS6detail26onesweep_histograms_kernelINS1_34wrapped_radix_sort_onesweep_configINS0_14default_configEbN2at4cuda3cub6detail10OpaqueTypeILi8EEEEELb1EPKbmNS0_19identity_decomposerEEEvT1_PT2_SG_SG_T3_jj
	.p2align	8
	.type	_ZN7rocprim17ROCPRIM_304000_NS6detail26onesweep_histograms_kernelINS1_34wrapped_radix_sort_onesweep_configINS0_14default_configEbN2at4cuda3cub6detail10OpaqueTypeILi8EEEEELb1EPKbmNS0_19identity_decomposerEEEvT1_PT2_SG_SG_T3_jj,@function
_ZN7rocprim17ROCPRIM_304000_NS6detail26onesweep_histograms_kernelINS1_34wrapped_radix_sort_onesweep_configINS0_14default_configEbN2at4cuda3cub6detail10OpaqueTypeILi8EEEEELb1EPKbmNS0_19identity_decomposerEEEvT1_PT2_SG_SG_T3_jj: ; @_ZN7rocprim17ROCPRIM_304000_NS6detail26onesweep_histograms_kernelINS1_34wrapped_radix_sort_onesweep_configINS0_14default_configEbN2at4cuda3cub6detail10OpaqueTypeILi8EEEEELb1EPKbmNS0_19identity_decomposerEEEvT1_PT2_SG_SG_T3_jj
; %bb.0:
	s_load_dwordx8 s[20:27], s[4:5], 0x0
	s_load_dwordx2 s[28:29], s[4:5], 0x24
	v_mov_b32_e32 v1, s6
	v_mov_b32_e32 v2, 0
	s_mul_hi_u32 s0, s6, 0xc00
	s_mulk_i32 s6, 0xc00
	s_waitcnt lgkmcnt(0)
	v_cmp_le_u64_e32 vcc, s[26:27], v[1:2]
	s_add_u32 s30, s20, s6
	s_addc_u32 s31, s21, s0
	s_mov_b64 s[0:1], -1
	s_cbranch_vccz .LBB167_46
; %bb.1:
	s_mul_i32 s12, s26, 0xfffff400
	s_add_i32 s12, s12, s24
	v_mov_b32_e32 v1, s31
	v_add_co_u32_e32 v3, vcc, s30, v0
	v_addc_co_u32_e32 v4, vcc, 0, v1, vcc
	v_cmp_gt_u32_e64 s[10:11], s12, v0
	v_mov_b32_e32 v1, 0
	v_mov_b32_e32 v7, 0
	;; [unrolled: 1-line block ×4, first 2 shown]
	s_and_saveexec_b64 s[0:1], s[10:11]
	s_cbranch_execz .LBB167_3
; %bb.2:
	global_load_ubyte v1, v[3:4], off
	v_mov_b32_e32 v7, 0
	v_mov_b32_e32 v5, 0
	;; [unrolled: 1-line block ×3, first 2 shown]
.LBB167_3:
	s_or_b64 exec, exec, s[0:1]
	v_or_b32_e32 v8, 0x200, v0
	v_cmp_gt_u32_e64 s[0:1], s12, v8
	v_mov_b32_e32 v8, v2
	s_and_saveexec_b64 s[2:3], s[0:1]
	s_cbranch_execz .LBB167_5
; %bb.4:
	global_load_ubyte v8, v[3:4], off offset:512
.LBB167_5:
	s_or_b64 exec, exec, s[2:3]
	v_or_b32_e32 v9, 0x400, v0
	v_cmp_gt_u32_e64 s[2:3], s12, v9
	s_and_saveexec_b64 s[4:5], s[2:3]
	s_cbranch_execz .LBB167_7
; %bb.6:
	global_load_ubyte v2, v[3:4], off offset:1024
.LBB167_7:
	s_or_b64 exec, exec, s[4:5]
	v_or_b32_e32 v9, 0x600, v0
	v_cmp_gt_u32_e64 s[4:5], s12, v9
	;; [unrolled: 8-line block ×4, first 2 shown]
	s_and_saveexec_b64 s[12:13], s[8:9]
	s_cbranch_execz .LBB167_13
; %bb.12:
	global_load_ubyte v6, v[3:4], off offset:2560
.LBB167_13:
	s_or_b64 exec, exec, s[12:13]
	v_or_b32_e32 v3, 0xfffffe00, v0
	v_lshlrev_b32_e32 v4, 2, v0
	s_mov_b64 s[12:13], 0
	v_mov_b32_e32 v9, 0
.LBB167_14:                             ; =>This Inner Loop Header: Depth=1
	v_add_co_u32_e32 v3, vcc, 0x200, v3
	s_xor_b64 s[14:15], vcc, -1
	s_and_b64 s[14:15], exec, s[14:15]
	ds_write_b32 v4, v9
	s_or_b64 s[12:13], s[14:15], s[12:13]
	v_add_u32_e32 v4, 0x800, v4
	s_andn2_b64 exec, exec, s[12:13]
	s_cbranch_execnz .LBB167_14
; %bb.15:
	s_or_b64 exec, exec, s[12:13]
	s_cmp_gt_u32 s29, s28
	s_cselect_b64 s[24:25], -1, 0
	s_cmp_le_u32 s29, s28
	s_waitcnt vmcnt(0) lgkmcnt(0)
	s_barrier
	s_cbranch_scc1 .LBB167_40
; %bb.16:
	v_and_b32_e32 v2, 1, v2
	v_cmp_eq_u32_e64 s[16:17], 1, v2
	v_and_b32_e32 v2, 1, v7
	v_and_b32_e32 v1, 1, v1
	v_cmp_eq_u32_e64 s[14:15], 1, v2
	v_and_b32_e32 v2, 1, v5
	v_cmp_eq_u32_e64 s[20:21], 1, v1
	v_and_b32_e32 v1, 3, v0
	v_and_b32_e32 v3, 1, v8
	v_cmp_eq_u32_e64 s[12:13], 1, v2
	v_and_b32_e32 v2, 1, v6
	s_xor_b64 s[20:21], s[20:21], -1
	v_lshlrev_b32_e32 v1, 2, v1
	s_sub_i32 s26, s29, s28
	v_cmp_eq_u32_e64 s[18:19], 1, v3
	v_cmp_eq_u32_e32 vcc, 1, v2
	v_cndmask_b32_e64 v2, 0, 1, s[20:21]
	v_mov_b32_e32 v3, 1
	s_mov_b32 s27, s26
	v_mov_b32_e32 v4, v1
	s_mov_b32 s33, s28
	s_branch .LBB167_18
.LBB167_17:                             ;   in Loop: Header=BB167_18 Depth=1
	s_or_b64 exec, exec, s[20:21]
	s_add_i32 s33, s33, 8
	s_add_i32 s27, s27, -8
	s_cmp_ge_u32 s33, s29
	v_add_u32_e32 v4, 0x1000, v4
	s_cbranch_scc1 .LBB167_20
.LBB167_18:                             ; =>This Inner Loop Header: Depth=1
	s_and_saveexec_b64 s[20:21], s[10:11]
	s_cbranch_execz .LBB167_17
; %bb.19:                               ;   in Loop: Header=BB167_18 Depth=1
	s_min_u32 s34, s27, 8
	v_lshrrev_b32_e32 v5, s33, v2
	v_bfe_u32 v5, v5, 0, s34
	v_lshl_add_u32 v5, v5, 4, v4
	ds_add_u32 v5, v3
	s_branch .LBB167_17
.LBB167_20:
	s_xor_b64 s[10:11], s[18:19], -1
	v_cndmask_b32_e64 v2, 0, 1, s[10:11]
	v_mov_b32_e32 v3, 1
	s_mov_b32 s18, s26
	v_mov_b32_e32 v4, v1
	s_mov_b32 s19, s28
	s_branch .LBB167_22
.LBB167_21:                             ;   in Loop: Header=BB167_22 Depth=1
	s_or_b64 exec, exec, s[10:11]
	s_add_i32 s19, s19, 8
	s_add_i32 s18, s18, -8
	s_cmp_lt_u32 s19, s29
	v_add_u32_e32 v4, 0x1000, v4
	s_cbranch_scc0 .LBB167_24
.LBB167_22:                             ; =>This Inner Loop Header: Depth=1
	s_and_saveexec_b64 s[10:11], s[0:1]
	s_cbranch_execz .LBB167_21
; %bb.23:                               ;   in Loop: Header=BB167_22 Depth=1
	s_min_u32 s20, s18, 8
	v_lshrrev_b32_e32 v5, s19, v2
	v_bfe_u32 v5, v5, 0, s20
	v_lshl_add_u32 v5, v5, 4, v4
	ds_add_u32 v5, v3
	s_branch .LBB167_21
.LBB167_24:
	s_xor_b64 s[0:1], s[16:17], -1
	v_cndmask_b32_e64 v2, 0, 1, s[0:1]
	v_mov_b32_e32 v3, 1
	s_mov_b32 s10, s26
	v_mov_b32_e32 v4, v1
	s_mov_b32 s11, s28
	s_branch .LBB167_26
.LBB167_25:                             ;   in Loop: Header=BB167_26 Depth=1
	s_or_b64 exec, exec, s[0:1]
	s_add_i32 s11, s11, 8
	s_add_i32 s10, s10, -8
	s_cmp_lt_u32 s11, s29
	v_add_u32_e32 v4, 0x1000, v4
	s_cbranch_scc0 .LBB167_28
.LBB167_26:                             ; =>This Inner Loop Header: Depth=1
	s_and_saveexec_b64 s[0:1], s[2:3]
	s_cbranch_execz .LBB167_25
; %bb.27:                               ;   in Loop: Header=BB167_26 Depth=1
	s_min_u32 s16, s10, 8
	v_lshrrev_b32_e32 v5, s11, v2
	v_bfe_u32 v5, v5, 0, s16
	v_lshl_add_u32 v5, v5, 4, v4
	ds_add_u32 v5, v3
	s_branch .LBB167_25
.LBB167_28:
	;; [unrolled: 25-line block ×4, first 2 shown]
	s_xor_b64 s[0:1], vcc, -1
	v_cndmask_b32_e64 v2, 0, 1, s[0:1]
	v_mov_b32_e32 v3, 1
	s_mov_b32 s2, s28
	s_branch .LBB167_38
.LBB167_37:                             ;   in Loop: Header=BB167_38 Depth=1
	s_or_b64 exec, exec, s[0:1]
	s_add_i32 s2, s2, 8
	s_add_i32 s26, s26, -8
	s_cmp_lt_u32 s2, s29
	v_add_u32_e32 v1, 0x1000, v1
	s_cbranch_scc0 .LBB167_40
.LBB167_38:                             ; =>This Inner Loop Header: Depth=1
	s_and_saveexec_b64 s[0:1], s[8:9]
	s_cbranch_execz .LBB167_37
; %bb.39:                               ;   in Loop: Header=BB167_38 Depth=1
	s_min_u32 s3, s26, 8
	v_lshrrev_b32_e32 v4, s2, v2
	v_bfe_u32 v4, v4, 0, s3
	v_lshl_add_u32 v4, v4, 4, v1
	ds_add_u32 v4, v3
	s_branch .LBB167_37
.LBB167_40:
	s_and_b64 vcc, exec, s[24:25]
	s_waitcnt lgkmcnt(0)
	s_barrier
	s_cbranch_vccz .LBB167_45
; %bb.41:
	s_movk_i32 s0, 0x100
	v_cmp_gt_u32_e32 vcc, s0, v0
	v_lshlrev_b32_e32 v3, 4, v0
	v_mov_b32_e32 v2, 0
	v_mov_b32_e32 v1, v0
	s_mov_b32 s4, s28
	s_branch .LBB167_43
.LBB167_42:                             ;   in Loop: Header=BB167_43 Depth=1
	s_or_b64 exec, exec, s[2:3]
	s_add_i32 s4, s4, 8
	v_add_u32_e32 v1, 0x100, v1
	s_cmp_lt_u32 s4, s29
	v_add_u32_e32 v3, 0x1000, v3
	s_cbranch_scc0 .LBB167_45
.LBB167_43:                             ; =>This Inner Loop Header: Depth=1
	s_and_saveexec_b64 s[2:3], vcc
	s_cbranch_execz .LBB167_42
; %bb.44:                               ;   in Loop: Header=BB167_43 Depth=1
	ds_read2_b32 v[4:5], v3 offset1:1
	ds_read2_b32 v[6:7], v3 offset0:2 offset1:3
	v_lshlrev_b64 v[8:9], 3, v[1:2]
	v_mov_b32_e32 v10, s23
	s_waitcnt lgkmcnt(1)
	v_add_u32_e32 v4, v5, v4
	s_waitcnt lgkmcnt(0)
	v_add3_u32 v4, v4, v6, v7
	v_add_co_u32_e64 v6, s[0:1], s22, v8
	v_addc_co_u32_e64 v7, s[0:1], v10, v9, s[0:1]
	v_mov_b32_e32 v5, v2
	global_atomic_add_x2 v[6:7], v[4:5], off
	s_branch .LBB167_42
.LBB167_45:
	s_mov_b64 s[0:1], 0
.LBB167_46:
	s_and_b64 vcc, exec, s[0:1]
	s_cbranch_vccz .LBB167_74
; %bb.47:
	global_load_ubyte v8, v0, s[30:31]
	global_load_ubyte v7, v0, s[30:31] offset:512
	global_load_ubyte v6, v0, s[30:31] offset:1024
	;; [unrolled: 1-line block ×5, first 2 shown]
	s_cmp_eq_u32 s28, 0
	s_cselect_b64 s[0:1], -1, 0
	s_cmp_eq_u32 s29, 8
	s_cselect_b64 s[2:3], -1, 0
	s_and_b64 s[2:3], s[0:1], s[2:3]
	v_mov_b32_e32 v1, 0
	s_mov_b64 s[0:1], -1
	s_and_b64 vcc, exec, s[2:3]
	v_lshlrev_b32_e32 v9, 2, v0
	s_cbranch_vccnz .LBB167_69
; %bb.48:
	v_or_b32_e32 v2, 0xfffffe00, v0
	v_lshlrev_b32_e32 v10, 2, v0
	s_mov_b64 s[0:1], 0
.LBB167_49:                             ; =>This Inner Loop Header: Depth=1
	v_add_co_u32_e32 v2, vcc, 0x200, v2
	s_xor_b64 s[2:3], vcc, -1
	s_and_b64 s[2:3], exec, s[2:3]
	ds_write_b32 v10, v1
	s_or_b64 s[0:1], s[2:3], s[0:1]
	v_add_u32_e32 v10, 0x800, v10
	s_andn2_b64 exec, exec, s[0:1]
	s_cbranch_execnz .LBB167_49
; %bb.50:
	s_or_b64 exec, exec, s[0:1]
	s_cmp_gt_u32 s29, s28
	s_cselect_b64 s[0:1], -1, 0
	s_cmp_le_u32 s29, s28
	s_waitcnt vmcnt(0) lgkmcnt(0)
	s_barrier
	s_cbranch_scc1 .LBB167_63
; %bb.51:
	v_and_b32_e32 v1, 3, v0
	v_lshlrev_b32_e32 v1, 2, v1
	s_sub_i32 s2, s29, s28
	v_xor_b32_e32 v2, 1, v8
	v_mov_b32_e32 v10, 1
	s_mov_b32 s3, s2
	v_mov_b32_e32 v11, v1
	s_mov_b32 s4, s28
.LBB167_52:                             ; =>This Inner Loop Header: Depth=1
	s_min_u32 s5, s3, 8
	v_lshrrev_b32_sdwa v12, s4, v2 dst_sel:DWORD dst_unused:UNUSED_PAD src0_sel:DWORD src1_sel:BYTE_0
	v_bfe_u32 v12, v12, 0, s5
	v_lshl_add_u32 v12, v12, 4, v11
	ds_add_u32 v12, v10
	s_add_i32 s4, s4, 8
	s_add_i32 s3, s3, -8
	s_cmp_lt_u32 s4, s29
	v_add_u32_e32 v11, 0x1000, v11
	s_cbranch_scc1 .LBB167_52
; %bb.53:
	v_xor_b32_e32 v2, 1, v7
	v_mov_b32_e32 v10, 1
	s_mov_b32 s3, s2
	v_mov_b32_e32 v11, v1
	s_mov_b32 s4, s28
.LBB167_54:                             ; =>This Inner Loop Header: Depth=1
	s_min_u32 s5, s3, 8
	v_lshrrev_b32_sdwa v12, s4, v2 dst_sel:DWORD dst_unused:UNUSED_PAD src0_sel:DWORD src1_sel:BYTE_0
	v_bfe_u32 v12, v12, 0, s5
	v_lshl_add_u32 v12, v12, 4, v11
	ds_add_u32 v12, v10
	s_add_i32 s4, s4, 8
	s_add_i32 s3, s3, -8
	s_cmp_lt_u32 s4, s29
	v_add_u32_e32 v11, 0x1000, v11
	s_cbranch_scc1 .LBB167_54
; %bb.55:
	;; [unrolled: 17-line block ×5, first 2 shown]
	v_xor_b32_e32 v2, 1, v3
	v_mov_b32_e32 v10, 1
	s_mov_b32 s3, s28
.LBB167_62:                             ; =>This Inner Loop Header: Depth=1
	s_min_u32 s4, s2, 8
	v_lshrrev_b32_sdwa v11, s3, v2 dst_sel:DWORD dst_unused:UNUSED_PAD src0_sel:DWORD src1_sel:BYTE_0
	v_bfe_u32 v11, v11, 0, s4
	v_lshl_add_u32 v11, v11, 4, v1
	ds_add_u32 v11, v10
	s_add_i32 s3, s3, 8
	s_add_i32 s2, s2, -8
	s_cmp_lt_u32 s3, s29
	v_add_u32_e32 v1, 0x1000, v1
	s_cbranch_scc1 .LBB167_62
.LBB167_63:
	s_and_b64 vcc, exec, s[0:1]
	s_waitcnt lgkmcnt(0)
	s_barrier
	s_cbranch_vccz .LBB167_68
; %bb.64:
	s_movk_i32 s0, 0x100
	v_cmp_gt_u32_e32 vcc, s0, v0
	v_lshlrev_b32_e32 v10, 4, v0
	v_mov_b32_e32 v2, 0
	v_mov_b32_e32 v1, v0
	s_branch .LBB167_66
.LBB167_65:                             ;   in Loop: Header=BB167_66 Depth=1
	s_or_b64 exec, exec, s[2:3]
	s_add_i32 s28, s28, 8
	v_add_u32_e32 v1, 0x100, v1
	s_cmp_ge_u32 s28, s29
	v_add_u32_e32 v10, 0x1000, v10
	s_cbranch_scc1 .LBB167_68
.LBB167_66:                             ; =>This Inner Loop Header: Depth=1
	s_and_saveexec_b64 s[2:3], vcc
	s_cbranch_execz .LBB167_65
; %bb.67:                               ;   in Loop: Header=BB167_66 Depth=1
	ds_read2_b32 v[11:12], v10 offset1:1
	ds_read2_b32 v[13:14], v10 offset0:2 offset1:3
	v_lshlrev_b64 v[15:16], 3, v[1:2]
	v_mov_b32_e32 v17, s23
	s_waitcnt lgkmcnt(1)
	v_add_u32_e32 v11, v12, v11
	s_waitcnt lgkmcnt(0)
	v_add3_u32 v11, v11, v13, v14
	v_add_co_u32_e64 v13, s[0:1], s22, v15
	v_addc_co_u32_e64 v14, s[0:1], v17, v16, s[0:1]
	v_mov_b32_e32 v12, v2
	global_atomic_add_x2 v[13:14], v[11:12], off
	s_branch .LBB167_65
.LBB167_68:
	s_mov_b64 s[0:1], 0
.LBB167_69:
	s_and_b64 vcc, exec, s[0:1]
	s_cbranch_vccz .LBB167_74
; %bb.70:
	v_or_b32_e32 v1, 0xfffffe00, v0
	s_mov_b64 s[0:1], 0
	v_mov_b32_e32 v2, 0
.LBB167_71:                             ; =>This Inner Loop Header: Depth=1
	v_add_co_u32_e32 v1, vcc, 0x200, v1
	s_xor_b64 s[2:3], vcc, -1
	s_and_b64 s[2:3], exec, s[2:3]
	ds_write_b32 v9, v2
	s_or_b64 s[0:1], s[2:3], s[0:1]
	v_add_u32_e32 v9, 0x800, v9
	s_andn2_b64 exec, exec, s[0:1]
	s_cbranch_execnz .LBB167_71
; %bb.72:
	s_or_b64 exec, exec, s[0:1]
	s_waitcnt vmcnt(5)
	v_lshlrev_b16_e32 v2, 4, v8
	v_and_b32_e32 v1, 3, v0
	v_and_b32_e32 v2, 0xf0, v2
	v_xor_b32_e32 v2, 16, v2
	v_lshlrev_b32_e32 v1, 2, v1
	v_or_b32_e32 v2, v2, v1
	v_mov_b32_e32 v8, 1
	s_waitcnt vmcnt(0) lgkmcnt(0)
	s_barrier
	ds_add_u32 v2, v8
	v_lshlrev_b16_e32 v2, 4, v7
	v_and_b32_e32 v2, 0xf0, v2
	v_xor_b32_e32 v2, 16, v2
	v_or_b32_e32 v2, v2, v1
	ds_add_u32 v2, v8
	v_lshlrev_b16_e32 v2, 4, v6
	v_and_b32_e32 v2, 0xf0, v2
	v_xor_b32_e32 v2, 16, v2
	v_or_b32_e32 v2, v2, v1
	;; [unrolled: 5-line block ×5, first 2 shown]
	ds_add_u32 v1, v8
	s_movk_i32 s0, 0x100
	v_cmp_gt_u32_e32 vcc, s0, v0
	s_waitcnt lgkmcnt(0)
	s_barrier
	s_and_saveexec_b64 s[0:1], vcc
	s_cbranch_execz .LBB167_74
; %bb.73:
	v_lshlrev_b32_e32 v3, 4, v0
	ds_read2_b32 v[1:2], v3 offset1:1
	ds_read2_b32 v[3:4], v3 offset0:2 offset1:3
	v_lshlrev_b32_e32 v5, 3, v0
	s_waitcnt lgkmcnt(1)
	v_add_u32_e32 v0, v2, v1
	s_waitcnt lgkmcnt(0)
	v_add3_u32 v0, v0, v3, v4
	v_mov_b32_e32 v1, 0
	global_atomic_add_x2 v5, v[0:1], s[22:23]
.LBB167_74:
	s_endpgm
	.section	.rodata,"a",@progbits
	.p2align	6, 0x0
	.amdhsa_kernel _ZN7rocprim17ROCPRIM_304000_NS6detail26onesweep_histograms_kernelINS1_34wrapped_radix_sort_onesweep_configINS0_14default_configEbN2at4cuda3cub6detail10OpaqueTypeILi8EEEEELb1EPKbmNS0_19identity_decomposerEEEvT1_PT2_SG_SG_T3_jj
		.amdhsa_group_segment_fixed_size 4096
		.amdhsa_private_segment_fixed_size 0
		.amdhsa_kernarg_size 44
		.amdhsa_user_sgpr_count 6
		.amdhsa_user_sgpr_private_segment_buffer 1
		.amdhsa_user_sgpr_dispatch_ptr 0
		.amdhsa_user_sgpr_queue_ptr 0
		.amdhsa_user_sgpr_kernarg_segment_ptr 1
		.amdhsa_user_sgpr_dispatch_id 0
		.amdhsa_user_sgpr_flat_scratch_init 0
		.amdhsa_user_sgpr_private_segment_size 0
		.amdhsa_uses_dynamic_stack 0
		.amdhsa_system_sgpr_private_segment_wavefront_offset 0
		.amdhsa_system_sgpr_workgroup_id_x 1
		.amdhsa_system_sgpr_workgroup_id_y 0
		.amdhsa_system_sgpr_workgroup_id_z 0
		.amdhsa_system_sgpr_workgroup_info 0
		.amdhsa_system_vgpr_workitem_id 0
		.amdhsa_next_free_vgpr 18
		.amdhsa_next_free_sgpr 35
		.amdhsa_reserve_vcc 1
		.amdhsa_reserve_flat_scratch 0
		.amdhsa_float_round_mode_32 0
		.amdhsa_float_round_mode_16_64 0
		.amdhsa_float_denorm_mode_32 3
		.amdhsa_float_denorm_mode_16_64 3
		.amdhsa_dx10_clamp 1
		.amdhsa_ieee_mode 1
		.amdhsa_fp16_overflow 0
		.amdhsa_exception_fp_ieee_invalid_op 0
		.amdhsa_exception_fp_denorm_src 0
		.amdhsa_exception_fp_ieee_div_zero 0
		.amdhsa_exception_fp_ieee_overflow 0
		.amdhsa_exception_fp_ieee_underflow 0
		.amdhsa_exception_fp_ieee_inexact 0
		.amdhsa_exception_int_div_zero 0
	.end_amdhsa_kernel
	.section	.text._ZN7rocprim17ROCPRIM_304000_NS6detail26onesweep_histograms_kernelINS1_34wrapped_radix_sort_onesweep_configINS0_14default_configEbN2at4cuda3cub6detail10OpaqueTypeILi8EEEEELb1EPKbmNS0_19identity_decomposerEEEvT1_PT2_SG_SG_T3_jj,"axG",@progbits,_ZN7rocprim17ROCPRIM_304000_NS6detail26onesweep_histograms_kernelINS1_34wrapped_radix_sort_onesweep_configINS0_14default_configEbN2at4cuda3cub6detail10OpaqueTypeILi8EEEEELb1EPKbmNS0_19identity_decomposerEEEvT1_PT2_SG_SG_T3_jj,comdat
.Lfunc_end167:
	.size	_ZN7rocprim17ROCPRIM_304000_NS6detail26onesweep_histograms_kernelINS1_34wrapped_radix_sort_onesweep_configINS0_14default_configEbN2at4cuda3cub6detail10OpaqueTypeILi8EEEEELb1EPKbmNS0_19identity_decomposerEEEvT1_PT2_SG_SG_T3_jj, .Lfunc_end167-_ZN7rocprim17ROCPRIM_304000_NS6detail26onesweep_histograms_kernelINS1_34wrapped_radix_sort_onesweep_configINS0_14default_configEbN2at4cuda3cub6detail10OpaqueTypeILi8EEEEELb1EPKbmNS0_19identity_decomposerEEEvT1_PT2_SG_SG_T3_jj
                                        ; -- End function
	.set _ZN7rocprim17ROCPRIM_304000_NS6detail26onesweep_histograms_kernelINS1_34wrapped_radix_sort_onesweep_configINS0_14default_configEbN2at4cuda3cub6detail10OpaqueTypeILi8EEEEELb1EPKbmNS0_19identity_decomposerEEEvT1_PT2_SG_SG_T3_jj.num_vgpr, 18
	.set _ZN7rocprim17ROCPRIM_304000_NS6detail26onesweep_histograms_kernelINS1_34wrapped_radix_sort_onesweep_configINS0_14default_configEbN2at4cuda3cub6detail10OpaqueTypeILi8EEEEELb1EPKbmNS0_19identity_decomposerEEEvT1_PT2_SG_SG_T3_jj.num_agpr, 0
	.set _ZN7rocprim17ROCPRIM_304000_NS6detail26onesweep_histograms_kernelINS1_34wrapped_radix_sort_onesweep_configINS0_14default_configEbN2at4cuda3cub6detail10OpaqueTypeILi8EEEEELb1EPKbmNS0_19identity_decomposerEEEvT1_PT2_SG_SG_T3_jj.numbered_sgpr, 35
	.set _ZN7rocprim17ROCPRIM_304000_NS6detail26onesweep_histograms_kernelINS1_34wrapped_radix_sort_onesweep_configINS0_14default_configEbN2at4cuda3cub6detail10OpaqueTypeILi8EEEEELb1EPKbmNS0_19identity_decomposerEEEvT1_PT2_SG_SG_T3_jj.num_named_barrier, 0
	.set _ZN7rocprim17ROCPRIM_304000_NS6detail26onesweep_histograms_kernelINS1_34wrapped_radix_sort_onesweep_configINS0_14default_configEbN2at4cuda3cub6detail10OpaqueTypeILi8EEEEELb1EPKbmNS0_19identity_decomposerEEEvT1_PT2_SG_SG_T3_jj.private_seg_size, 0
	.set _ZN7rocprim17ROCPRIM_304000_NS6detail26onesweep_histograms_kernelINS1_34wrapped_radix_sort_onesweep_configINS0_14default_configEbN2at4cuda3cub6detail10OpaqueTypeILi8EEEEELb1EPKbmNS0_19identity_decomposerEEEvT1_PT2_SG_SG_T3_jj.uses_vcc, 1
	.set _ZN7rocprim17ROCPRIM_304000_NS6detail26onesweep_histograms_kernelINS1_34wrapped_radix_sort_onesweep_configINS0_14default_configEbN2at4cuda3cub6detail10OpaqueTypeILi8EEEEELb1EPKbmNS0_19identity_decomposerEEEvT1_PT2_SG_SG_T3_jj.uses_flat_scratch, 0
	.set _ZN7rocprim17ROCPRIM_304000_NS6detail26onesweep_histograms_kernelINS1_34wrapped_radix_sort_onesweep_configINS0_14default_configEbN2at4cuda3cub6detail10OpaqueTypeILi8EEEEELb1EPKbmNS0_19identity_decomposerEEEvT1_PT2_SG_SG_T3_jj.has_dyn_sized_stack, 0
	.set _ZN7rocprim17ROCPRIM_304000_NS6detail26onesweep_histograms_kernelINS1_34wrapped_radix_sort_onesweep_configINS0_14default_configEbN2at4cuda3cub6detail10OpaqueTypeILi8EEEEELb1EPKbmNS0_19identity_decomposerEEEvT1_PT2_SG_SG_T3_jj.has_recursion, 0
	.set _ZN7rocprim17ROCPRIM_304000_NS6detail26onesweep_histograms_kernelINS1_34wrapped_radix_sort_onesweep_configINS0_14default_configEbN2at4cuda3cub6detail10OpaqueTypeILi8EEEEELb1EPKbmNS0_19identity_decomposerEEEvT1_PT2_SG_SG_T3_jj.has_indirect_call, 0
	.section	.AMDGPU.csdata,"",@progbits
; Kernel info:
; codeLenInByte = 2460
; TotalNumSgprs: 39
; NumVgprs: 18
; ScratchSize: 0
; MemoryBound: 0
; FloatMode: 240
; IeeeMode: 1
; LDSByteSize: 4096 bytes/workgroup (compile time only)
; SGPRBlocks: 4
; VGPRBlocks: 4
; NumSGPRsForWavesPerEU: 39
; NumVGPRsForWavesPerEU: 18
; Occupancy: 10
; WaveLimiterHint : 1
; COMPUTE_PGM_RSRC2:SCRATCH_EN: 0
; COMPUTE_PGM_RSRC2:USER_SGPR: 6
; COMPUTE_PGM_RSRC2:TRAP_HANDLER: 0
; COMPUTE_PGM_RSRC2:TGID_X_EN: 1
; COMPUTE_PGM_RSRC2:TGID_Y_EN: 0
; COMPUTE_PGM_RSRC2:TGID_Z_EN: 0
; COMPUTE_PGM_RSRC2:TIDIG_COMP_CNT: 0
	.section	.text._ZN7rocprim17ROCPRIM_304000_NS6detail31onesweep_scan_histograms_kernelINS1_34wrapped_radix_sort_onesweep_configINS0_14default_configEbN2at4cuda3cub6detail10OpaqueTypeILi8EEEEEmEEvPT0_,"axG",@progbits,_ZN7rocprim17ROCPRIM_304000_NS6detail31onesweep_scan_histograms_kernelINS1_34wrapped_radix_sort_onesweep_configINS0_14default_configEbN2at4cuda3cub6detail10OpaqueTypeILi8EEEEEmEEvPT0_,comdat
	.protected	_ZN7rocprim17ROCPRIM_304000_NS6detail31onesweep_scan_histograms_kernelINS1_34wrapped_radix_sort_onesweep_configINS0_14default_configEbN2at4cuda3cub6detail10OpaqueTypeILi8EEEEEmEEvPT0_ ; -- Begin function _ZN7rocprim17ROCPRIM_304000_NS6detail31onesweep_scan_histograms_kernelINS1_34wrapped_radix_sort_onesweep_configINS0_14default_configEbN2at4cuda3cub6detail10OpaqueTypeILi8EEEEEmEEvPT0_
	.globl	_ZN7rocprim17ROCPRIM_304000_NS6detail31onesweep_scan_histograms_kernelINS1_34wrapped_radix_sort_onesweep_configINS0_14default_configEbN2at4cuda3cub6detail10OpaqueTypeILi8EEEEEmEEvPT0_
	.p2align	8
	.type	_ZN7rocprim17ROCPRIM_304000_NS6detail31onesweep_scan_histograms_kernelINS1_34wrapped_radix_sort_onesweep_configINS0_14default_configEbN2at4cuda3cub6detail10OpaqueTypeILi8EEEEEmEEvPT0_,@function
_ZN7rocprim17ROCPRIM_304000_NS6detail31onesweep_scan_histograms_kernelINS1_34wrapped_radix_sort_onesweep_configINS0_14default_configEbN2at4cuda3cub6detail10OpaqueTypeILi8EEEEEmEEvPT0_: ; @_ZN7rocprim17ROCPRIM_304000_NS6detail31onesweep_scan_histograms_kernelINS1_34wrapped_radix_sort_onesweep_configINS0_14default_configEbN2at4cuda3cub6detail10OpaqueTypeILi8EEEEEmEEvPT0_
; %bb.0:
	s_load_dwordx2 s[0:1], s[4:5], 0x0
	s_lshl_b32 s2, s6, 8
	s_mov_b32 s3, 0
	s_lshl_b64 s[2:3], s[2:3], 3
	v_lshlrev_b32_e32 v5, 3, v0
	s_waitcnt lgkmcnt(0)
	s_add_u32 s2, s0, s2
	s_movk_i32 s0, 0x100
	s_addc_u32 s3, s1, s3
	v_cmp_gt_u32_e32 vcc, s0, v0
                                        ; implicit-def: $vgpr1_vgpr2
	s_and_saveexec_b64 s[0:1], vcc
	s_cbranch_execz .LBB168_2
; %bb.1:
	global_load_dwordx2 v[1:2], v5, s[2:3]
.LBB168_2:
	s_or_b64 exec, exec, s[0:1]
	v_mbcnt_lo_u32_b32 v3, -1, 0
	v_mbcnt_hi_u32_b32 v6, -1, v3
	v_and_b32_e32 v4, 15, v6
	s_waitcnt vmcnt(0)
	v_mov_b32_dpp v8, v1 row_shr:1 row_mask:0xf bank_mask:0xf
	v_mov_b32_dpp v7, v2 row_shr:1 row_mask:0xf bank_mask:0xf
	v_cmp_ne_u32_e64 s[0:1], 0, v4
	v_mov_b32_e32 v3, v1
	s_and_saveexec_b64 s[4:5], s[0:1]
; %bb.3:
	v_add_co_u32_e64 v3, s[0:1], v1, v8
	v_addc_co_u32_e64 v2, s[0:1], 0, v2, s[0:1]
	v_add_co_u32_e64 v1, s[0:1], 0, v3
	v_addc_co_u32_e64 v2, s[0:1], v7, v2, s[0:1]
; %bb.4:
	s_or_b64 exec, exec, s[4:5]
	v_mov_b32_dpp v8, v3 row_shr:2 row_mask:0xf bank_mask:0xf
	v_mov_b32_dpp v7, v2 row_shr:2 row_mask:0xf bank_mask:0xf
	v_cmp_lt_u32_e64 s[0:1], 1, v4
	s_and_saveexec_b64 s[4:5], s[0:1]
; %bb.5:
	v_add_co_u32_e64 v3, s[0:1], v1, v8
	v_addc_co_u32_e64 v2, s[0:1], 0, v2, s[0:1]
	v_add_co_u32_e64 v1, s[0:1], 0, v3
	v_addc_co_u32_e64 v2, s[0:1], v7, v2, s[0:1]
; %bb.6:
	s_or_b64 exec, exec, s[4:5]
	v_mov_b32_dpp v8, v3 row_shr:4 row_mask:0xf bank_mask:0xf
	v_mov_b32_dpp v7, v2 row_shr:4 row_mask:0xf bank_mask:0xf
	v_cmp_lt_u32_e64 s[0:1], 3, v4
	;; [unrolled: 11-line block ×3, first 2 shown]
	s_and_saveexec_b64 s[4:5], s[0:1]
; %bb.9:
	v_add_co_u32_e64 v3, s[0:1], v1, v8
	v_addc_co_u32_e64 v2, s[0:1], 0, v2, s[0:1]
	v_add_co_u32_e64 v1, s[0:1], 0, v3
	v_addc_co_u32_e64 v2, s[0:1], v7, v2, s[0:1]
; %bb.10:
	s_or_b64 exec, exec, s[4:5]
	v_and_b32_e32 v8, 16, v6
	v_mov_b32_dpp v7, v3 row_bcast:15 row_mask:0xf bank_mask:0xf
	v_mov_b32_dpp v4, v2 row_bcast:15 row_mask:0xf bank_mask:0xf
	v_cmp_ne_u32_e64 s[0:1], 0, v8
	s_and_saveexec_b64 s[4:5], s[0:1]
; %bb.11:
	v_add_co_u32_e64 v3, s[0:1], v1, v7
	v_addc_co_u32_e64 v2, s[0:1], 0, v2, s[0:1]
	v_add_co_u32_e64 v1, s[0:1], 0, v3
	v_addc_co_u32_e64 v2, s[0:1], v4, v2, s[0:1]
; %bb.12:
	s_or_b64 exec, exec, s[4:5]
	v_mov_b32_dpp v3, v3 row_bcast:31 row_mask:0xf bank_mask:0xf
	v_add_co_u32_e64 v3, s[0:1], v1, v3
	v_addc_co_u32_e64 v7, s[0:1], 0, v2, s[0:1]
	v_mov_b32_dpp v4, v2 row_bcast:31 row_mask:0xf bank_mask:0xf
	v_add_co_u32_e64 v3, s[0:1], 0, v3
	v_addc_co_u32_e64 v4, s[0:1], v7, v4, s[0:1]
	v_cmp_lt_u32_e64 s[0:1], 31, v6
	v_cndmask_b32_e64 v1, v1, v3, s[0:1]
	v_or_b32_e32 v3, 63, v0
	v_cndmask_b32_e64 v2, v2, v4, s[0:1]
	v_lshrrev_b32_e32 v7, 6, v0
	v_cmp_eq_u32_e64 s[0:1], v0, v3
	s_and_saveexec_b64 s[4:5], s[0:1]
; %bb.13:
	v_lshlrev_b32_e32 v3, 3, v7
	ds_write_b64 v3, v[1:2]
; %bb.14:
	s_or_b64 exec, exec, s[4:5]
	v_cmp_gt_u32_e64 s[0:1], 8, v0
	s_waitcnt lgkmcnt(0)
	s_barrier
	s_and_saveexec_b64 s[4:5], s[0:1]
	s_cbranch_execz .LBB168_20
; %bb.15:
	ds_read_b64 v[3:4], v5
	v_and_b32_e32 v8, 7, v6
	v_cmp_ne_u32_e64 s[0:1], 0, v8
	s_waitcnt lgkmcnt(0)
	v_mov_b32_dpp v11, v3 row_shr:1 row_mask:0xf bank_mask:0xf
	v_mov_b32_dpp v10, v4 row_shr:1 row_mask:0xf bank_mask:0xf
	v_mov_b32_e32 v9, v3
	s_and_saveexec_b64 s[6:7], s[0:1]
; %bb.16:
	v_add_co_u32_e64 v9, s[0:1], v3, v11
	v_addc_co_u32_e64 v4, s[0:1], 0, v4, s[0:1]
	v_add_co_u32_e64 v3, s[0:1], 0, v9
	v_addc_co_u32_e64 v4, s[0:1], v10, v4, s[0:1]
; %bb.17:
	s_or_b64 exec, exec, s[6:7]
	v_mov_b32_dpp v11, v9 row_shr:2 row_mask:0xf bank_mask:0xf
	v_mov_b32_dpp v10, v4 row_shr:2 row_mask:0xf bank_mask:0xf
	v_cmp_lt_u32_e64 s[0:1], 1, v8
	s_and_saveexec_b64 s[6:7], s[0:1]
; %bb.18:
	v_add_co_u32_e64 v9, s[0:1], v3, v11
	v_addc_co_u32_e64 v4, s[0:1], 0, v4, s[0:1]
	v_add_co_u32_e64 v3, s[0:1], 0, v9
	v_addc_co_u32_e64 v4, s[0:1], v10, v4, s[0:1]
; %bb.19:
	s_or_b64 exec, exec, s[6:7]
	v_mov_b32_dpp v9, v9 row_shr:4 row_mask:0xf bank_mask:0xf
	v_cmp_lt_u32_e64 s[0:1], 3, v8
	v_mov_b32_dpp v10, v4 row_shr:4 row_mask:0xf bank_mask:0xf
	v_cndmask_b32_e64 v9, 0, v9, s[0:1]
	v_cndmask_b32_e64 v8, 0, v10, s[0:1]
	v_add_co_u32_e64 v3, s[0:1], v9, v3
	v_addc_co_u32_e64 v4, s[0:1], v8, v4, s[0:1]
	ds_write_b64 v5, v[3:4]
.LBB168_20:
	s_or_b64 exec, exec, s[4:5]
	v_mov_b32_e32 v3, 0
	v_mov_b32_e32 v4, 0
	v_cmp_lt_u32_e64 s[0:1], 63, v0
	s_waitcnt lgkmcnt(0)
	s_barrier
	s_and_saveexec_b64 s[4:5], s[0:1]
; %bb.21:
	v_lshl_add_u32 v0, v7, 3, -8
	ds_read_b64 v[3:4], v0
; %bb.22:
	s_or_b64 exec, exec, s[4:5]
	s_waitcnt lgkmcnt(0)
	v_add_co_u32_e64 v0, s[0:1], v3, v1
	v_addc_co_u32_e64 v1, s[0:1], v4, v2, s[0:1]
	v_add_u32_e32 v2, -1, v6
	v_and_b32_e32 v7, 64, v6
	v_cmp_lt_i32_e64 s[0:1], v2, v7
	v_cndmask_b32_e64 v2, v2, v6, s[0:1]
	v_lshlrev_b32_e32 v2, 2, v2
	ds_bpermute_b32 v0, v2, v0
	ds_bpermute_b32 v1, v2, v1
	s_and_saveexec_b64 s[0:1], vcc
	s_cbranch_execz .LBB168_24
; %bb.23:
	v_cmp_eq_u32_e32 vcc, 0, v6
	s_waitcnt lgkmcnt(0)
	v_cndmask_b32_e32 v1, v1, v4, vcc
	v_cndmask_b32_e32 v0, v0, v3, vcc
	global_store_dwordx2 v5, v[0:1], s[2:3]
.LBB168_24:
	s_endpgm
	.section	.rodata,"a",@progbits
	.p2align	6, 0x0
	.amdhsa_kernel _ZN7rocprim17ROCPRIM_304000_NS6detail31onesweep_scan_histograms_kernelINS1_34wrapped_radix_sort_onesweep_configINS0_14default_configEbN2at4cuda3cub6detail10OpaqueTypeILi8EEEEEmEEvPT0_
		.amdhsa_group_segment_fixed_size 64
		.amdhsa_private_segment_fixed_size 0
		.amdhsa_kernarg_size 8
		.amdhsa_user_sgpr_count 6
		.amdhsa_user_sgpr_private_segment_buffer 1
		.amdhsa_user_sgpr_dispatch_ptr 0
		.amdhsa_user_sgpr_queue_ptr 0
		.amdhsa_user_sgpr_kernarg_segment_ptr 1
		.amdhsa_user_sgpr_dispatch_id 0
		.amdhsa_user_sgpr_flat_scratch_init 0
		.amdhsa_user_sgpr_private_segment_size 0
		.amdhsa_uses_dynamic_stack 0
		.amdhsa_system_sgpr_private_segment_wavefront_offset 0
		.amdhsa_system_sgpr_workgroup_id_x 1
		.amdhsa_system_sgpr_workgroup_id_y 0
		.amdhsa_system_sgpr_workgroup_id_z 0
		.amdhsa_system_sgpr_workgroup_info 0
		.amdhsa_system_vgpr_workitem_id 0
		.amdhsa_next_free_vgpr 12
		.amdhsa_next_free_sgpr 8
		.amdhsa_reserve_vcc 1
		.amdhsa_reserve_flat_scratch 0
		.amdhsa_float_round_mode_32 0
		.amdhsa_float_round_mode_16_64 0
		.amdhsa_float_denorm_mode_32 3
		.amdhsa_float_denorm_mode_16_64 3
		.amdhsa_dx10_clamp 1
		.amdhsa_ieee_mode 1
		.amdhsa_fp16_overflow 0
		.amdhsa_exception_fp_ieee_invalid_op 0
		.amdhsa_exception_fp_denorm_src 0
		.amdhsa_exception_fp_ieee_div_zero 0
		.amdhsa_exception_fp_ieee_overflow 0
		.amdhsa_exception_fp_ieee_underflow 0
		.amdhsa_exception_fp_ieee_inexact 0
		.amdhsa_exception_int_div_zero 0
	.end_amdhsa_kernel
	.section	.text._ZN7rocprim17ROCPRIM_304000_NS6detail31onesweep_scan_histograms_kernelINS1_34wrapped_radix_sort_onesweep_configINS0_14default_configEbN2at4cuda3cub6detail10OpaqueTypeILi8EEEEEmEEvPT0_,"axG",@progbits,_ZN7rocprim17ROCPRIM_304000_NS6detail31onesweep_scan_histograms_kernelINS1_34wrapped_radix_sort_onesweep_configINS0_14default_configEbN2at4cuda3cub6detail10OpaqueTypeILi8EEEEEmEEvPT0_,comdat
.Lfunc_end168:
	.size	_ZN7rocprim17ROCPRIM_304000_NS6detail31onesweep_scan_histograms_kernelINS1_34wrapped_radix_sort_onesweep_configINS0_14default_configEbN2at4cuda3cub6detail10OpaqueTypeILi8EEEEEmEEvPT0_, .Lfunc_end168-_ZN7rocprim17ROCPRIM_304000_NS6detail31onesweep_scan_histograms_kernelINS1_34wrapped_radix_sort_onesweep_configINS0_14default_configEbN2at4cuda3cub6detail10OpaqueTypeILi8EEEEEmEEvPT0_
                                        ; -- End function
	.set _ZN7rocprim17ROCPRIM_304000_NS6detail31onesweep_scan_histograms_kernelINS1_34wrapped_radix_sort_onesweep_configINS0_14default_configEbN2at4cuda3cub6detail10OpaqueTypeILi8EEEEEmEEvPT0_.num_vgpr, 12
	.set _ZN7rocprim17ROCPRIM_304000_NS6detail31onesweep_scan_histograms_kernelINS1_34wrapped_radix_sort_onesweep_configINS0_14default_configEbN2at4cuda3cub6detail10OpaqueTypeILi8EEEEEmEEvPT0_.num_agpr, 0
	.set _ZN7rocprim17ROCPRIM_304000_NS6detail31onesweep_scan_histograms_kernelINS1_34wrapped_radix_sort_onesweep_configINS0_14default_configEbN2at4cuda3cub6detail10OpaqueTypeILi8EEEEEmEEvPT0_.numbered_sgpr, 8
	.set _ZN7rocprim17ROCPRIM_304000_NS6detail31onesweep_scan_histograms_kernelINS1_34wrapped_radix_sort_onesweep_configINS0_14default_configEbN2at4cuda3cub6detail10OpaqueTypeILi8EEEEEmEEvPT0_.num_named_barrier, 0
	.set _ZN7rocprim17ROCPRIM_304000_NS6detail31onesweep_scan_histograms_kernelINS1_34wrapped_radix_sort_onesweep_configINS0_14default_configEbN2at4cuda3cub6detail10OpaqueTypeILi8EEEEEmEEvPT0_.private_seg_size, 0
	.set _ZN7rocprim17ROCPRIM_304000_NS6detail31onesweep_scan_histograms_kernelINS1_34wrapped_radix_sort_onesweep_configINS0_14default_configEbN2at4cuda3cub6detail10OpaqueTypeILi8EEEEEmEEvPT0_.uses_vcc, 1
	.set _ZN7rocprim17ROCPRIM_304000_NS6detail31onesweep_scan_histograms_kernelINS1_34wrapped_radix_sort_onesweep_configINS0_14default_configEbN2at4cuda3cub6detail10OpaqueTypeILi8EEEEEmEEvPT0_.uses_flat_scratch, 0
	.set _ZN7rocprim17ROCPRIM_304000_NS6detail31onesweep_scan_histograms_kernelINS1_34wrapped_radix_sort_onesweep_configINS0_14default_configEbN2at4cuda3cub6detail10OpaqueTypeILi8EEEEEmEEvPT0_.has_dyn_sized_stack, 0
	.set _ZN7rocprim17ROCPRIM_304000_NS6detail31onesweep_scan_histograms_kernelINS1_34wrapped_radix_sort_onesweep_configINS0_14default_configEbN2at4cuda3cub6detail10OpaqueTypeILi8EEEEEmEEvPT0_.has_recursion, 0
	.set _ZN7rocprim17ROCPRIM_304000_NS6detail31onesweep_scan_histograms_kernelINS1_34wrapped_radix_sort_onesweep_configINS0_14default_configEbN2at4cuda3cub6detail10OpaqueTypeILi8EEEEEmEEvPT0_.has_indirect_call, 0
	.section	.AMDGPU.csdata,"",@progbits
; Kernel info:
; codeLenInByte = 912
; TotalNumSgprs: 12
; NumVgprs: 12
; ScratchSize: 0
; MemoryBound: 0
; FloatMode: 240
; IeeeMode: 1
; LDSByteSize: 64 bytes/workgroup (compile time only)
; SGPRBlocks: 1
; VGPRBlocks: 2
; NumSGPRsForWavesPerEU: 12
; NumVGPRsForWavesPerEU: 12
; Occupancy: 10
; WaveLimiterHint : 0
; COMPUTE_PGM_RSRC2:SCRATCH_EN: 0
; COMPUTE_PGM_RSRC2:USER_SGPR: 6
; COMPUTE_PGM_RSRC2:TRAP_HANDLER: 0
; COMPUTE_PGM_RSRC2:TGID_X_EN: 1
; COMPUTE_PGM_RSRC2:TGID_Y_EN: 0
; COMPUTE_PGM_RSRC2:TGID_Z_EN: 0
; COMPUTE_PGM_RSRC2:TIDIG_COMP_CNT: 0
	.section	.text._ZN7rocprim17ROCPRIM_304000_NS6detail16transform_kernelINS1_24wrapped_transform_configINS0_14default_configEbEEbPKbPbNS0_8identityIbEEEEvT1_mT2_T3_,"axG",@progbits,_ZN7rocprim17ROCPRIM_304000_NS6detail16transform_kernelINS1_24wrapped_transform_configINS0_14default_configEbEEbPKbPbNS0_8identityIbEEEEvT1_mT2_T3_,comdat
	.protected	_ZN7rocprim17ROCPRIM_304000_NS6detail16transform_kernelINS1_24wrapped_transform_configINS0_14default_configEbEEbPKbPbNS0_8identityIbEEEEvT1_mT2_T3_ ; -- Begin function _ZN7rocprim17ROCPRIM_304000_NS6detail16transform_kernelINS1_24wrapped_transform_configINS0_14default_configEbEEbPKbPbNS0_8identityIbEEEEvT1_mT2_T3_
	.globl	_ZN7rocprim17ROCPRIM_304000_NS6detail16transform_kernelINS1_24wrapped_transform_configINS0_14default_configEbEEbPKbPbNS0_8identityIbEEEEvT1_mT2_T3_
	.p2align	8
	.type	_ZN7rocprim17ROCPRIM_304000_NS6detail16transform_kernelINS1_24wrapped_transform_configINS0_14default_configEbEEbPKbPbNS0_8identityIbEEEEvT1_mT2_T3_,@function
_ZN7rocprim17ROCPRIM_304000_NS6detail16transform_kernelINS1_24wrapped_transform_configINS0_14default_configEbEEbPKbPbNS0_8identityIbEEEEvT1_mT2_T3_: ; @_ZN7rocprim17ROCPRIM_304000_NS6detail16transform_kernelINS1_24wrapped_transform_configINS0_14default_configEbEEbPKbPbNS0_8identityIbEEEEvT1_mT2_T3_
; %bb.0:
	s_load_dword s7, s[4:5], 0x20
	s_load_dwordx4 s[0:3], s[4:5], 0x0
	s_load_dwordx2 s[34:35], s[4:5], 0x10
	s_lshl_b32 s33, s6, 10
	s_waitcnt lgkmcnt(0)
	s_add_i32 s7, s7, -1
	s_add_u32 s0, s0, s33
	s_addc_u32 s1, s1, 0
	v_mov_b32_e32 v2, s1
	v_add_co_u32_e32 v1, vcc, s0, v0
	s_cmp_lg_u32 s6, s7
	v_addc_co_u32_e32 v2, vcc, 0, v2, vcc
	s_cbranch_scc0 .LBB169_2
; %bb.1:
	s_add_u32 s0, s34, s33
	s_addc_u32 s1, s35, 0
	global_load_ubyte v3, v[1:2], off
	global_load_ubyte v7, v[1:2], off offset:64
	global_load_ubyte v8, v[1:2], off offset:128
	;; [unrolled: 1-line block ×7, first 2 shown]
	v_mov_b32_e32 v4, s1
	v_add_co_u32_e32 v5, vcc, s0, v0
	v_addc_co_u32_e32 v6, vcc, 0, v4, vcc
	global_load_ubyte v14, v[1:2], off offset:512
	global_load_ubyte v15, v[1:2], off offset:576
	global_load_ubyte v16, v[1:2], off offset:640
	global_load_ubyte v17, v[1:2], off offset:704
	global_load_ubyte v18, v[1:2], off offset:768
	global_load_ubyte v19, v[1:2], off offset:832
	global_load_ubyte v20, v[1:2], off offset:896
	global_load_ubyte v4, v[1:2], off offset:960
	s_mov_b64 s[36:37], -1
	s_waitcnt vmcnt(15)
	global_store_byte v[5:6], v3, off
	s_waitcnt vmcnt(15)
	global_store_byte v[5:6], v7, off offset:64
	s_waitcnt vmcnt(15)
	global_store_byte v[5:6], v8, off offset:128
	;; [unrolled: 2-line block ×14, first 2 shown]
	s_cbranch_execz .LBB169_3
	s_branch .LBB169_53
.LBB169_2:
	s_mov_b64 s[36:37], 0
                                        ; implicit-def: $vgpr4
.LBB169_3:
	s_sub_i32 s30, s2, s33
	v_cmp_gt_u32_e32 vcc, s30, v0
	v_mov_b32_e32 v13, 0
	v_mov_b32_e32 v17, 0
	;; [unrolled: 1-line block ×13, first 2 shown]
	s_waitcnt vmcnt(15)
	v_mov_b32_e32 v4, 0
	v_mov_b32_e32 v3, 0
	s_and_saveexec_b64 s[0:1], vcc
	s_cbranch_execz .LBB169_5
; %bb.4:
	global_load_ubyte v17, v[1:2], off
	v_mov_b32_e32 v16, 0
	v_mov_b32_e32 v15, 0
	;; [unrolled: 1-line block ×13, first 2 shown]
.LBB169_5:
	s_or_b64 exec, exec, s[0:1]
	v_or_b32_e32 v18, 64, v0
	v_cmp_gt_u32_e64 s[0:1], s30, v18
	v_mov_b32_e32 v18, v13
	s_and_saveexec_b64 s[2:3], s[0:1]
	s_cbranch_execz .LBB169_7
; %bb.6:
	global_load_ubyte v18, v[1:2], off offset:64
.LBB169_7:
	s_or_b64 exec, exec, s[2:3]
	v_or_b32_e32 v19, 0x80, v0
	v_cmp_gt_u32_e64 s[2:3], s30, v19
	s_and_saveexec_b64 s[4:5], s[2:3]
	s_cbranch_execz .LBB169_9
; %bb.8:
	global_load_ubyte v13, v[1:2], off offset:128
.LBB169_9:
	s_or_b64 exec, exec, s[4:5]
	v_or_b32_e32 v19, 0xc0, v0
	v_cmp_gt_u32_e64 s[4:5], s30, v19
	;; [unrolled: 8-line block ×14, first 2 shown]
	s_and_saveexec_b64 s[30:31], s[28:29]
	s_cbranch_execz .LBB169_35
; %bb.34:
	global_load_ubyte v3, v[1:2], off offset:960
.LBB169_35:
	s_or_b64 exec, exec, s[30:31]
	s_waitcnt vmcnt(0)
	v_and_b32_e32 v1, 1, v17
	v_and_b32_e32 v1, 0xffff, v1
	v_mov_b32_e32 v2, 1
	v_cndmask_b32_e32 v1, 0, v1, vcc
	v_and_b32_sdwa v17, v18, v2 dst_sel:BYTE_1 dst_unused:UNUSED_PAD src0_sel:DWORD src1_sel:DWORD
	v_or_b32_e32 v17, v1, v17
	v_and_b32_e32 v17, 0xffff, v17
	v_cndmask_b32_e64 v1, v1, v17, s[0:1]
	v_and_b32_sdwa v13, v13, v2 dst_sel:WORD_1 dst_unused:UNUSED_PAD src0_sel:DWORD src1_sel:DWORD
	v_or_b32_e32 v13, v1, v13
	v_cndmask_b32_e64 v1, v1, v13, s[2:3]
	s_movk_i32 s31, 0xff
	v_and_b32_sdwa v13, v1, s31 dst_sel:DWORD dst_unused:UNUSED_PAD src0_sel:WORD_1 src1_sel:DWORD
	v_and_b32_sdwa v16, v16, v2 dst_sel:BYTE_1 dst_unused:UNUSED_PAD src0_sel:DWORD src1_sel:DWORD
	s_mov_b32 s30, 0xffff
	v_or_b32_sdwa v13, v13, v16 dst_sel:WORD_1 dst_unused:UNUSED_PAD src0_sel:DWORD src1_sel:DWORD
	v_and_or_b32 v13, v1, s30, v13
	v_cndmask_b32_e64 v13, v1, v13, s[4:5]
	v_and_b32_e32 v1, 1, v15
	v_and_b32_e32 v1, 0xffff, v1
	v_cndmask_b32_e64 v1, 0, v1, s[6:7]
	v_and_b32_sdwa v14, v14, v2 dst_sel:BYTE_1 dst_unused:UNUSED_PAD src0_sel:DWORD src1_sel:DWORD
	v_or_b32_sdwa v14, v1, v14 dst_sel:DWORD dst_unused:UNUSED_PAD src0_sel:BYTE_0 src1_sel:DWORD
	v_and_b32_e32 v14, 0xffff, v14
	s_movk_i32 s38, 0xff00
	v_cndmask_b32_e64 v1, v1, v14, s[8:9]
	v_and_b32_sdwa v14, v1, s38 dst_sel:DWORD dst_unused:UNUSED_PAD src0_sel:WORD_1 src1_sel:DWORD
	v_and_b32_e32 v12, 1, v12
	v_or_b32_sdwa v12, v12, v14 dst_sel:WORD_1 dst_unused:UNUSED_PAD src0_sel:DWORD src1_sel:DWORD
	v_and_or_b32 v12, v1, s30, v12
	v_cndmask_b32_e64 v1, v1, v12, s[10:11]
	v_and_b32_sdwa v12, v1, s31 dst_sel:DWORD dst_unused:UNUSED_PAD src0_sel:WORD_1 src1_sel:DWORD
	v_and_b32_sdwa v11, v11, v2 dst_sel:BYTE_1 dst_unused:UNUSED_PAD src0_sel:DWORD src1_sel:DWORD
	v_or_b32_sdwa v11, v12, v11 dst_sel:WORD_1 dst_unused:UNUSED_PAD src0_sel:DWORD src1_sel:DWORD
	v_and_or_b32 v11, v1, s30, v11
	v_cndmask_b32_e64 v11, v1, v11, s[12:13]
	v_and_b32_e32 v1, 1, v10
	v_and_b32_e32 v1, 0xffff, v1
	v_cndmask_b32_e64 v1, 0, v1, s[14:15]
	v_and_b32_sdwa v9, v9, v2 dst_sel:BYTE_1 dst_unused:UNUSED_PAD src0_sel:DWORD src1_sel:DWORD
	v_or_b32_e32 v9, v1, v9
	v_and_b32_e32 v9, 0xffff, v9
	v_cndmask_b32_e64 v1, v1, v9, s[16:17]
	v_and_b32_sdwa v8, v8, v2 dst_sel:WORD_1 dst_unused:UNUSED_PAD src0_sel:DWORD src1_sel:DWORD
	s_movk_i32 s39, 0x1ff
	v_and_or_b32 v8, v1, s39, v8
	v_cndmask_b32_e64 v1, v1, v8, s[18:19]
	v_and_b32_sdwa v8, v1, s31 dst_sel:DWORD dst_unused:UNUSED_PAD src0_sel:WORD_1 src1_sel:DWORD
	v_and_b32_sdwa v7, v7, v2 dst_sel:BYTE_1 dst_unused:UNUSED_PAD src0_sel:DWORD src1_sel:DWORD
	v_or_b32_sdwa v7, v8, v7 dst_sel:WORD_1 dst_unused:UNUSED_PAD src0_sel:DWORD src1_sel:DWORD
	v_and_or_b32 v7, v1, s30, v7
	v_cndmask_b32_e64 v7, v1, v7, s[20:21]
	v_and_b32_e32 v1, 1, v6
	v_and_b32_e32 v1, 0xffff, v1
	v_cndmask_b32_e64 v1, 0, v1, s[22:23]
	v_and_b32_sdwa v5, v5, v2 dst_sel:BYTE_1 dst_unused:UNUSED_PAD src0_sel:DWORD src1_sel:DWORD
	v_or_b32_sdwa v5, v1, v5 dst_sel:DWORD dst_unused:UNUSED_PAD src0_sel:BYTE_0 src1_sel:DWORD
	v_and_b32_e32 v5, 0xffff, v5
	v_cndmask_b32_e64 v1, v1, v5, s[24:25]
	v_and_b32_sdwa v5, v1, s38 dst_sel:DWORD dst_unused:UNUSED_PAD src0_sel:WORD_1 src1_sel:DWORD
	v_and_b32_e32 v4, 1, v4
	v_or_b32_sdwa v4, v4, v5 dst_sel:WORD_1 dst_unused:UNUSED_PAD src0_sel:DWORD src1_sel:DWORD
	v_and_or_b32 v4, v1, s30, v4
	v_cndmask_b32_e64 v1, v1, v4, s[26:27]
	v_and_b32_sdwa v4, v1, s31 dst_sel:DWORD dst_unused:UNUSED_PAD src0_sel:WORD_1 src1_sel:DWORD
	v_and_b32_sdwa v2, v3, v2 dst_sel:BYTE_1 dst_unused:UNUSED_PAD src0_sel:DWORD src1_sel:DWORD
	v_or_b32_sdwa v2, v4, v2 dst_sel:WORD_1 dst_unused:UNUSED_PAD src0_sel:DWORD src1_sel:DWORD
	v_and_or_b32 v2, v1, s30, v2
	s_add_u32 s30, s34, s33
	s_addc_u32 s31, s35, 0
	v_cndmask_b32_e64 v3, v1, v2, s[28:29]
	v_mov_b32_e32 v2, s31
	v_add_co_u32_e64 v1, s[30:31], s30, v0
	v_addc_co_u32_e64 v2, s[30:31], 0, v2, s[30:31]
	s_and_saveexec_b64 s[30:31], vcc
	s_cbranch_execnz .LBB169_56
; %bb.36:
	s_or_b64 exec, exec, s[30:31]
	s_and_saveexec_b64 s[30:31], s[0:1]
	s_cbranch_execnz .LBB169_57
.LBB169_37:
	s_or_b64 exec, exec, s[30:31]
	s_and_saveexec_b64 s[0:1], s[2:3]
	s_cbranch_execnz .LBB169_58
.LBB169_38:
	s_or_b64 exec, exec, s[0:1]
	s_and_saveexec_b64 s[0:1], s[4:5]
	s_cbranch_execnz .LBB169_59
.LBB169_39:
	s_or_b64 exec, exec, s[0:1]
	s_and_saveexec_b64 s[0:1], s[6:7]
	s_cbranch_execnz .LBB169_60
.LBB169_40:
	s_or_b64 exec, exec, s[0:1]
	s_and_saveexec_b64 s[0:1], s[8:9]
	s_cbranch_execnz .LBB169_61
.LBB169_41:
	s_or_b64 exec, exec, s[0:1]
	s_and_saveexec_b64 s[0:1], s[10:11]
	s_cbranch_execnz .LBB169_62
.LBB169_42:
	s_or_b64 exec, exec, s[0:1]
	s_and_saveexec_b64 s[0:1], s[12:13]
	s_cbranch_execnz .LBB169_63
.LBB169_43:
	s_or_b64 exec, exec, s[0:1]
	s_and_saveexec_b64 s[0:1], s[14:15]
	s_cbranch_execnz .LBB169_64
.LBB169_44:
	s_or_b64 exec, exec, s[0:1]
	s_and_saveexec_b64 s[0:1], s[16:17]
	s_cbranch_execnz .LBB169_65
.LBB169_45:
	s_or_b64 exec, exec, s[0:1]
	s_and_saveexec_b64 s[0:1], s[18:19]
	s_cbranch_execnz .LBB169_66
.LBB169_46:
	s_or_b64 exec, exec, s[0:1]
	s_and_saveexec_b64 s[0:1], s[20:21]
	s_cbranch_execnz .LBB169_67
.LBB169_47:
	s_or_b64 exec, exec, s[0:1]
	s_and_saveexec_b64 s[0:1], s[22:23]
	s_cbranch_execnz .LBB169_68
.LBB169_48:
	s_or_b64 exec, exec, s[0:1]
	s_and_saveexec_b64 s[0:1], s[24:25]
	s_cbranch_execnz .LBB169_69
.LBB169_49:
	s_or_b64 exec, exec, s[0:1]
	s_and_saveexec_b64 s[0:1], s[26:27]
	s_cbranch_execnz .LBB169_70
.LBB169_50:
	s_or_b64 exec, exec, s[0:1]
                                        ; implicit-def: $vgpr4
	s_and_saveexec_b64 s[0:1], s[28:29]
.LBB169_51:
	v_lshrrev_b32_e32 v4, 24, v3
	s_or_b64 s[36:37], s[36:37], exec
.LBB169_52:
	s_or_b64 exec, exec, s[0:1]
.LBB169_53:
	s_and_saveexec_b64 s[0:1], s[36:37]
	s_cbranch_execnz .LBB169_55
; %bb.54:
	s_endpgm
.LBB169_55:
	s_add_u32 s0, s34, s33
	s_addc_u32 s1, s35, 0
	v_mov_b32_e32 v1, s1
	v_add_co_u32_e32 v0, vcc, s0, v0
	v_addc_co_u32_e32 v1, vcc, 0, v1, vcc
	s_waitcnt vmcnt(15)
	global_store_byte v[0:1], v4, off offset:960
	s_endpgm
.LBB169_56:
	global_store_byte v[1:2], v13, off
	s_or_b64 exec, exec, s[30:31]
	s_and_saveexec_b64 s[30:31], s[0:1]
	s_cbranch_execz .LBB169_37
.LBB169_57:
	v_lshrrev_b32_e32 v4, 8, v13
	global_store_byte v[1:2], v4, off offset:64
	s_or_b64 exec, exec, s[30:31]
	s_and_saveexec_b64 s[0:1], s[2:3]
	s_cbranch_execz .LBB169_38
.LBB169_58:
	global_store_byte_d16_hi v[1:2], v13, off offset:128
	s_or_b64 exec, exec, s[0:1]
	s_and_saveexec_b64 s[0:1], s[4:5]
	s_cbranch_execz .LBB169_39
.LBB169_59:
	v_lshrrev_b32_e32 v4, 24, v13
	global_store_byte v[1:2], v4, off offset:192
	s_or_b64 exec, exec, s[0:1]
	s_and_saveexec_b64 s[0:1], s[6:7]
	s_cbranch_execz .LBB169_40
.LBB169_60:
	global_store_byte v[1:2], v11, off offset:256
	s_or_b64 exec, exec, s[0:1]
	s_and_saveexec_b64 s[0:1], s[8:9]
	s_cbranch_execz .LBB169_41
.LBB169_61:
	v_lshrrev_b32_e32 v4, 8, v11
	global_store_byte v[1:2], v4, off offset:320
	s_or_b64 exec, exec, s[0:1]
	s_and_saveexec_b64 s[0:1], s[10:11]
	s_cbranch_execz .LBB169_42
.LBB169_62:
	global_store_byte_d16_hi v[1:2], v11, off offset:384
	s_or_b64 exec, exec, s[0:1]
	s_and_saveexec_b64 s[0:1], s[12:13]
	s_cbranch_execz .LBB169_43
.LBB169_63:
	v_lshrrev_b32_e32 v4, 24, v11
	global_store_byte v[1:2], v4, off offset:448
	s_or_b64 exec, exec, s[0:1]
	s_and_saveexec_b64 s[0:1], s[14:15]
	s_cbranch_execz .LBB169_44
.LBB169_64:
	global_store_byte v[1:2], v7, off offset:512
	s_or_b64 exec, exec, s[0:1]
	s_and_saveexec_b64 s[0:1], s[16:17]
	s_cbranch_execz .LBB169_45
.LBB169_65:
	v_lshrrev_b32_e32 v4, 8, v7
	global_store_byte v[1:2], v4, off offset:576
	s_or_b64 exec, exec, s[0:1]
	s_and_saveexec_b64 s[0:1], s[18:19]
	s_cbranch_execz .LBB169_46
.LBB169_66:
	global_store_byte_d16_hi v[1:2], v7, off offset:640
	s_or_b64 exec, exec, s[0:1]
	s_and_saveexec_b64 s[0:1], s[20:21]
	s_cbranch_execz .LBB169_47
.LBB169_67:
	v_lshrrev_b32_e32 v4, 24, v7
	global_store_byte v[1:2], v4, off offset:704
	s_or_b64 exec, exec, s[0:1]
	s_and_saveexec_b64 s[0:1], s[22:23]
	s_cbranch_execz .LBB169_48
.LBB169_68:
	global_store_byte v[1:2], v3, off offset:768
	s_or_b64 exec, exec, s[0:1]
	s_and_saveexec_b64 s[0:1], s[24:25]
	s_cbranch_execz .LBB169_49
.LBB169_69:
	v_lshrrev_b32_e32 v4, 8, v3
	global_store_byte v[1:2], v4, off offset:832
	s_or_b64 exec, exec, s[0:1]
	s_and_saveexec_b64 s[0:1], s[26:27]
	s_cbranch_execz .LBB169_50
.LBB169_70:
	global_store_byte_d16_hi v[1:2], v3, off offset:896
	s_or_b64 exec, exec, s[0:1]
                                        ; implicit-def: $vgpr4
	s_and_saveexec_b64 s[0:1], s[28:29]
	s_cbranch_execnz .LBB169_51
	s_branch .LBB169_52
	.section	.rodata,"a",@progbits
	.p2align	6, 0x0
	.amdhsa_kernel _ZN7rocprim17ROCPRIM_304000_NS6detail16transform_kernelINS1_24wrapped_transform_configINS0_14default_configEbEEbPKbPbNS0_8identityIbEEEEvT1_mT2_T3_
		.amdhsa_group_segment_fixed_size 0
		.amdhsa_private_segment_fixed_size 0
		.amdhsa_kernarg_size 288
		.amdhsa_user_sgpr_count 6
		.amdhsa_user_sgpr_private_segment_buffer 1
		.amdhsa_user_sgpr_dispatch_ptr 0
		.amdhsa_user_sgpr_queue_ptr 0
		.amdhsa_user_sgpr_kernarg_segment_ptr 1
		.amdhsa_user_sgpr_dispatch_id 0
		.amdhsa_user_sgpr_flat_scratch_init 0
		.amdhsa_user_sgpr_private_segment_size 0
		.amdhsa_uses_dynamic_stack 0
		.amdhsa_system_sgpr_private_segment_wavefront_offset 0
		.amdhsa_system_sgpr_workgroup_id_x 1
		.amdhsa_system_sgpr_workgroup_id_y 0
		.amdhsa_system_sgpr_workgroup_id_z 0
		.amdhsa_system_sgpr_workgroup_info 0
		.amdhsa_system_vgpr_workitem_id 0
		.amdhsa_next_free_vgpr 21
		.amdhsa_next_free_sgpr 40
		.amdhsa_reserve_vcc 1
		.amdhsa_reserve_flat_scratch 0
		.amdhsa_float_round_mode_32 0
		.amdhsa_float_round_mode_16_64 0
		.amdhsa_float_denorm_mode_32 3
		.amdhsa_float_denorm_mode_16_64 3
		.amdhsa_dx10_clamp 1
		.amdhsa_ieee_mode 1
		.amdhsa_fp16_overflow 0
		.amdhsa_exception_fp_ieee_invalid_op 0
		.amdhsa_exception_fp_denorm_src 0
		.amdhsa_exception_fp_ieee_div_zero 0
		.amdhsa_exception_fp_ieee_overflow 0
		.amdhsa_exception_fp_ieee_underflow 0
		.amdhsa_exception_fp_ieee_inexact 0
		.amdhsa_exception_int_div_zero 0
	.end_amdhsa_kernel
	.section	.text._ZN7rocprim17ROCPRIM_304000_NS6detail16transform_kernelINS1_24wrapped_transform_configINS0_14default_configEbEEbPKbPbNS0_8identityIbEEEEvT1_mT2_T3_,"axG",@progbits,_ZN7rocprim17ROCPRIM_304000_NS6detail16transform_kernelINS1_24wrapped_transform_configINS0_14default_configEbEEbPKbPbNS0_8identityIbEEEEvT1_mT2_T3_,comdat
.Lfunc_end169:
	.size	_ZN7rocprim17ROCPRIM_304000_NS6detail16transform_kernelINS1_24wrapped_transform_configINS0_14default_configEbEEbPKbPbNS0_8identityIbEEEEvT1_mT2_T3_, .Lfunc_end169-_ZN7rocprim17ROCPRIM_304000_NS6detail16transform_kernelINS1_24wrapped_transform_configINS0_14default_configEbEEbPKbPbNS0_8identityIbEEEEvT1_mT2_T3_
                                        ; -- End function
	.set _ZN7rocprim17ROCPRIM_304000_NS6detail16transform_kernelINS1_24wrapped_transform_configINS0_14default_configEbEEbPKbPbNS0_8identityIbEEEEvT1_mT2_T3_.num_vgpr, 21
	.set _ZN7rocprim17ROCPRIM_304000_NS6detail16transform_kernelINS1_24wrapped_transform_configINS0_14default_configEbEEbPKbPbNS0_8identityIbEEEEvT1_mT2_T3_.num_agpr, 0
	.set _ZN7rocprim17ROCPRIM_304000_NS6detail16transform_kernelINS1_24wrapped_transform_configINS0_14default_configEbEEbPKbPbNS0_8identityIbEEEEvT1_mT2_T3_.numbered_sgpr, 40
	.set _ZN7rocprim17ROCPRIM_304000_NS6detail16transform_kernelINS1_24wrapped_transform_configINS0_14default_configEbEEbPKbPbNS0_8identityIbEEEEvT1_mT2_T3_.num_named_barrier, 0
	.set _ZN7rocprim17ROCPRIM_304000_NS6detail16transform_kernelINS1_24wrapped_transform_configINS0_14default_configEbEEbPKbPbNS0_8identityIbEEEEvT1_mT2_T3_.private_seg_size, 0
	.set _ZN7rocprim17ROCPRIM_304000_NS6detail16transform_kernelINS1_24wrapped_transform_configINS0_14default_configEbEEbPKbPbNS0_8identityIbEEEEvT1_mT2_T3_.uses_vcc, 1
	.set _ZN7rocprim17ROCPRIM_304000_NS6detail16transform_kernelINS1_24wrapped_transform_configINS0_14default_configEbEEbPKbPbNS0_8identityIbEEEEvT1_mT2_T3_.uses_flat_scratch, 0
	.set _ZN7rocprim17ROCPRIM_304000_NS6detail16transform_kernelINS1_24wrapped_transform_configINS0_14default_configEbEEbPKbPbNS0_8identityIbEEEEvT1_mT2_T3_.has_dyn_sized_stack, 0
	.set _ZN7rocprim17ROCPRIM_304000_NS6detail16transform_kernelINS1_24wrapped_transform_configINS0_14default_configEbEEbPKbPbNS0_8identityIbEEEEvT1_mT2_T3_.has_recursion, 0
	.set _ZN7rocprim17ROCPRIM_304000_NS6detail16transform_kernelINS1_24wrapped_transform_configINS0_14default_configEbEEbPKbPbNS0_8identityIbEEEEvT1_mT2_T3_.has_indirect_call, 0
	.section	.AMDGPU.csdata,"",@progbits
; Kernel info:
; codeLenInByte = 2196
; TotalNumSgprs: 44
; NumVgprs: 21
; ScratchSize: 0
; MemoryBound: 0
; FloatMode: 240
; IeeeMode: 1
; LDSByteSize: 0 bytes/workgroup (compile time only)
; SGPRBlocks: 5
; VGPRBlocks: 5
; NumSGPRsForWavesPerEU: 44
; NumVGPRsForWavesPerEU: 21
; Occupancy: 10
; WaveLimiterHint : 0
; COMPUTE_PGM_RSRC2:SCRATCH_EN: 0
; COMPUTE_PGM_RSRC2:USER_SGPR: 6
; COMPUTE_PGM_RSRC2:TRAP_HANDLER: 0
; COMPUTE_PGM_RSRC2:TGID_X_EN: 1
; COMPUTE_PGM_RSRC2:TGID_Y_EN: 0
; COMPUTE_PGM_RSRC2:TGID_Z_EN: 0
; COMPUTE_PGM_RSRC2:TIDIG_COMP_CNT: 0
	.section	.text._ZN7rocprim17ROCPRIM_304000_NS6detail25onesweep_iteration_kernelINS1_34wrapped_radix_sort_onesweep_configINS0_14default_configEbN2at4cuda3cub6detail10OpaqueTypeILi8EEEEELb1EPKbPbPKSA_PSA_mNS0_19identity_decomposerEEEvT1_T2_T3_T4_jPT5_SO_PNS1_23onesweep_lookback_stateET6_jjj,"axG",@progbits,_ZN7rocprim17ROCPRIM_304000_NS6detail25onesweep_iteration_kernelINS1_34wrapped_radix_sort_onesweep_configINS0_14default_configEbN2at4cuda3cub6detail10OpaqueTypeILi8EEEEELb1EPKbPbPKSA_PSA_mNS0_19identity_decomposerEEEvT1_T2_T3_T4_jPT5_SO_PNS1_23onesweep_lookback_stateET6_jjj,comdat
	.protected	_ZN7rocprim17ROCPRIM_304000_NS6detail25onesweep_iteration_kernelINS1_34wrapped_radix_sort_onesweep_configINS0_14default_configEbN2at4cuda3cub6detail10OpaqueTypeILi8EEEEELb1EPKbPbPKSA_PSA_mNS0_19identity_decomposerEEEvT1_T2_T3_T4_jPT5_SO_PNS1_23onesweep_lookback_stateET6_jjj ; -- Begin function _ZN7rocprim17ROCPRIM_304000_NS6detail25onesweep_iteration_kernelINS1_34wrapped_radix_sort_onesweep_configINS0_14default_configEbN2at4cuda3cub6detail10OpaqueTypeILi8EEEEELb1EPKbPbPKSA_PSA_mNS0_19identity_decomposerEEEvT1_T2_T3_T4_jPT5_SO_PNS1_23onesweep_lookback_stateET6_jjj
	.globl	_ZN7rocprim17ROCPRIM_304000_NS6detail25onesweep_iteration_kernelINS1_34wrapped_radix_sort_onesweep_configINS0_14default_configEbN2at4cuda3cub6detail10OpaqueTypeILi8EEEEELb1EPKbPbPKSA_PSA_mNS0_19identity_decomposerEEEvT1_T2_T3_T4_jPT5_SO_PNS1_23onesweep_lookback_stateET6_jjj
	.p2align	8
	.type	_ZN7rocprim17ROCPRIM_304000_NS6detail25onesweep_iteration_kernelINS1_34wrapped_radix_sort_onesweep_configINS0_14default_configEbN2at4cuda3cub6detail10OpaqueTypeILi8EEEEELb1EPKbPbPKSA_PSA_mNS0_19identity_decomposerEEEvT1_T2_T3_T4_jPT5_SO_PNS1_23onesweep_lookback_stateET6_jjj,@function
_ZN7rocprim17ROCPRIM_304000_NS6detail25onesweep_iteration_kernelINS1_34wrapped_radix_sort_onesweep_configINS0_14default_configEbN2at4cuda3cub6detail10OpaqueTypeILi8EEEEELb1EPKbPbPKSA_PSA_mNS0_19identity_decomposerEEEvT1_T2_T3_T4_jPT5_SO_PNS1_23onesweep_lookback_stateET6_jjj: ; @_ZN7rocprim17ROCPRIM_304000_NS6detail25onesweep_iteration_kernelINS1_34wrapped_radix_sort_onesweep_configINS0_14default_configEbN2at4cuda3cub6detail10OpaqueTypeILi8EEEEELb1EPKbPbPKSA_PSA_mNS0_19identity_decomposerEEEvT1_T2_T3_T4_jPT5_SO_PNS1_23onesweep_lookback_stateET6_jjj
; %bb.0:
	s_load_dwordx4 s[48:51], s[4:5], 0x44
	s_load_dwordx8 s[36:43], s[4:5], 0x0
	s_load_dwordx4 s[44:47], s[4:5], 0x28
	s_load_dwordx2 s[34:35], s[4:5], 0x38
	s_mov_b64 s[0:1], -1
	s_waitcnt lgkmcnt(0)
	s_cmp_ge_u32 s6, s50
	s_mul_i32 s30, s6, 0xc00
	v_mbcnt_lo_u32_b32 v19, -1, 0
	s_cbranch_scc0 .LBB170_96
; %bb.1:
	s_load_dword s0, s[4:5], 0x20
	s_mul_i32 s33, s50, 0xfffff400
	v_mbcnt_hi_u32_b32 v12, -1, v19
	v_and_b32_e32 v7, 0x1c0, v0
	v_mul_u32_u24_e32 v11, 6, v7
	s_waitcnt lgkmcnt(0)
	s_add_i32 s33, s33, s0
	s_add_u32 s0, s36, s30
	s_addc_u32 s1, s37, 0
	v_mov_b32_e32 v3, s1
	v_add_co_u32_e32 v4, vcc, s0, v12
	v_addc_co_u32_e32 v6, vcc, 0, v3, vcc
	v_add_co_u32_e32 v3, vcc, v4, v11
	v_addc_co_u32_e32 v4, vcc, 0, v6, vcc
	v_or_b32_e32 v14, v12, v11
	s_mov_b32 s31, 0
	v_mov_b32_e32 v5, 0
	v_cmp_gt_u32_e32 vcc, s33, v14
	v_mov_b32_e32 v10, 0
	v_mov_b32_e32 v6, 0
	;; [unrolled: 1-line block ×4, first 2 shown]
	s_and_saveexec_b64 s[0:1], vcc
	s_cbranch_execz .LBB170_3
; %bb.2:
	global_load_ubyte v10, v[3:4], off
	v_mov_b32_e32 v6, 0
	v_mov_b32_e32 v8, 0
	;; [unrolled: 1-line block ×3, first 2 shown]
.LBB170_3:
	s_or_b64 exec, exec, s[0:1]
	v_add_u32_e32 v13, 64, v14
	v_cmp_gt_u32_e64 s[0:1], s33, v13
	v_mov_b32_e32 v13, v5
	s_and_saveexec_b64 s[2:3], s[0:1]
	s_cbranch_execz .LBB170_5
; %bb.4:
	global_load_ubyte v13, v[3:4], off offset:64
.LBB170_5:
	s_or_b64 exec, exec, s[2:3]
	v_add_u32_e32 v15, 0x80, v14
	v_cmp_gt_u32_e64 s[2:3], s33, v15
	s_and_saveexec_b64 s[8:9], s[2:3]
	s_cbranch_execz .LBB170_7
; %bb.6:
	global_load_ubyte v5, v[3:4], off offset:128
.LBB170_7:
	s_or_b64 exec, exec, s[8:9]
	v_add_u32_e32 v15, 0xc0, v14
	v_cmp_gt_u32_e64 s[26:27], s33, v15
	;; [unrolled: 8-line block ×4, first 2 shown]
	s_and_saveexec_b64 s[12:13], s[10:11]
	s_cbranch_execz .LBB170_13
; %bb.12:
	global_load_ubyte v9, v[3:4], off offset:320
.LBB170_13:
	s_or_b64 exec, exec, s[12:13]
	s_load_dword s7, s[4:5], 0x50
	s_load_dword s14, s[4:5], 0x5c
	s_waitcnt vmcnt(0)
	v_and_b32_e32 v3, 1, v10
	v_cmp_eq_u32_e64 s[12:13], 1, v3
	s_xor_b64 s[22:23], s[12:13], -1
	s_add_u32 s12, s4, 0x50
	s_addc_u32 s13, s5, 0
	s_waitcnt lgkmcnt(0)
	s_lshr_b32 s24, s14, 16
	s_cmp_lt_u32 s6, s7
	s_cselect_b32 s14, 12, 18
	s_add_u32 s12, s12, s14
	s_addc_u32 s13, s13, 0
	v_mov_b32_e32 v3, 0
	global_load_ushort v14, v3, s[12:13]
	v_and_b32_e32 v8, 1, v8
	v_mul_u32_u24_e32 v10, 20, v0
	v_cmp_eq_u32_e64 s[14:15], 1, v8
	v_cndmask_b32_e64 v8, 0, 1, s[22:23]
	s_lshl_b32 s22, -1, s49
	ds_write2_b32 v10, v3, v3 offset0:8 offset1:9
	ds_write2_b32 v10, v3, v3 offset0:10 offset1:11
	ds_write_b32 v10, v3 offset:48
	v_lshrrev_b32_e32 v3, s48, v8
	s_not_b32 s52, s22
	v_and_b32_e32 v5, 1, v5
	v_and_b32_e32 v3, s52, v3
	;; [unrolled: 1-line block ×3, first 2 shown]
	v_cmp_eq_u32_e64 s[18:19], 1, v5
	v_mad_u32_u24 v5, v2, s24, v1
	v_mul_u32_u24_e32 v13, 36, v3
	v_cmp_ne_u32_e64 s[22:23], 0, v3
	v_add_co_u32_e64 v3, s[24:25], -1, v3
	v_and_b32_e32 v6, 1, v6
	v_cmp_eq_u32_e64 s[20:21], 1, v4
	v_addc_co_u32_e64 v4, s[24:25], 0, -1, s[24:25]
	v_cmp_eq_u32_e64 s[16:17], 1, v6
	v_xor_b32_e32 v4, s23, v4
	v_xor_b32_e32 v3, s22, v3
	v_and_b32_e32 v9, 1, v9
	v_and_b32_e32 v3, exec_lo, v3
	v_cmp_eq_u32_e64 s[12:13], 1, v9
	v_and_b32_e32 v4, exec_hi, v4
	v_mbcnt_lo_u32_b32 v9, v3, 0
	v_mbcnt_hi_u32_b32 v9, v4, v9
	v_cmp_eq_u32_e64 s[24:25], 0, v9
	s_waitcnt vmcnt(0) lgkmcnt(0)
	s_barrier
	; wave barrier
	v_mad_u64_u32 v[5:6], s[22:23], v5, v14, v[0:1]
	v_cmp_ne_u64_e64 s[22:23], 0, v[3:4]
	v_lshrrev_b32_e32 v5, 4, v5
	v_and_b32_e32 v5, 0xffffffc, v5
	s_and_b64 s[24:25], s[22:23], s[24:25]
	v_add_u32_e32 v17, v5, v13
	s_and_saveexec_b64 s[22:23], s[24:25]
; %bb.14:
	v_bcnt_u32_b32 v3, v3, 0
	v_bcnt_u32_b32 v3, v4, v3
	ds_write_b32 v17, v3 offset:32
; %bb.15:
	s_or_b64 exec, exec, s[22:23]
	s_xor_b64 s[20:21], s[20:21], -1
	v_cndmask_b32_e64 v13, 0, 1, s[20:21]
	v_lshrrev_b32_e32 v3, s48, v13
	v_and_b32_e32 v3, s52, v3
	v_mul_u32_u24_e32 v6, 36, v3
	v_mad_u32_u24 v4, v3, 36, v5
	v_cmp_ne_u32_e64 s[20:21], 0, v3
	v_add_co_u32_e64 v3, s[22:23], -1, v3
	; wave barrier
	ds_read_b32 v14, v4 offset:32
	v_addc_co_u32_e64 v4, s[22:23], 0, -1, s[22:23]
	v_xor_b32_e32 v3, s20, v3
	v_xor_b32_e32 v4, s21, v4
	v_and_b32_e32 v3, exec_lo, v3
	v_and_b32_e32 v4, exec_hi, v4
	v_mbcnt_lo_u32_b32 v15, v3, 0
	v_mbcnt_hi_u32_b32 v15, v4, v15
	v_cmp_ne_u64_e64 s[20:21], 0, v[3:4]
	v_cmp_eq_u32_e64 s[22:23], 0, v15
	s_and_b64 s[22:23], s[20:21], s[22:23]
	v_add_u32_e32 v20, v5, v6
	; wave barrier
	s_and_saveexec_b64 s[20:21], s[22:23]
	s_cbranch_execz .LBB170_17
; %bb.16:
	v_bcnt_u32_b32 v3, v3, 0
	v_bcnt_u32_b32 v3, v4, v3
	s_waitcnt lgkmcnt(0)
	v_add_u32_e32 v3, v14, v3
	ds_write_b32 v20, v3 offset:32
.LBB170_17:
	s_or_b64 exec, exec, s[20:21]
	s_xor_b64 s[18:19], s[18:19], -1
	v_cndmask_b32_e64 v16, 0, 1, s[18:19]
	v_lshrrev_b32_e32 v3, s48, v16
	v_and_b32_e32 v3, s52, v3
	v_mul_u32_u24_e32 v6, 36, v3
	v_mad_u32_u24 v4, v3, 36, v5
	v_cmp_ne_u32_e64 s[18:19], 0, v3
	v_add_co_u32_e64 v3, s[20:21], -1, v3
	; wave barrier
	ds_read_b32 v18, v4 offset:32
	v_addc_co_u32_e64 v4, s[20:21], 0, -1, s[20:21]
	v_xor_b32_e32 v3, s18, v3
	v_xor_b32_e32 v4, s19, v4
	v_and_b32_e32 v3, exec_lo, v3
	v_and_b32_e32 v4, exec_hi, v4
	v_mbcnt_lo_u32_b32 v21, v3, 0
	v_mbcnt_hi_u32_b32 v21, v4, v21
	v_cmp_ne_u64_e64 s[18:19], 0, v[3:4]
	v_cmp_eq_u32_e64 s[20:21], 0, v21
	s_and_b64 s[20:21], s[18:19], s[20:21]
	v_add_u32_e32 v24, v5, v6
	; wave barrier
	s_and_saveexec_b64 s[18:19], s[20:21]
	s_cbranch_execz .LBB170_19
; %bb.18:
	v_bcnt_u32_b32 v3, v3, 0
	v_bcnt_u32_b32 v3, v4, v3
	s_waitcnt lgkmcnt(0)
	v_add_u32_e32 v3, v18, v3
	ds_write_b32 v24, v3 offset:32
.LBB170_19:
	;; [unrolled: 32-line block ×5, first 2 shown]
	s_or_b64 exec, exec, s[12:13]
	; wave barrier
	s_waitcnt lgkmcnt(0)
	s_barrier
	ds_read2_b32 v[5:6], v10 offset0:8 offset1:9
	ds_read2_b32 v[3:4], v10 offset0:10 offset1:11
	ds_read_b32 v35, v10 offset:48
	v_min_u32_e32 v7, 0x1c0, v7
	v_or_b32_e32 v7, 63, v7
	s_waitcnt lgkmcnt(1)
	v_add3_u32 v36, v6, v5, v3
	s_waitcnt lgkmcnt(0)
	v_add3_u32 v35, v36, v4, v35
	v_and_b32_e32 v36, 15, v12
	v_cmp_ne_u32_e64 s[12:13], 0, v36
	v_mov_b32_dpp v37, v35 row_shr:1 row_mask:0xf bank_mask:0xf
	v_cndmask_b32_e64 v37, 0, v37, s[12:13]
	v_add_u32_e32 v35, v37, v35
	v_cmp_lt_u32_e64 s[12:13], 1, v36
	s_nop 0
	v_mov_b32_dpp v37, v35 row_shr:2 row_mask:0xf bank_mask:0xf
	v_cndmask_b32_e64 v37, 0, v37, s[12:13]
	v_add_u32_e32 v35, v35, v37
	v_cmp_lt_u32_e64 s[12:13], 3, v36
	s_nop 0
	;; [unrolled: 5-line block ×3, first 2 shown]
	v_mov_b32_dpp v37, v35 row_shr:8 row_mask:0xf bank_mask:0xf
	v_cndmask_b32_e64 v36, 0, v37, s[12:13]
	v_add_u32_e32 v35, v35, v36
	v_bfe_i32 v37, v12, 4, 1
	v_cmp_lt_u32_e64 s[12:13], 31, v12
	v_mov_b32_dpp v36, v35 row_bcast:15 row_mask:0xf bank_mask:0xf
	v_and_b32_e32 v36, v37, v36
	v_add_u32_e32 v35, v35, v36
	s_nop 1
	v_mov_b32_dpp v36, v35 row_bcast:31 row_mask:0xf bank_mask:0xf
	v_cndmask_b32_e64 v36, 0, v36, s[12:13]
	v_add_u32_e32 v35, v35, v36
	v_lshrrev_b32_e32 v36, 6, v0
	v_cmp_eq_u32_e64 s[12:13], v0, v7
	s_and_saveexec_b64 s[14:15], s[12:13]
; %bb.26:
	v_lshlrev_b32_e32 v7, 2, v36
	ds_write_b32 v7, v35
; %bb.27:
	s_or_b64 exec, exec, s[14:15]
	v_cmp_gt_u32_e64 s[12:13], 8, v0
	s_waitcnt lgkmcnt(0)
	s_barrier
	s_and_saveexec_b64 s[14:15], s[12:13]
	s_cbranch_execz .LBB170_29
; %bb.28:
	v_lshlrev_b32_e32 v7, 2, v0
	ds_read_b32 v37, v7
	v_and_b32_e32 v38, 7, v12
	v_cmp_ne_u32_e64 s[12:13], 0, v38
	s_waitcnt lgkmcnt(0)
	v_mov_b32_dpp v39, v37 row_shr:1 row_mask:0xf bank_mask:0xf
	v_cndmask_b32_e64 v39, 0, v39, s[12:13]
	v_add_u32_e32 v37, v39, v37
	v_cmp_lt_u32_e64 s[12:13], 1, v38
	s_nop 0
	v_mov_b32_dpp v39, v37 row_shr:2 row_mask:0xf bank_mask:0xf
	v_cndmask_b32_e64 v39, 0, v39, s[12:13]
	v_add_u32_e32 v37, v37, v39
	v_cmp_lt_u32_e64 s[12:13], 3, v38
	s_nop 0
	v_mov_b32_dpp v39, v37 row_shr:4 row_mask:0xf bank_mask:0xf
	v_cndmask_b32_e64 v38, 0, v39, s[12:13]
	v_add_u32_e32 v37, v37, v38
	ds_write_b32 v7, v37
.LBB170_29:
	s_or_b64 exec, exec, s[14:15]
	v_cmp_lt_u32_e64 s[12:13], 63, v0
	v_mov_b32_e32 v7, 0
	s_waitcnt lgkmcnt(0)
	s_barrier
	s_and_saveexec_b64 s[14:15], s[12:13]
; %bb.30:
	v_lshl_add_u32 v7, v36, 2, -4
	ds_read_b32 v7, v7
; %bb.31:
	s_or_b64 exec, exec, s[14:15]
	v_subrev_co_u32_e64 v36, s[12:13], 1, v12
	v_and_b32_e32 v37, 64, v12
	v_cmp_lt_i32_e64 s[14:15], v36, v37
	v_cndmask_b32_e64 v36, v36, v12, s[14:15]
	s_waitcnt lgkmcnt(0)
	v_add_u32_e32 v35, v7, v35
	v_lshlrev_b32_e32 v36, 2, v36
	ds_bpermute_b32 v35, v36, v35
	s_movk_i32 s16, 0x100
	v_cmp_gt_u32_e64 s[14:15], s16, v0
	s_waitcnt lgkmcnt(0)
	v_cndmask_b32_e64 v7, v35, v7, s[12:13]
	v_cmp_ne_u32_e64 s[12:13], 0, v0
	v_cndmask_b32_e64 v7, 0, v7, s[12:13]
	v_add_u32_e32 v5, v7, v5
	v_add_u32_e32 v6, v5, v6
	;; [unrolled: 1-line block ×4, first 2 shown]
	ds_write2_b32 v10, v7, v5 offset0:8 offset1:9
	ds_write2_b32 v10, v6, v3 offset0:10 offset1:11
	ds_write_b32 v10, v4 offset:48
	s_waitcnt lgkmcnt(0)
	s_barrier
	ds_read_b32 v5, v17 offset:32
	ds_read_b32 v6, v20 offset:32
	ds_read_b32 v7, v24 offset:32
	ds_read_b32 v10, v25 offset:32
	ds_read_b32 v17, v26 offset:32
	ds_read_b32 v35, v27 offset:32
	s_movk_i32 s12, 0xff
	v_mov_b32_e32 v3, 0
	v_cmp_lt_u32_e64 s[12:13], s12, v0
	v_mov_b32_e32 v4, 0
                                        ; implicit-def: $vgpr20
	s_and_saveexec_b64 s[18:19], s[14:15]
	s_cbranch_execz .LBB170_35
; %bb.32:
	v_mul_u32_u24_e32 v3, 36, v0
	ds_read_b32 v3, v3 offset:32
	v_add_u32_e32 v20, 1, v0
	v_cmp_ne_u32_e64 s[16:17], s16, v20
	v_mov_b32_e32 v4, 0xc00
	s_and_saveexec_b64 s[20:21], s[16:17]
; %bb.33:
	v_mul_u32_u24_e32 v4, 36, v20
	ds_read_b32 v4, v4 offset:32
; %bb.34:
	s_or_b64 exec, exec, s[20:21]
	s_waitcnt lgkmcnt(0)
	v_sub_u32_e32 v20, v4, v3
	v_mov_b32_e32 v4, 0
.LBB170_35:
	s_or_b64 exec, exec, s[18:19]
	s_waitcnt lgkmcnt(5)
	v_add_u32_e32 v27, v5, v9
	s_waitcnt lgkmcnt(4)
	v_add3_u32 v26, v15, v14, v6
	s_waitcnt lgkmcnt(3)
	v_add3_u32 v25, v21, v18, v7
	;; [unrolled: 2-line block ×5, first 2 shown]
	v_mov_b32_e32 v6, 0
	v_lshlrev_b32_e32 v21, 3, v0
	s_barrier
	ds_write_b8 v27, v8 offset:2048
	ds_write_b8 v26, v13 offset:2048
	;; [unrolled: 1-line block ×6, first 2 shown]
	s_waitcnt lgkmcnt(0)
	s_barrier
	s_and_saveexec_b64 s[16:17], s[14:15]
	s_cbranch_execz .LBB170_45
; %bb.36:
	v_lshl_add_u32 v5, s6, 8, v0
	v_lshlrev_b64 v[7:8], 2, v[5:6]
	v_mov_b32_e32 v13, s35
	v_add_co_u32_e64 v7, s[14:15], s34, v7
	v_addc_co_u32_e64 v8, s[14:15], v13, v8, s[14:15]
	v_or_b32_e32 v5, 2.0, v20
	s_mov_b64 s[18:19], 0
	s_brev_b32 s24, -4
	s_mov_b32 s25, s6
	v_mov_b32_e32 v14, 0
	global_store_dword v[7:8], v5, off
                                        ; implicit-def: $sgpr14_sgpr15
	s_branch .LBB170_39
.LBB170_37:                             ;   in Loop: Header=BB170_39 Depth=1
	s_or_b64 exec, exec, s[22:23]
.LBB170_38:                             ;   in Loop: Header=BB170_39 Depth=1
	s_or_b64 exec, exec, s[20:21]
	v_and_b32_e32 v9, 0x3fffffff, v5
	v_add_u32_e32 v14, v9, v14
	v_cmp_gt_i32_e64 s[14:15], -2.0, v5
	s_and_b64 s[20:21], exec, s[14:15]
	s_or_b64 s[18:19], s[20:21], s[18:19]
	s_andn2_b64 exec, exec, s[18:19]
	s_cbranch_execz .LBB170_44
.LBB170_39:                             ; =>This Loop Header: Depth=1
                                        ;     Child Loop BB170_42 Depth 2
	s_or_b64 s[14:15], s[14:15], exec
	s_cmp_eq_u32 s25, 0
	s_cbranch_scc1 .LBB170_43
; %bb.40:                               ;   in Loop: Header=BB170_39 Depth=1
	s_add_i32 s25, s25, -1
	v_lshl_or_b32 v5, s25, 8, v0
	v_lshlrev_b64 v[9:10], 2, v[5:6]
	v_add_co_u32_e64 v9, s[14:15], s34, v9
	v_addc_co_u32_e64 v10, s[14:15], v13, v10, s[14:15]
	global_load_dword v5, v[9:10], off glc
	s_waitcnt vmcnt(0)
	v_cmp_gt_u32_e64 s[14:15], 2.0, v5
	s_and_saveexec_b64 s[20:21], s[14:15]
	s_cbranch_execz .LBB170_38
; %bb.41:                               ;   in Loop: Header=BB170_39 Depth=1
	s_mov_b64 s[22:23], 0
.LBB170_42:                             ;   Parent Loop BB170_39 Depth=1
                                        ; =>  This Inner Loop Header: Depth=2
	global_load_dword v5, v[9:10], off glc
	s_waitcnt vmcnt(0)
	v_cmp_lt_u32_e64 s[14:15], s24, v5
	s_or_b64 s[22:23], s[14:15], s[22:23]
	s_andn2_b64 exec, exec, s[22:23]
	s_cbranch_execnz .LBB170_42
	s_branch .LBB170_37
.LBB170_43:                             ;   in Loop: Header=BB170_39 Depth=1
                                        ; implicit-def: $sgpr25
	s_and_b64 s[20:21], exec, s[14:15]
	s_or_b64 s[18:19], s[20:21], s[18:19]
	s_andn2_b64 exec, exec, s[18:19]
	s_cbranch_execnz .LBB170_39
.LBB170_44:
	s_or_b64 exec, exec, s[18:19]
	v_add_u32_e32 v5, v14, v20
	v_or_b32_e32 v5, 0x80000000, v5
	global_store_dword v[7:8], v5, off
	global_load_dwordx2 v[5:6], v21, s[44:45]
	v_sub_co_u32_e64 v7, s[14:15], v14, v3
	v_subb_co_u32_e64 v8, s[14:15], 0, v4, s[14:15]
	s_waitcnt vmcnt(0)
	v_add_co_u32_e64 v5, s[14:15], v7, v5
	v_addc_co_u32_e64 v6, s[14:15], v8, v6, s[14:15]
	ds_write_b64 v21, v[5:6]
.LBB170_45:
	s_or_b64 exec, exec, s[16:17]
	v_cmp_gt_u32_e64 s[14:15], s33, v0
	s_waitcnt lgkmcnt(0)
	s_barrier
	s_and_saveexec_b64 s[18:19], s[14:15]
	s_cbranch_execz .LBB170_47
; %bb.46:
	ds_read_u8 v7, v0 offset:2048
	v_mov_b32_e32 v8, s39
	s_waitcnt lgkmcnt(0)
	v_and_b32_e32 v5, 1, v7
	v_lshrrev_b32_e32 v5, s48, v5
	v_and_b32_e32 v5, s52, v5
	v_lshlrev_b32_e32 v5, 3, v5
	ds_read_b64 v[5:6], v5
	v_xor_b32_e32 v7, 1, v7
	s_waitcnt lgkmcnt(0)
	v_add_co_u32_e64 v5, s[16:17], s38, v5
	v_addc_co_u32_e64 v6, s[16:17], v8, v6, s[16:17]
	v_add_co_u32_e64 v5, s[16:17], v5, v0
	v_addc_co_u32_e64 v6, s[16:17], 0, v6, s[16:17]
	global_store_byte v[5:6], v7, off
.LBB170_47:
	s_or_b64 exec, exec, s[18:19]
	v_or_b32_e32 v28, 0x200, v0
	v_cmp_gt_u32_e64 s[16:17], s33, v28
	s_and_saveexec_b64 s[20:21], s[16:17]
	s_cbranch_execz .LBB170_49
; %bb.48:
	ds_read_u8 v7, v0 offset:2560
	v_mov_b32_e32 v8, s39
	s_waitcnt lgkmcnt(0)
	v_and_b32_e32 v5, 1, v7
	v_lshrrev_b32_e32 v5, s48, v5
	v_and_b32_e32 v5, s52, v5
	v_lshlrev_b32_e32 v5, 3, v5
	ds_read_b64 v[5:6], v5
	v_xor_b32_e32 v7, 1, v7
	s_waitcnt lgkmcnt(0)
	v_add_co_u32_e64 v5, s[18:19], s38, v5
	v_addc_co_u32_e64 v6, s[18:19], v8, v6, s[18:19]
	v_add_co_u32_e64 v5, s[18:19], v5, v0
	v_addc_co_u32_e64 v6, s[18:19], 0, v6, s[18:19]
	global_store_byte v[5:6], v7, off offset:512
.LBB170_49:
	s_or_b64 exec, exec, s[20:21]
	v_or_b32_e32 v29, 0x400, v0
	v_cmp_gt_u32_e64 s[18:19], s33, v29
	s_and_saveexec_b64 s[22:23], s[18:19]
	s_cbranch_execz .LBB170_51
; %bb.50:
	ds_read_u8 v7, v0 offset:3072
	v_mov_b32_e32 v8, s39
	s_waitcnt lgkmcnt(0)
	v_and_b32_e32 v5, 1, v7
	v_lshrrev_b32_e32 v5, s48, v5
	v_and_b32_e32 v5, s52, v5
	v_lshlrev_b32_e32 v5, 3, v5
	ds_read_b64 v[5:6], v5
	v_xor_b32_e32 v7, 1, v7
	s_waitcnt lgkmcnt(0)
	v_add_co_u32_e64 v5, s[20:21], s38, v5
	v_addc_co_u32_e64 v6, s[20:21], v8, v6, s[20:21]
	v_add_co_u32_e64 v5, s[20:21], v5, v0
	v_addc_co_u32_e64 v6, s[20:21], 0, v6, s[20:21]
	global_store_byte v[5:6], v7, off offset:1024
.LBB170_51:
	;; [unrolled: 22-line block ×5, first 2 shown]
	s_or_b64 exec, exec, s[50:51]
	s_lshl_b64 s[28:29], s[30:31], 3
	s_add_u32 s28, s40, s28
	s_addc_u32 s29, s41, s29
	v_lshlrev_b32_e32 v5, 3, v12
	v_mov_b32_e32 v6, s29
	v_add_co_u32_e64 v5, s[28:29], s28, v5
	v_addc_co_u32_e64 v6, s[28:29], 0, v6, s[28:29]
	v_lshlrev_b32_e32 v7, 3, v11
	v_add_co_u32_e64 v17, s[28:29], v5, v7
	v_addc_co_u32_e64 v18, s[28:29], 0, v6, s[28:29]
                                        ; implicit-def: $vgpr5_vgpr6
	s_and_saveexec_b64 s[28:29], vcc
	s_xor_b64 s[28:29], exec, s[28:29]
	s_cbranch_execz .LBB170_63
; %bb.58:
	global_load_dwordx2 v[5:6], v[17:18], off
	s_or_b64 exec, exec, s[28:29]
                                        ; implicit-def: $vgpr7_vgpr8
	s_and_saveexec_b64 s[28:29], s[0:1]
	s_cbranch_execnz .LBB170_64
.LBB170_59:
	s_or_b64 exec, exec, s[28:29]
                                        ; implicit-def: $vgpr9_vgpr10
	s_and_saveexec_b64 s[0:1], s[2:3]
	s_cbranch_execz .LBB170_65
.LBB170_60:
	global_load_dwordx2 v[9:10], v[17:18], off offset:1024
	s_or_b64 exec, exec, s[0:1]
                                        ; implicit-def: $vgpr11_vgpr12
	s_and_saveexec_b64 s[0:1], s[26:27]
	s_cbranch_execnz .LBB170_66
.LBB170_61:
	s_or_b64 exec, exec, s[0:1]
                                        ; implicit-def: $vgpr13_vgpr14
	s_and_saveexec_b64 s[0:1], s[8:9]
	s_cbranch_execz .LBB170_67
.LBB170_62:
	global_load_dwordx2 v[13:14], v[17:18], off offset:2048
	s_or_b64 exec, exec, s[0:1]
                                        ; implicit-def: $vgpr15_vgpr16
	s_and_saveexec_b64 s[0:1], s[10:11]
	s_cbranch_execnz .LBB170_68
	s_branch .LBB170_69
.LBB170_63:
	s_or_b64 exec, exec, s[28:29]
                                        ; implicit-def: $vgpr7_vgpr8
	s_and_saveexec_b64 s[28:29], s[0:1]
	s_cbranch_execz .LBB170_59
.LBB170_64:
	global_load_dwordx2 v[7:8], v[17:18], off offset:512
	s_or_b64 exec, exec, s[28:29]
                                        ; implicit-def: $vgpr9_vgpr10
	s_and_saveexec_b64 s[0:1], s[2:3]
	s_cbranch_execnz .LBB170_60
.LBB170_65:
	s_or_b64 exec, exec, s[0:1]
                                        ; implicit-def: $vgpr11_vgpr12
	s_and_saveexec_b64 s[0:1], s[26:27]
	s_cbranch_execz .LBB170_61
.LBB170_66:
	global_load_dwordx2 v[11:12], v[17:18], off offset:1536
	s_or_b64 exec, exec, s[0:1]
                                        ; implicit-def: $vgpr13_vgpr14
	s_and_saveexec_b64 s[0:1], s[8:9]
	s_cbranch_execnz .LBB170_62
.LBB170_67:
	s_or_b64 exec, exec, s[0:1]
                                        ; implicit-def: $vgpr15_vgpr16
	s_and_saveexec_b64 s[0:1], s[10:11]
	s_cbranch_execz .LBB170_69
.LBB170_68:
	global_load_dwordx2 v[15:16], v[17:18], off offset:2560
.LBB170_69:
	s_or_b64 exec, exec, s[0:1]
	v_mov_b32_e32 v34, 0
	v_mov_b32_e32 v36, 0
	s_and_saveexec_b64 s[0:1], s[14:15]
	s_cbranch_execz .LBB170_71
; %bb.70:
	ds_read_u8 v17, v0 offset:2048
	s_waitcnt lgkmcnt(0)
	v_lshrrev_b32_e32 v17, s48, v17
	v_and_b32_e32 v36, s52, v17
.LBB170_71:
	s_or_b64 exec, exec, s[0:1]
	s_and_saveexec_b64 s[0:1], s[16:17]
	s_cbranch_execz .LBB170_73
; %bb.72:
	ds_read_u8 v17, v0 offset:2560
	s_waitcnt lgkmcnt(0)
	v_lshrrev_b32_e32 v17, s48, v17
	v_and_b32_e32 v34, s52, v17
.LBB170_73:
	s_or_b64 exec, exec, s[0:1]
	v_mov_b32_e32 v18, 0
	v_mov_b32_e32 v35, 0
	s_and_saveexec_b64 s[0:1], s[18:19]
	s_cbranch_execz .LBB170_75
; %bb.74:
	ds_read_u8 v17, v0 offset:3072
	s_waitcnt lgkmcnt(0)
	v_lshrrev_b32_e32 v17, s48, v17
	v_and_b32_e32 v35, s52, v17
.LBB170_75:
	s_or_b64 exec, exec, s[0:1]
	s_and_saveexec_b64 s[0:1], s[20:21]
	s_cbranch_execz .LBB170_77
; %bb.76:
	ds_read_u8 v17, v0 offset:3584
	s_waitcnt lgkmcnt(0)
	v_lshrrev_b32_e32 v17, s48, v17
	v_and_b32_e32 v18, s52, v17
.LBB170_77:
	;; [unrolled: 20-line block ×3, first 2 shown]
	s_or_b64 exec, exec, s[0:1]
	v_lshlrev_b32_e32 v27, 3, v27
	s_waitcnt vmcnt(0)
	s_barrier
	ds_write_b64 v27, v[5:6] offset:2048
	v_lshlrev_b32_e32 v5, 3, v26
	ds_write_b64 v5, v[7:8] offset:2048
	v_lshlrev_b32_e32 v5, 3, v25
	;; [unrolled: 2-line block ×5, first 2 shown]
	ds_write_b64 v5, v[15:16] offset:2048
	s_waitcnt lgkmcnt(0)
	s_barrier
	s_and_saveexec_b64 s[0:1], s[14:15]
	s_cbranch_execz .LBB170_87
; %bb.82:
	v_lshlrev_b32_e32 v5, 3, v36
	ds_read_b64 v[5:6], v5
	ds_read_b64 v[7:8], v21 offset:2048
	v_mov_b32_e32 v9, s43
	s_waitcnt lgkmcnt(1)
	v_lshlrev_b64 v[5:6], 3, v[5:6]
	v_add_co_u32_e32 v5, vcc, s42, v5
	v_addc_co_u32_e32 v6, vcc, v9, v6, vcc
	v_add_co_u32_e32 v5, vcc, v5, v21
	v_addc_co_u32_e32 v6, vcc, 0, v6, vcc
	s_waitcnt lgkmcnt(0)
	global_store_dwordx2 v[5:6], v[7:8], off
	s_or_b64 exec, exec, s[0:1]
	s_and_saveexec_b64 s[0:1], s[16:17]
	s_cbranch_execnz .LBB170_88
.LBB170_83:
	s_or_b64 exec, exec, s[0:1]
	s_and_saveexec_b64 s[0:1], s[18:19]
	s_cbranch_execz .LBB170_89
.LBB170_84:
	v_lshlrev_b32_e32 v5, 3, v35
	ds_read_b64 v[5:6], v5
	ds_read_b64 v[7:8], v21 offset:10240
	v_mov_b32_e32 v9, s43
	s_waitcnt lgkmcnt(1)
	v_lshlrev_b64 v[5:6], 3, v[5:6]
	v_add_co_u32_e32 v5, vcc, s42, v5
	v_addc_co_u32_e32 v6, vcc, v9, v6, vcc
	v_lshlrev_b32_e32 v9, 3, v29
	v_add_co_u32_e32 v5, vcc, v5, v9
	v_addc_co_u32_e32 v6, vcc, 0, v6, vcc
	s_waitcnt lgkmcnt(0)
	global_store_dwordx2 v[5:6], v[7:8], off
	s_or_b64 exec, exec, s[0:1]
	s_and_saveexec_b64 s[0:1], s[20:21]
	s_cbranch_execnz .LBB170_90
.LBB170_85:
	s_or_b64 exec, exec, s[0:1]
	s_and_saveexec_b64 s[0:1], s[22:23]
	s_cbranch_execz .LBB170_91
.LBB170_86:
	v_lshlrev_b32_e32 v5, 3, v33
	ds_read_b64 v[5:6], v5
	ds_read_b64 v[7:8], v21 offset:18432
	v_mov_b32_e32 v9, s43
	s_waitcnt lgkmcnt(1)
	v_lshlrev_b64 v[5:6], 3, v[5:6]
	v_add_co_u32_e32 v5, vcc, s42, v5
	v_addc_co_u32_e32 v6, vcc, v9, v6, vcc
	v_lshlrev_b32_e32 v9, 3, v31
	v_add_co_u32_e32 v5, vcc, v5, v9
	v_addc_co_u32_e32 v6, vcc, 0, v6, vcc
	s_waitcnt lgkmcnt(0)
	global_store_dwordx2 v[5:6], v[7:8], off
	s_or_b64 exec, exec, s[0:1]
	s_and_saveexec_b64 s[0:1], s[24:25]
	s_cbranch_execnz .LBB170_92
	s_branch .LBB170_93
.LBB170_87:
	s_or_b64 exec, exec, s[0:1]
	s_and_saveexec_b64 s[0:1], s[16:17]
	s_cbranch_execz .LBB170_83
.LBB170_88:
	v_lshlrev_b32_e32 v5, 3, v34
	ds_read_b64 v[5:6], v5
	ds_read_b64 v[7:8], v21 offset:6144
	v_mov_b32_e32 v9, s43
	s_waitcnt lgkmcnt(1)
	v_lshlrev_b64 v[5:6], 3, v[5:6]
	v_add_co_u32_e32 v5, vcc, s42, v5
	v_addc_co_u32_e32 v6, vcc, v9, v6, vcc
	v_lshlrev_b32_e32 v9, 3, v28
	v_add_co_u32_e32 v5, vcc, v5, v9
	v_addc_co_u32_e32 v6, vcc, 0, v6, vcc
	s_waitcnt lgkmcnt(0)
	global_store_dwordx2 v[5:6], v[7:8], off
	s_or_b64 exec, exec, s[0:1]
	s_and_saveexec_b64 s[0:1], s[18:19]
	s_cbranch_execnz .LBB170_84
.LBB170_89:
	s_or_b64 exec, exec, s[0:1]
	s_and_saveexec_b64 s[0:1], s[20:21]
	s_cbranch_execz .LBB170_85
.LBB170_90:
	v_lshlrev_b32_e32 v5, 3, v18
	ds_read_b64 v[5:6], v5
	ds_read_b64 v[7:8], v21 offset:14336
	v_mov_b32_e32 v9, s43
	s_waitcnt lgkmcnt(1)
	v_lshlrev_b64 v[5:6], 3, v[5:6]
	v_add_co_u32_e32 v5, vcc, s42, v5
	v_addc_co_u32_e32 v6, vcc, v9, v6, vcc
	v_lshlrev_b32_e32 v9, 3, v30
	v_add_co_u32_e32 v5, vcc, v5, v9
	v_addc_co_u32_e32 v6, vcc, 0, v6, vcc
	s_waitcnt lgkmcnt(0)
	global_store_dwordx2 v[5:6], v[7:8], off
	s_or_b64 exec, exec, s[0:1]
	s_and_saveexec_b64 s[0:1], s[22:23]
	s_cbranch_execnz .LBB170_86
.LBB170_91:
	s_or_b64 exec, exec, s[0:1]
	s_and_saveexec_b64 s[0:1], s[24:25]
	s_cbranch_execz .LBB170_93
.LBB170_92:
	v_lshlrev_b32_e32 v5, 3, v17
	ds_read_b64 v[5:6], v5
	ds_read_b64 v[7:8], v21 offset:22528
	v_mov_b32_e32 v9, s43
	s_waitcnt lgkmcnt(1)
	v_lshlrev_b64 v[5:6], 3, v[5:6]
	v_add_co_u32_e32 v5, vcc, s42, v5
	v_addc_co_u32_e32 v6, vcc, v9, v6, vcc
	v_lshlrev_b32_e32 v9, 3, v32
	v_add_co_u32_e32 v5, vcc, v5, v9
	v_addc_co_u32_e32 v6, vcc, 0, v6, vcc
	s_waitcnt lgkmcnt(0)
	global_store_dwordx2 v[5:6], v[7:8], off
.LBB170_93:
	s_or_b64 exec, exec, s[0:1]
	s_add_i32 s7, s7, -1
	s_cmp_eq_u32 s6, s7
	s_cselect_b64 s[0:1], -1, 0
	s_xor_b64 s[2:3], s[12:13], -1
	s_and_b64 s[2:3], s[2:3], s[0:1]
	s_and_saveexec_b64 s[0:1], s[2:3]
	s_cbranch_execz .LBB170_95
; %bb.94:
	ds_read_b64 v[5:6], v21
	v_add_co_u32_e32 v3, vcc, v3, v20
	v_addc_co_u32_e32 v4, vcc, 0, v4, vcc
	s_waitcnt lgkmcnt(0)
	v_add_co_u32_e32 v3, vcc, v3, v5
	v_addc_co_u32_e32 v4, vcc, v4, v6, vcc
	global_store_dwordx2 v21, v[3:4], s[46:47]
.LBB170_95:
	s_or_b64 exec, exec, s[0:1]
	s_mov_b64 s[0:1], 0
.LBB170_96:
	s_and_b64 vcc, exec, s[0:1]
	s_cbranch_vccz .LBB170_131
; %bb.97:
	s_add_u32 s0, s36, s30
	s_addc_u32 s1, s37, 0
	v_mbcnt_hi_u32_b32 v10, -1, v19
	v_and_b32_e32 v11, 0x1c0, v0
	v_mov_b32_e32 v3, s1
	v_add_co_u32_e32 v4, vcc, s0, v10
	v_mul_u32_u24_e32 v9, 6, v11
	v_addc_co_u32_e32 v3, vcc, 0, v3, vcc
	v_add_co_u32_e32 v4, vcc, v4, v9
	v_addc_co_u32_e32 v5, vcc, 0, v3, vcc
	global_load_ubyte v6, v[4:5], off
	s_load_dword s7, s[4:5], 0x50
	s_load_dword s2, s[4:5], 0x5c
	global_load_ubyte v8, v[4:5], off offset:64
	global_load_ubyte v14, v[4:5], off offset:128
	global_load_ubyte v20, v[4:5], off offset:192
	global_load_ubyte v23, v[4:5], off offset:256
	global_load_ubyte v3, v[4:5], off offset:320
	v_mov_b32_e32 v12, 0
	v_mul_u32_u24_e32 v7, 20, v0
	s_mov_b32 s31, 0
	s_waitcnt vmcnt(5)
	v_and_b32_e32 v4, 1, v6
	v_cmp_eq_u32_e32 vcc, 1, v4
	s_xor_b64 s[0:1], vcc, -1
	s_add_u32 s3, s4, 0x50
	s_addc_u32 s4, s5, 0
	s_waitcnt lgkmcnt(0)
	s_lshr_b32 s5, s2, 16
	s_cmp_lt_u32 s6, s7
	s_cselect_b32 s2, 12, 18
	s_add_u32 s2, s3, s2
	s_addc_u32 s3, s4, 0
	global_load_ushort v4, v12, s[2:3]
	v_cndmask_b32_e64 v5, 0, 1, s[0:1]
	s_lshl_b32 s0, -1, s49
	v_lshrrev_b32_e32 v6, s48, v5
	s_not_b32 s12, s0
	ds_write2_b32 v7, v12, v12 offset0:8 offset1:9
	ds_write2_b32 v7, v12, v12 offset0:10 offset1:11
	ds_write_b32 v7, v12 offset:48
	v_mad_u32_u24 v12, v2, s5, v1
	v_and_b32_e32 v1, s12, v6
	v_mul_u32_u24_e32 v15, 36, v1
	v_cmp_ne_u32_e32 vcc, 0, v1
	v_add_co_u32_e64 v1, s[0:1], -1, v1
	v_xor_b32_e32 v1, vcc_lo, v1
	v_and_b32_e32 v1, exec_lo, v1
	v_addc_co_u32_e64 v2, s[0:1], 0, -1, s[0:1]
	v_xor_b32_e32 v2, vcc_hi, v2
	v_and_b32_e32 v2, exec_hi, v2
	v_mbcnt_lo_u32_b32 v6, v1, 0
	v_cmp_ne_u64_e32 vcc, 0, v[1:2]
	v_mbcnt_hi_u32_b32 v6, v2, v6
	s_waitcnt vmcnt(0) lgkmcnt(0)
	s_barrier
	; wave barrier
	v_mad_u64_u32 v[12:13], s[0:1], v12, v4, v[0:1]
	v_cmp_eq_u32_e64 s[0:1], 0, v6
	s_and_b64 s[2:3], vcc, s[0:1]
	v_lshrrev_b32_e32 v4, 4, v12
	v_and_b32_e32 v4, 0xffffffc, v4
	v_add_u32_e32 v15, v4, v15
	s_and_saveexec_b64 s[0:1], s[2:3]
; %bb.98:
	v_bcnt_u32_b32 v1, v1, 0
	v_bcnt_u32_b32 v1, v2, v1
	ds_write_b32 v15, v1 offset:32
; %bb.99:
	s_or_b64 exec, exec, s[0:1]
	v_and_b32_e32 v1, 1, v8
	v_cmp_eq_u32_e32 vcc, 1, v1
	s_xor_b64 s[0:1], vcc, -1
	v_cndmask_b32_e64 v8, 0, 1, s[0:1]
	v_lshrrev_b32_e32 v1, s48, v8
	v_and_b32_e32 v1, s12, v1
	v_mul_u32_u24_e32 v16, 36, v1
	v_mad_u32_u24 v2, v1, 36, v4
	v_cmp_ne_u32_e32 vcc, 0, v1
	v_add_co_u32_e64 v1, s[0:1], -1, v1
	; wave barrier
	ds_read_b32 v12, v2 offset:32
	v_addc_co_u32_e64 v2, s[0:1], 0, -1, s[0:1]
	v_xor_b32_e32 v1, vcc_lo, v1
	v_xor_b32_e32 v2, vcc_hi, v2
	v_and_b32_e32 v1, exec_lo, v1
	v_and_b32_e32 v2, exec_hi, v2
	v_mbcnt_lo_u32_b32 v13, v1, 0
	v_mbcnt_hi_u32_b32 v13, v2, v13
	v_cmp_ne_u64_e32 vcc, 0, v[1:2]
	v_cmp_eq_u32_e64 s[0:1], 0, v13
	s_and_b64 s[2:3], vcc, s[0:1]
	v_add_u32_e32 v18, v4, v16
	; wave barrier
	s_and_saveexec_b64 s[0:1], s[2:3]
	s_cbranch_execz .LBB170_101
; %bb.100:
	v_bcnt_u32_b32 v1, v1, 0
	v_bcnt_u32_b32 v1, v2, v1
	s_waitcnt lgkmcnt(0)
	v_add_u32_e32 v1, v12, v1
	ds_write_b32 v18, v1 offset:32
.LBB170_101:
	s_or_b64 exec, exec, s[0:1]
	v_and_b32_e32 v1, 1, v14
	v_cmp_eq_u32_e32 vcc, 1, v1
	s_xor_b64 s[0:1], vcc, -1
	v_cndmask_b32_e64 v14, 0, 1, s[0:1]
	v_lshrrev_b32_e32 v1, s48, v14
	v_and_b32_e32 v1, s12, v1
	v_mul_u32_u24_e32 v19, 36, v1
	v_mad_u32_u24 v2, v1, 36, v4
	v_cmp_ne_u32_e32 vcc, 0, v1
	v_add_co_u32_e64 v1, s[0:1], -1, v1
	; wave barrier
	ds_read_b32 v16, v2 offset:32
	v_addc_co_u32_e64 v2, s[0:1], 0, -1, s[0:1]
	v_xor_b32_e32 v1, vcc_lo, v1
	v_xor_b32_e32 v2, vcc_hi, v2
	v_and_b32_e32 v1, exec_lo, v1
	v_and_b32_e32 v2, exec_hi, v2
	v_mbcnt_lo_u32_b32 v17, v1, 0
	v_mbcnt_hi_u32_b32 v17, v2, v17
	v_cmp_ne_u64_e32 vcc, 0, v[1:2]
	v_cmp_eq_u32_e64 s[0:1], 0, v17
	s_and_b64 s[2:3], vcc, s[0:1]
	v_add_u32_e32 v19, v4, v19
	; wave barrier
	s_and_saveexec_b64 s[0:1], s[2:3]
	s_cbranch_execz .LBB170_103
; %bb.102:
	v_bcnt_u32_b32 v1, v1, 0
	v_bcnt_u32_b32 v1, v2, v1
	s_waitcnt lgkmcnt(0)
	v_add_u32_e32 v1, v16, v1
	ds_write_b32 v19, v1 offset:32
.LBB170_103:
	;; [unrolled: 34-line block ×5, first 2 shown]
	s_or_b64 exec, exec, s[0:1]
	; wave barrier
	s_waitcnt lgkmcnt(0)
	s_barrier
	ds_read2_b32 v[3:4], v7 offset0:8 offset1:9
	ds_read2_b32 v[1:2], v7 offset0:10 offset1:11
	ds_read_b32 v32, v7 offset:48
	v_min_u32_e32 v11, 0x1c0, v11
	v_or_b32_e32 v11, 63, v11
	s_waitcnt lgkmcnt(1)
	v_add3_u32 v33, v4, v3, v1
	s_waitcnt lgkmcnt(0)
	v_add3_u32 v32, v33, v2, v32
	v_and_b32_e32 v33, 15, v10
	v_cmp_ne_u32_e32 vcc, 0, v33
	v_mov_b32_dpp v34, v32 row_shr:1 row_mask:0xf bank_mask:0xf
	v_cndmask_b32_e32 v34, 0, v34, vcc
	v_add_u32_e32 v32, v34, v32
	v_cmp_lt_u32_e32 vcc, 1, v33
	s_nop 0
	v_mov_b32_dpp v34, v32 row_shr:2 row_mask:0xf bank_mask:0xf
	v_cndmask_b32_e32 v34, 0, v34, vcc
	v_add_u32_e32 v32, v32, v34
	v_cmp_lt_u32_e32 vcc, 3, v33
	s_nop 0
	;; [unrolled: 5-line block ×3, first 2 shown]
	v_mov_b32_dpp v34, v32 row_shr:8 row_mask:0xf bank_mask:0xf
	v_cndmask_b32_e32 v33, 0, v34, vcc
	v_add_u32_e32 v32, v32, v33
	v_bfe_i32 v34, v10, 4, 1
	v_cmp_lt_u32_e32 vcc, 31, v10
	v_mov_b32_dpp v33, v32 row_bcast:15 row_mask:0xf bank_mask:0xf
	v_and_b32_e32 v33, v34, v33
	v_add_u32_e32 v32, v32, v33
	s_nop 1
	v_mov_b32_dpp v33, v32 row_bcast:31 row_mask:0xf bank_mask:0xf
	v_cndmask_b32_e32 v33, 0, v33, vcc
	v_add_u32_e32 v32, v32, v33
	v_lshrrev_b32_e32 v33, 6, v0
	v_cmp_eq_u32_e32 vcc, v0, v11
	s_and_saveexec_b64 s[0:1], vcc
; %bb.110:
	v_lshlrev_b32_e32 v11, 2, v33
	ds_write_b32 v11, v32
; %bb.111:
	s_or_b64 exec, exec, s[0:1]
	v_cmp_gt_u32_e32 vcc, 8, v0
	s_waitcnt lgkmcnt(0)
	s_barrier
	s_and_saveexec_b64 s[0:1], vcc
	s_cbranch_execz .LBB170_113
; %bb.112:
	v_lshlrev_b32_e32 v11, 2, v0
	ds_read_b32 v34, v11
	v_and_b32_e32 v35, 7, v10
	v_cmp_ne_u32_e32 vcc, 0, v35
	s_waitcnt lgkmcnt(0)
	v_mov_b32_dpp v36, v34 row_shr:1 row_mask:0xf bank_mask:0xf
	v_cndmask_b32_e32 v36, 0, v36, vcc
	v_add_u32_e32 v34, v36, v34
	v_cmp_lt_u32_e32 vcc, 1, v35
	s_nop 0
	v_mov_b32_dpp v36, v34 row_shr:2 row_mask:0xf bank_mask:0xf
	v_cndmask_b32_e32 v36, 0, v36, vcc
	v_add_u32_e32 v34, v34, v36
	v_cmp_lt_u32_e32 vcc, 3, v35
	s_nop 0
	v_mov_b32_dpp v36, v34 row_shr:4 row_mask:0xf bank_mask:0xf
	v_cndmask_b32_e32 v35, 0, v36, vcc
	v_add_u32_e32 v34, v34, v35
	ds_write_b32 v11, v34
.LBB170_113:
	s_or_b64 exec, exec, s[0:1]
	v_cmp_lt_u32_e32 vcc, 63, v0
	v_mov_b32_e32 v11, 0
	s_waitcnt lgkmcnt(0)
	s_barrier
	s_and_saveexec_b64 s[0:1], vcc
; %bb.114:
	v_lshl_add_u32 v11, v33, 2, -4
	ds_read_b32 v11, v11
; %bb.115:
	s_or_b64 exec, exec, s[0:1]
	v_subrev_co_u32_e32 v33, vcc, 1, v10
	v_and_b32_e32 v34, 64, v10
	v_cmp_lt_i32_e64 s[0:1], v33, v34
	v_cndmask_b32_e64 v33, v33, v10, s[0:1]
	s_waitcnt lgkmcnt(0)
	v_add_u32_e32 v32, v11, v32
	v_lshlrev_b32_e32 v33, 2, v33
	ds_bpermute_b32 v32, v33, v32
	s_movk_i32 s0, 0xff
	s_movk_i32 s2, 0x100
	s_waitcnt lgkmcnt(0)
	v_cndmask_b32_e32 v11, v32, v11, vcc
	v_cmp_ne_u32_e32 vcc, 0, v0
	v_cndmask_b32_e32 v11, 0, v11, vcc
	v_add_u32_e32 v3, v11, v3
	v_add_u32_e32 v4, v3, v4
	;; [unrolled: 1-line block ×4, first 2 shown]
	ds_write2_b32 v7, v11, v3 offset0:8 offset1:9
	ds_write2_b32 v7, v4, v1 offset0:10 offset1:11
	ds_write_b32 v7, v2 offset:48
	s_waitcnt lgkmcnt(0)
	s_barrier
	ds_read_b32 v3, v15 offset:32
	ds_read_b32 v4, v18 offset:32
	;; [unrolled: 1-line block ×6, first 2 shown]
	v_mov_b32_e32 v1, 0
	v_cmp_lt_u32_e32 vcc, s0, v0
	v_mov_b32_e32 v2, 0
	v_cmp_gt_u32_e64 s[0:1], s2, v0
                                        ; implicit-def: $vgpr11
	s_and_saveexec_b64 s[4:5], s[0:1]
	s_cbranch_execz .LBB170_119
; %bb.116:
	v_mul_u32_u24_e32 v1, 36, v0
	ds_read_b32 v1, v1 offset:32
	v_add_u32_e32 v11, 1, v0
	v_cmp_ne_u32_e64 s[2:3], s2, v11
	v_mov_b32_e32 v2, 0xc00
	s_and_saveexec_b64 s[8:9], s[2:3]
; %bb.117:
	v_mul_u32_u24_e32 v2, 36, v11
	ds_read_b32 v2, v2 offset:32
; %bb.118:
	s_or_b64 exec, exec, s[8:9]
	s_waitcnt lgkmcnt(0)
	v_sub_u32_e32 v11, v2, v1
	v_mov_b32_e32 v2, 0
.LBB170_119:
	s_or_b64 exec, exec, s[4:5]
	s_waitcnt lgkmcnt(5)
	v_add_u32_e32 v19, v3, v6
	s_waitcnt lgkmcnt(4)
	v_add3_u32 v18, v13, v12, v4
	s_waitcnt lgkmcnt(3)
	v_add3_u32 v17, v17, v16, v7
	;; [unrolled: 2-line block ×5, first 2 shown]
	v_mov_b32_e32 v4, 0
	v_lshlrev_b32_e32 v12, 3, v0
	s_barrier
	ds_write_b8 v19, v5 offset:2048
	ds_write_b8 v18, v8 offset:2048
	;; [unrolled: 1-line block ×6, first 2 shown]
	s_waitcnt lgkmcnt(0)
	s_barrier
	s_and_saveexec_b64 s[2:3], s[0:1]
	s_cbranch_execz .LBB170_129
; %bb.120:
	v_lshl_add_u32 v3, s6, 8, v0
	v_lshlrev_b64 v[5:6], 2, v[3:4]
	v_mov_b32_e32 v14, s35
	v_add_co_u32_e64 v5, s[0:1], s34, v5
	v_addc_co_u32_e64 v6, s[0:1], v14, v6, s[0:1]
	v_or_b32_e32 v3, 2.0, v11
	s_mov_b64 s[4:5], 0
	s_brev_b32 s13, -4
	s_mov_b32 s14, s6
	v_mov_b32_e32 v20, 0
	global_store_dword v[5:6], v3, off
                                        ; implicit-def: $sgpr0_sgpr1
	s_branch .LBB170_123
.LBB170_121:                            ;   in Loop: Header=BB170_123 Depth=1
	s_or_b64 exec, exec, s[10:11]
.LBB170_122:                            ;   in Loop: Header=BB170_123 Depth=1
	s_or_b64 exec, exec, s[8:9]
	v_and_b32_e32 v7, 0x3fffffff, v3
	v_add_u32_e32 v20, v7, v20
	v_cmp_gt_i32_e64 s[0:1], -2.0, v3
	s_and_b64 s[8:9], exec, s[0:1]
	s_or_b64 s[4:5], s[8:9], s[4:5]
	s_andn2_b64 exec, exec, s[4:5]
	s_cbranch_execz .LBB170_128
.LBB170_123:                            ; =>This Loop Header: Depth=1
                                        ;     Child Loop BB170_126 Depth 2
	s_or_b64 s[0:1], s[0:1], exec
	s_cmp_eq_u32 s14, 0
	s_cbranch_scc1 .LBB170_127
; %bb.124:                              ;   in Loop: Header=BB170_123 Depth=1
	s_add_i32 s14, s14, -1
	v_lshl_or_b32 v3, s14, 8, v0
	v_lshlrev_b64 v[7:8], 2, v[3:4]
	v_add_co_u32_e64 v7, s[0:1], s34, v7
	v_addc_co_u32_e64 v8, s[0:1], v14, v8, s[0:1]
	global_load_dword v3, v[7:8], off glc
	s_waitcnt vmcnt(0)
	v_cmp_gt_u32_e64 s[0:1], 2.0, v3
	s_and_saveexec_b64 s[8:9], s[0:1]
	s_cbranch_execz .LBB170_122
; %bb.125:                              ;   in Loop: Header=BB170_123 Depth=1
	s_mov_b64 s[10:11], 0
.LBB170_126:                            ;   Parent Loop BB170_123 Depth=1
                                        ; =>  This Inner Loop Header: Depth=2
	global_load_dword v3, v[7:8], off glc
	s_waitcnt vmcnt(0)
	v_cmp_lt_u32_e64 s[0:1], s13, v3
	s_or_b64 s[10:11], s[0:1], s[10:11]
	s_andn2_b64 exec, exec, s[10:11]
	s_cbranch_execnz .LBB170_126
	s_branch .LBB170_121
.LBB170_127:                            ;   in Loop: Header=BB170_123 Depth=1
                                        ; implicit-def: $sgpr14
	s_and_b64 s[8:9], exec, s[0:1]
	s_or_b64 s[4:5], s[8:9], s[4:5]
	s_andn2_b64 exec, exec, s[4:5]
	s_cbranch_execnz .LBB170_123
.LBB170_128:
	s_or_b64 exec, exec, s[4:5]
	v_add_u32_e32 v3, v20, v11
	v_or_b32_e32 v3, 0x80000000, v3
	global_store_dword v[5:6], v3, off
	global_load_dwordx2 v[3:4], v12, s[44:45]
	v_sub_co_u32_e64 v5, s[0:1], v20, v1
	v_subb_co_u32_e64 v6, s[0:1], 0, v2, s[0:1]
	s_waitcnt vmcnt(0)
	v_add_co_u32_e64 v3, s[0:1], v5, v3
	v_addc_co_u32_e64 v4, s[0:1], v6, v4, s[0:1]
	ds_write_b64 v12, v[3:4]
.LBB170_129:
	s_or_b64 exec, exec, s[2:3]
	s_waitcnt lgkmcnt(0)
	s_barrier
	ds_read_u8 v3, v0 offset:2048
	ds_read_u8 v14, v0 offset:2560
	ds_read_u8 v32, v0 offset:3072
	ds_read_u8 v33, v0 offset:3584
	ds_read_u8 v34, v0 offset:4096
	ds_read_u8 v35, v0 offset:4608
	s_waitcnt lgkmcnt(5)
	v_and_b32_e32 v4, 1, v3
	v_xor_b32_e32 v36, 1, v3
	s_waitcnt lgkmcnt(4)
	v_and_b32_e32 v3, 1, v14
	v_lshrrev_b32_e32 v3, s48, v3
	v_and_b32_e32 v3, s12, v3
	v_lshlrev_b32_e32 v38, 3, v3
	s_waitcnt lgkmcnt(3)
	v_and_b32_e32 v3, 1, v32
	v_lshrrev_b32_e32 v3, s48, v3
	v_and_b32_e32 v3, s12, v3
	v_lshrrev_b32_e32 v4, s48, v4
	v_lshlrev_b32_e32 v39, 3, v3
	s_waitcnt lgkmcnt(2)
	v_and_b32_e32 v3, 1, v33
	v_and_b32_e32 v4, s12, v4
	v_lshrrev_b32_e32 v3, s48, v3
	v_lshlrev_b32_e32 v37, 3, v4
	v_and_b32_e32 v3, s12, v3
	v_lshlrev_b32_e32 v40, 3, v3
	ds_read_b64 v[3:4], v37
	ds_read_b64 v[5:6], v38
	;; [unrolled: 1-line block ×4, first 2 shown]
	v_mov_b32_e32 v22, s39
	s_waitcnt lgkmcnt(3)
	v_add_co_u32_e64 v28, s[0:1], s38, v3
	v_addc_co_u32_e64 v29, s[0:1], v22, v4, s[0:1]
	s_lshl_b64 s[0:1], s[30:31], 3
	s_add_u32 s0, s40, s0
	s_addc_u32 s1, s41, s1
	v_lshlrev_b32_e32 v3, 3, v10
	v_mov_b32_e32 v4, s1
	v_add_co_u32_e64 v3, s[0:1], s0, v3
	v_addc_co_u32_e64 v4, s[0:1], 0, v4, s[0:1]
	v_lshlrev_b32_e32 v9, 3, v9
	v_add_co_u32_e64 v3, s[0:1], v3, v9
	v_addc_co_u32_e64 v4, s[0:1], 0, v4, s[0:1]
	global_load_dwordx2 v[9:10], v[3:4], off
	global_load_dwordx2 v[22:23], v[3:4], off offset:512
	global_load_dwordx2 v[24:25], v[3:4], off offset:1024
	;; [unrolled: 1-line block ×4, first 2 shown]
	v_add_co_u32_e64 v28, s[0:1], v28, v0
	global_load_dwordx2 v[3:4], v[3:4], off offset:2560
	v_addc_co_u32_e64 v29, s[0:1], 0, v29, s[0:1]
	global_store_byte v[28:29], v36, off
	v_mov_b32_e32 v28, s39
	s_waitcnt lgkmcnt(2)
	v_add_co_u32_e64 v5, s[0:1], s38, v5
	v_addc_co_u32_e64 v6, s[0:1], v28, v6, s[0:1]
	v_add_co_u32_e64 v5, s[0:1], v5, v0
	v_xor_b32_e32 v14, 1, v14
	v_addc_co_u32_e64 v6, s[0:1], 0, v6, s[0:1]
	global_store_byte v[5:6], v14, off offset:512
	v_mov_b32_e32 v5, s39
	s_waitcnt lgkmcnt(1)
	v_add_co_u32_e64 v6, s[0:1], s38, v7
	v_addc_co_u32_e64 v7, s[0:1], v5, v8, s[0:1]
	v_add_co_u32_e64 v5, s[0:1], v6, v0
	v_xor_b32_e32 v14, 1, v32
	v_addc_co_u32_e64 v6, s[0:1], 0, v7, s[0:1]
	global_store_byte v[5:6], v14, off offset:1024
	;; [unrolled: 8-line block ×3, first 2 shown]
	v_and_b32_e32 v5, 1, v34
	v_lshrrev_b32_e32 v5, s48, v5
	v_and_b32_e32 v5, s12, v5
	v_lshlrev_b32_e32 v20, 3, v5
	ds_read_b64 v[5:6], v20
	v_and_b32_e32 v7, 1, v35
	v_lshrrev_b32_e32 v7, s48, v7
	v_and_b32_e32 v7, s12, v7
	v_lshlrev_b32_e32 v28, 3, v7
	ds_read_b64 v[7:8], v28
	v_mov_b32_e32 v21, s39
	s_waitcnt lgkmcnt(1)
	v_add_co_u32_e64 v5, s[0:1], s38, v5
	v_addc_co_u32_e64 v6, s[0:1], v21, v6, s[0:1]
	v_add_co_u32_e64 v5, s[0:1], v5, v0
	v_xor_b32_e32 v14, 1, v34
	v_addc_co_u32_e64 v6, s[0:1], 0, v6, s[0:1]
	global_store_byte v[5:6], v14, off offset:2048
	v_mov_b32_e32 v5, s39
	s_waitcnt lgkmcnt(0)
	v_add_co_u32_e64 v6, s[0:1], s38, v7
	v_addc_co_u32_e64 v7, s[0:1], v5, v8, s[0:1]
	v_add_co_u32_e64 v5, s[0:1], v6, v0
	v_xor_b32_e32 v14, 1, v35
	v_addc_co_u32_e64 v6, s[0:1], 0, v7, s[0:1]
	global_store_byte v[5:6], v14, off offset:2560
	v_lshlrev_b32_e32 v5, 3, v19
	s_waitcnt vmcnt(0)
	s_barrier
	ds_write_b64 v5, v[9:10] offset:2048
	v_lshlrev_b32_e32 v5, 3, v18
	ds_write_b64 v5, v[22:23] offset:2048
	v_lshlrev_b32_e32 v5, 3, v17
	;; [unrolled: 2-line block ×5, first 2 shown]
	ds_write_b64 v5, v[3:4] offset:2048
	s_waitcnt lgkmcnt(0)
	s_barrier
	v_mad_u32_u24 v0, v0, 7, v0
	ds_read_b64 v[7:8], v37
	ds_read2st64_b64 v[3:6], v0 offset0:4 offset1:12
	ds_read_b64 v[9:10], v38
	ds_read_b64 v[13:14], v39
	;; [unrolled: 1-line block ×3, first 2 shown]
	s_waitcnt lgkmcnt(4)
	v_lshlrev_b64 v[7:8], 3, v[7:8]
	v_mov_b32_e32 v17, s43
	v_add_co_u32_e64 v7, s[0:1], s42, v7
	v_addc_co_u32_e64 v8, s[0:1], v17, v8, s[0:1]
	v_add_co_u32_e64 v7, s[0:1], v7, v12
	v_addc_co_u32_e64 v8, s[0:1], 0, v8, s[0:1]
	s_waitcnt lgkmcnt(3)
	global_store_dwordx2 v[7:8], v[3:4], off
	s_waitcnt lgkmcnt(2)
	v_lshlrev_b64 v[3:4], 3, v[9:10]
	v_mov_b32_e32 v7, s43
	v_add_co_u32_e64 v3, s[0:1], s42, v3
	v_addc_co_u32_e64 v4, s[0:1], v7, v4, s[0:1]
	v_or_b32_e32 v7, 0x1000, v12
	v_add_co_u32_e64 v3, s[0:1], v3, v7
	v_addc_co_u32_e64 v4, s[0:1], 0, v4, s[0:1]
	s_waitcnt lgkmcnt(1)
	v_lshlrev_b64 v[7:8], 3, v[13:14]
	global_store_dwordx2 v[3:4], v[5:6], off
	ds_read2st64_b64 v[3:6], v0 offset0:20 offset1:28
	v_mov_b32_e32 v9, s43
	v_add_co_u32_e64 v7, s[0:1], s42, v7
	v_addc_co_u32_e64 v8, s[0:1], v9, v8, s[0:1]
	v_or_b32_e32 v9, 0x2000, v12
	v_add_co_u32_e64 v7, s[0:1], v7, v9
	v_addc_co_u32_e64 v8, s[0:1], 0, v8, s[0:1]
	s_waitcnt lgkmcnt(0)
	global_store_dwordx2 v[7:8], v[3:4], off
	v_lshlrev_b64 v[3:4], 3, v[15:16]
	v_mov_b32_e32 v7, s43
	v_add_co_u32_e64 v3, s[0:1], s42, v3
	v_addc_co_u32_e64 v4, s[0:1], v7, v4, s[0:1]
	ds_read_b64 v[7:8], v20
	v_or_b32_e32 v9, 0x3000, v12
	v_add_co_u32_e64 v3, s[0:1], v3, v9
	v_addc_co_u32_e64 v4, s[0:1], 0, v4, s[0:1]
	global_store_dwordx2 v[3:4], v[5:6], off
	s_waitcnt lgkmcnt(0)
	v_lshlrev_b64 v[7:8], 3, v[7:8]
	ds_read2st64_b64 v[3:6], v0 offset0:36 offset1:44
	ds_read_b64 v[9:10], v28
	v_mov_b32_e32 v0, s43
	v_add_co_u32_e64 v7, s[0:1], s42, v7
	v_addc_co_u32_e64 v0, s[0:1], v0, v8, s[0:1]
	v_or_b32_e32 v8, 0x4000, v12
	v_add_co_u32_e64 v7, s[0:1], v7, v8
	v_addc_co_u32_e64 v8, s[0:1], 0, v0, s[0:1]
	s_waitcnt lgkmcnt(1)
	global_store_dwordx2 v[7:8], v[3:4], off
	s_waitcnt lgkmcnt(0)
	v_lshlrev_b64 v[3:4], 3, v[9:10]
	v_mov_b32_e32 v0, s43
	v_add_co_u32_e64 v3, s[0:1], s42, v3
	v_addc_co_u32_e64 v0, s[0:1], v0, v4, s[0:1]
	v_or_b32_e32 v4, 0x5000, v12
	v_add_co_u32_e64 v3, s[0:1], v3, v4
	s_add_i32 s7, s7, -1
	v_addc_co_u32_e64 v4, s[0:1], 0, v0, s[0:1]
	s_cmp_eq_u32 s6, s7
	s_cselect_b64 s[0:1], -1, 0
	s_xor_b64 s[2:3], vcc, -1
	s_and_b64 s[0:1], s[2:3], s[0:1]
	global_store_dwordx2 v[3:4], v[5:6], off
	s_and_saveexec_b64 s[2:3], s[0:1]
	s_cbranch_execz .LBB170_131
; %bb.130:
	ds_read_b64 v[3:4], v12
	v_add_co_u32_e32 v0, vcc, v1, v11
	v_addc_co_u32_e32 v1, vcc, 0, v2, vcc
	s_waitcnt lgkmcnt(0)
	v_add_co_u32_e32 v0, vcc, v0, v3
	v_addc_co_u32_e32 v1, vcc, v1, v4, vcc
	global_store_dwordx2 v12, v[0:1], s[46:47]
.LBB170_131:
	s_endpgm
	.section	.rodata,"a",@progbits
	.p2align	6, 0x0
	.amdhsa_kernel _ZN7rocprim17ROCPRIM_304000_NS6detail25onesweep_iteration_kernelINS1_34wrapped_radix_sort_onesweep_configINS0_14default_configEbN2at4cuda3cub6detail10OpaqueTypeILi8EEEEELb1EPKbPbPKSA_PSA_mNS0_19identity_decomposerEEEvT1_T2_T3_T4_jPT5_SO_PNS1_23onesweep_lookback_stateET6_jjj
		.amdhsa_group_segment_fixed_size 26624
		.amdhsa_private_segment_fixed_size 0
		.amdhsa_kernarg_size 336
		.amdhsa_user_sgpr_count 6
		.amdhsa_user_sgpr_private_segment_buffer 1
		.amdhsa_user_sgpr_dispatch_ptr 0
		.amdhsa_user_sgpr_queue_ptr 0
		.amdhsa_user_sgpr_kernarg_segment_ptr 1
		.amdhsa_user_sgpr_dispatch_id 0
		.amdhsa_user_sgpr_flat_scratch_init 0
		.amdhsa_user_sgpr_private_segment_size 0
		.amdhsa_uses_dynamic_stack 0
		.amdhsa_system_sgpr_private_segment_wavefront_offset 0
		.amdhsa_system_sgpr_workgroup_id_x 1
		.amdhsa_system_sgpr_workgroup_id_y 0
		.amdhsa_system_sgpr_workgroup_id_z 0
		.amdhsa_system_sgpr_workgroup_info 0
		.amdhsa_system_vgpr_workitem_id 2
		.amdhsa_next_free_vgpr 49
		.amdhsa_next_free_sgpr 98
		.amdhsa_reserve_vcc 1
		.amdhsa_reserve_flat_scratch 0
		.amdhsa_float_round_mode_32 0
		.amdhsa_float_round_mode_16_64 0
		.amdhsa_float_denorm_mode_32 3
		.amdhsa_float_denorm_mode_16_64 3
		.amdhsa_dx10_clamp 1
		.amdhsa_ieee_mode 1
		.amdhsa_fp16_overflow 0
		.amdhsa_exception_fp_ieee_invalid_op 0
		.amdhsa_exception_fp_denorm_src 0
		.amdhsa_exception_fp_ieee_div_zero 0
		.amdhsa_exception_fp_ieee_overflow 0
		.amdhsa_exception_fp_ieee_underflow 0
		.amdhsa_exception_fp_ieee_inexact 0
		.amdhsa_exception_int_div_zero 0
	.end_amdhsa_kernel
	.section	.text._ZN7rocprim17ROCPRIM_304000_NS6detail25onesweep_iteration_kernelINS1_34wrapped_radix_sort_onesweep_configINS0_14default_configEbN2at4cuda3cub6detail10OpaqueTypeILi8EEEEELb1EPKbPbPKSA_PSA_mNS0_19identity_decomposerEEEvT1_T2_T3_T4_jPT5_SO_PNS1_23onesweep_lookback_stateET6_jjj,"axG",@progbits,_ZN7rocprim17ROCPRIM_304000_NS6detail25onesweep_iteration_kernelINS1_34wrapped_radix_sort_onesweep_configINS0_14default_configEbN2at4cuda3cub6detail10OpaqueTypeILi8EEEEELb1EPKbPbPKSA_PSA_mNS0_19identity_decomposerEEEvT1_T2_T3_T4_jPT5_SO_PNS1_23onesweep_lookback_stateET6_jjj,comdat
.Lfunc_end170:
	.size	_ZN7rocprim17ROCPRIM_304000_NS6detail25onesweep_iteration_kernelINS1_34wrapped_radix_sort_onesweep_configINS0_14default_configEbN2at4cuda3cub6detail10OpaqueTypeILi8EEEEELb1EPKbPbPKSA_PSA_mNS0_19identity_decomposerEEEvT1_T2_T3_T4_jPT5_SO_PNS1_23onesweep_lookback_stateET6_jjj, .Lfunc_end170-_ZN7rocprim17ROCPRIM_304000_NS6detail25onesweep_iteration_kernelINS1_34wrapped_radix_sort_onesweep_configINS0_14default_configEbN2at4cuda3cub6detail10OpaqueTypeILi8EEEEELb1EPKbPbPKSA_PSA_mNS0_19identity_decomposerEEEvT1_T2_T3_T4_jPT5_SO_PNS1_23onesweep_lookback_stateET6_jjj
                                        ; -- End function
	.set _ZN7rocprim17ROCPRIM_304000_NS6detail25onesweep_iteration_kernelINS1_34wrapped_radix_sort_onesweep_configINS0_14default_configEbN2at4cuda3cub6detail10OpaqueTypeILi8EEEEELb1EPKbPbPKSA_PSA_mNS0_19identity_decomposerEEEvT1_T2_T3_T4_jPT5_SO_PNS1_23onesweep_lookback_stateET6_jjj.num_vgpr, 41
	.set _ZN7rocprim17ROCPRIM_304000_NS6detail25onesweep_iteration_kernelINS1_34wrapped_radix_sort_onesweep_configINS0_14default_configEbN2at4cuda3cub6detail10OpaqueTypeILi8EEEEELb1EPKbPbPKSA_PSA_mNS0_19identity_decomposerEEEvT1_T2_T3_T4_jPT5_SO_PNS1_23onesweep_lookback_stateET6_jjj.num_agpr, 0
	.set _ZN7rocprim17ROCPRIM_304000_NS6detail25onesweep_iteration_kernelINS1_34wrapped_radix_sort_onesweep_configINS0_14default_configEbN2at4cuda3cub6detail10OpaqueTypeILi8EEEEELb1EPKbPbPKSA_PSA_mNS0_19identity_decomposerEEEvT1_T2_T3_T4_jPT5_SO_PNS1_23onesweep_lookback_stateET6_jjj.numbered_sgpr, 53
	.set _ZN7rocprim17ROCPRIM_304000_NS6detail25onesweep_iteration_kernelINS1_34wrapped_radix_sort_onesweep_configINS0_14default_configEbN2at4cuda3cub6detail10OpaqueTypeILi8EEEEELb1EPKbPbPKSA_PSA_mNS0_19identity_decomposerEEEvT1_T2_T3_T4_jPT5_SO_PNS1_23onesweep_lookback_stateET6_jjj.num_named_barrier, 0
	.set _ZN7rocprim17ROCPRIM_304000_NS6detail25onesweep_iteration_kernelINS1_34wrapped_radix_sort_onesweep_configINS0_14default_configEbN2at4cuda3cub6detail10OpaqueTypeILi8EEEEELb1EPKbPbPKSA_PSA_mNS0_19identity_decomposerEEEvT1_T2_T3_T4_jPT5_SO_PNS1_23onesweep_lookback_stateET6_jjj.private_seg_size, 0
	.set _ZN7rocprim17ROCPRIM_304000_NS6detail25onesweep_iteration_kernelINS1_34wrapped_radix_sort_onesweep_configINS0_14default_configEbN2at4cuda3cub6detail10OpaqueTypeILi8EEEEELb1EPKbPbPKSA_PSA_mNS0_19identity_decomposerEEEvT1_T2_T3_T4_jPT5_SO_PNS1_23onesweep_lookback_stateET6_jjj.uses_vcc, 1
	.set _ZN7rocprim17ROCPRIM_304000_NS6detail25onesweep_iteration_kernelINS1_34wrapped_radix_sort_onesweep_configINS0_14default_configEbN2at4cuda3cub6detail10OpaqueTypeILi8EEEEELb1EPKbPbPKSA_PSA_mNS0_19identity_decomposerEEEvT1_T2_T3_T4_jPT5_SO_PNS1_23onesweep_lookback_stateET6_jjj.uses_flat_scratch, 0
	.set _ZN7rocprim17ROCPRIM_304000_NS6detail25onesweep_iteration_kernelINS1_34wrapped_radix_sort_onesweep_configINS0_14default_configEbN2at4cuda3cub6detail10OpaqueTypeILi8EEEEELb1EPKbPbPKSA_PSA_mNS0_19identity_decomposerEEEvT1_T2_T3_T4_jPT5_SO_PNS1_23onesweep_lookback_stateET6_jjj.has_dyn_sized_stack, 0
	.set _ZN7rocprim17ROCPRIM_304000_NS6detail25onesweep_iteration_kernelINS1_34wrapped_radix_sort_onesweep_configINS0_14default_configEbN2at4cuda3cub6detail10OpaqueTypeILi8EEEEELb1EPKbPbPKSA_PSA_mNS0_19identity_decomposerEEEvT1_T2_T3_T4_jPT5_SO_PNS1_23onesweep_lookback_stateET6_jjj.has_recursion, 0
	.set _ZN7rocprim17ROCPRIM_304000_NS6detail25onesweep_iteration_kernelINS1_34wrapped_radix_sort_onesweep_configINS0_14default_configEbN2at4cuda3cub6detail10OpaqueTypeILi8EEEEELb1EPKbPbPKSA_PSA_mNS0_19identity_decomposerEEEvT1_T2_T3_T4_jPT5_SO_PNS1_23onesweep_lookback_stateET6_jjj.has_indirect_call, 0
	.section	.AMDGPU.csdata,"",@progbits
; Kernel info:
; codeLenInByte = 8212
; TotalNumSgprs: 57
; NumVgprs: 41
; ScratchSize: 0
; MemoryBound: 0
; FloatMode: 240
; IeeeMode: 1
; LDSByteSize: 26624 bytes/workgroup (compile time only)
; SGPRBlocks: 12
; VGPRBlocks: 12
; NumSGPRsForWavesPerEU: 102
; NumVGPRsForWavesPerEU: 49
; Occupancy: 4
; WaveLimiterHint : 1
; COMPUTE_PGM_RSRC2:SCRATCH_EN: 0
; COMPUTE_PGM_RSRC2:USER_SGPR: 6
; COMPUTE_PGM_RSRC2:TRAP_HANDLER: 0
; COMPUTE_PGM_RSRC2:TGID_X_EN: 1
; COMPUTE_PGM_RSRC2:TGID_Y_EN: 0
; COMPUTE_PGM_RSRC2:TGID_Z_EN: 0
; COMPUTE_PGM_RSRC2:TIDIG_COMP_CNT: 2
	.section	.text._ZN7rocprim17ROCPRIM_304000_NS6detail25onesweep_iteration_kernelINS1_34wrapped_radix_sort_onesweep_configINS0_14default_configEbN2at4cuda3cub6detail10OpaqueTypeILi8EEEEELb1EPbSC_PSA_SD_mNS0_19identity_decomposerEEEvT1_T2_T3_T4_jPT5_SK_PNS1_23onesweep_lookback_stateET6_jjj,"axG",@progbits,_ZN7rocprim17ROCPRIM_304000_NS6detail25onesweep_iteration_kernelINS1_34wrapped_radix_sort_onesweep_configINS0_14default_configEbN2at4cuda3cub6detail10OpaqueTypeILi8EEEEELb1EPbSC_PSA_SD_mNS0_19identity_decomposerEEEvT1_T2_T3_T4_jPT5_SK_PNS1_23onesweep_lookback_stateET6_jjj,comdat
	.protected	_ZN7rocprim17ROCPRIM_304000_NS6detail25onesweep_iteration_kernelINS1_34wrapped_radix_sort_onesweep_configINS0_14default_configEbN2at4cuda3cub6detail10OpaqueTypeILi8EEEEELb1EPbSC_PSA_SD_mNS0_19identity_decomposerEEEvT1_T2_T3_T4_jPT5_SK_PNS1_23onesweep_lookback_stateET6_jjj ; -- Begin function _ZN7rocprim17ROCPRIM_304000_NS6detail25onesweep_iteration_kernelINS1_34wrapped_radix_sort_onesweep_configINS0_14default_configEbN2at4cuda3cub6detail10OpaqueTypeILi8EEEEELb1EPbSC_PSA_SD_mNS0_19identity_decomposerEEEvT1_T2_T3_T4_jPT5_SK_PNS1_23onesweep_lookback_stateET6_jjj
	.globl	_ZN7rocprim17ROCPRIM_304000_NS6detail25onesweep_iteration_kernelINS1_34wrapped_radix_sort_onesweep_configINS0_14default_configEbN2at4cuda3cub6detail10OpaqueTypeILi8EEEEELb1EPbSC_PSA_SD_mNS0_19identity_decomposerEEEvT1_T2_T3_T4_jPT5_SK_PNS1_23onesweep_lookback_stateET6_jjj
	.p2align	8
	.type	_ZN7rocprim17ROCPRIM_304000_NS6detail25onesweep_iteration_kernelINS1_34wrapped_radix_sort_onesweep_configINS0_14default_configEbN2at4cuda3cub6detail10OpaqueTypeILi8EEEEELb1EPbSC_PSA_SD_mNS0_19identity_decomposerEEEvT1_T2_T3_T4_jPT5_SK_PNS1_23onesweep_lookback_stateET6_jjj,@function
_ZN7rocprim17ROCPRIM_304000_NS6detail25onesweep_iteration_kernelINS1_34wrapped_radix_sort_onesweep_configINS0_14default_configEbN2at4cuda3cub6detail10OpaqueTypeILi8EEEEELb1EPbSC_PSA_SD_mNS0_19identity_decomposerEEEvT1_T2_T3_T4_jPT5_SK_PNS1_23onesweep_lookback_stateET6_jjj: ; @_ZN7rocprim17ROCPRIM_304000_NS6detail25onesweep_iteration_kernelINS1_34wrapped_radix_sort_onesweep_configINS0_14default_configEbN2at4cuda3cub6detail10OpaqueTypeILi8EEEEELb1EPbSC_PSA_SD_mNS0_19identity_decomposerEEEvT1_T2_T3_T4_jPT5_SK_PNS1_23onesweep_lookback_stateET6_jjj
; %bb.0:
	s_load_dwordx4 s[48:51], s[4:5], 0x44
	s_load_dwordx8 s[36:43], s[4:5], 0x0
	s_load_dwordx4 s[44:47], s[4:5], 0x28
	s_load_dwordx2 s[34:35], s[4:5], 0x38
	s_mov_b64 s[0:1], -1
	s_waitcnt lgkmcnt(0)
	s_cmp_ge_u32 s6, s50
	s_mul_i32 s30, s6, 0xc00
	v_mbcnt_lo_u32_b32 v19, -1, 0
	s_cbranch_scc0 .LBB171_96
; %bb.1:
	s_load_dword s0, s[4:5], 0x20
	s_mul_i32 s33, s50, 0xfffff400
	v_mbcnt_hi_u32_b32 v12, -1, v19
	v_and_b32_e32 v7, 0x1c0, v0
	v_mul_u32_u24_e32 v11, 6, v7
	s_waitcnt lgkmcnt(0)
	s_add_i32 s33, s33, s0
	s_add_u32 s0, s36, s30
	s_addc_u32 s1, s37, 0
	v_mov_b32_e32 v3, s1
	v_add_co_u32_e32 v4, vcc, s0, v12
	v_addc_co_u32_e32 v6, vcc, 0, v3, vcc
	v_add_co_u32_e32 v3, vcc, v4, v11
	v_addc_co_u32_e32 v4, vcc, 0, v6, vcc
	v_or_b32_e32 v14, v12, v11
	s_mov_b32 s31, 0
	v_mov_b32_e32 v5, 0
	v_cmp_gt_u32_e32 vcc, s33, v14
	v_mov_b32_e32 v10, 0
	v_mov_b32_e32 v6, 0
	;; [unrolled: 1-line block ×4, first 2 shown]
	s_and_saveexec_b64 s[0:1], vcc
	s_cbranch_execz .LBB171_3
; %bb.2:
	global_load_ubyte v10, v[3:4], off
	v_mov_b32_e32 v6, 0
	v_mov_b32_e32 v8, 0
	;; [unrolled: 1-line block ×3, first 2 shown]
.LBB171_3:
	s_or_b64 exec, exec, s[0:1]
	v_add_u32_e32 v13, 64, v14
	v_cmp_gt_u32_e64 s[0:1], s33, v13
	v_mov_b32_e32 v13, v5
	s_and_saveexec_b64 s[2:3], s[0:1]
	s_cbranch_execz .LBB171_5
; %bb.4:
	global_load_ubyte v13, v[3:4], off offset:64
.LBB171_5:
	s_or_b64 exec, exec, s[2:3]
	v_add_u32_e32 v15, 0x80, v14
	v_cmp_gt_u32_e64 s[2:3], s33, v15
	s_and_saveexec_b64 s[8:9], s[2:3]
	s_cbranch_execz .LBB171_7
; %bb.6:
	global_load_ubyte v5, v[3:4], off offset:128
.LBB171_7:
	s_or_b64 exec, exec, s[8:9]
	v_add_u32_e32 v15, 0xc0, v14
	v_cmp_gt_u32_e64 s[26:27], s33, v15
	;; [unrolled: 8-line block ×4, first 2 shown]
	s_and_saveexec_b64 s[12:13], s[10:11]
	s_cbranch_execz .LBB171_13
; %bb.12:
	global_load_ubyte v9, v[3:4], off offset:320
.LBB171_13:
	s_or_b64 exec, exec, s[12:13]
	s_load_dword s7, s[4:5], 0x50
	s_load_dword s14, s[4:5], 0x5c
	s_waitcnt vmcnt(0)
	v_and_b32_e32 v3, 1, v10
	v_cmp_eq_u32_e64 s[12:13], 1, v3
	s_xor_b64 s[22:23], s[12:13], -1
	s_add_u32 s12, s4, 0x50
	s_addc_u32 s13, s5, 0
	s_waitcnt lgkmcnt(0)
	s_lshr_b32 s24, s14, 16
	s_cmp_lt_u32 s6, s7
	s_cselect_b32 s14, 12, 18
	s_add_u32 s12, s12, s14
	s_addc_u32 s13, s13, 0
	v_mov_b32_e32 v3, 0
	global_load_ushort v14, v3, s[12:13]
	v_and_b32_e32 v8, 1, v8
	v_mul_u32_u24_e32 v10, 20, v0
	v_cmp_eq_u32_e64 s[14:15], 1, v8
	v_cndmask_b32_e64 v8, 0, 1, s[22:23]
	s_lshl_b32 s22, -1, s49
	ds_write2_b32 v10, v3, v3 offset0:8 offset1:9
	ds_write2_b32 v10, v3, v3 offset0:10 offset1:11
	ds_write_b32 v10, v3 offset:48
	v_lshrrev_b32_e32 v3, s48, v8
	s_not_b32 s52, s22
	v_and_b32_e32 v5, 1, v5
	v_and_b32_e32 v3, s52, v3
	;; [unrolled: 1-line block ×3, first 2 shown]
	v_cmp_eq_u32_e64 s[18:19], 1, v5
	v_mad_u32_u24 v5, v2, s24, v1
	v_mul_u32_u24_e32 v13, 36, v3
	v_cmp_ne_u32_e64 s[22:23], 0, v3
	v_add_co_u32_e64 v3, s[24:25], -1, v3
	v_and_b32_e32 v6, 1, v6
	v_cmp_eq_u32_e64 s[20:21], 1, v4
	v_addc_co_u32_e64 v4, s[24:25], 0, -1, s[24:25]
	v_cmp_eq_u32_e64 s[16:17], 1, v6
	v_xor_b32_e32 v4, s23, v4
	v_xor_b32_e32 v3, s22, v3
	v_and_b32_e32 v9, 1, v9
	v_and_b32_e32 v3, exec_lo, v3
	v_cmp_eq_u32_e64 s[12:13], 1, v9
	v_and_b32_e32 v4, exec_hi, v4
	v_mbcnt_lo_u32_b32 v9, v3, 0
	v_mbcnt_hi_u32_b32 v9, v4, v9
	v_cmp_eq_u32_e64 s[24:25], 0, v9
	s_waitcnt vmcnt(0) lgkmcnt(0)
	s_barrier
	; wave barrier
	v_mad_u64_u32 v[5:6], s[22:23], v5, v14, v[0:1]
	v_cmp_ne_u64_e64 s[22:23], 0, v[3:4]
	v_lshrrev_b32_e32 v5, 4, v5
	v_and_b32_e32 v5, 0xffffffc, v5
	s_and_b64 s[24:25], s[22:23], s[24:25]
	v_add_u32_e32 v17, v5, v13
	s_and_saveexec_b64 s[22:23], s[24:25]
; %bb.14:
	v_bcnt_u32_b32 v3, v3, 0
	v_bcnt_u32_b32 v3, v4, v3
	ds_write_b32 v17, v3 offset:32
; %bb.15:
	s_or_b64 exec, exec, s[22:23]
	s_xor_b64 s[20:21], s[20:21], -1
	v_cndmask_b32_e64 v13, 0, 1, s[20:21]
	v_lshrrev_b32_e32 v3, s48, v13
	v_and_b32_e32 v3, s52, v3
	v_mul_u32_u24_e32 v6, 36, v3
	v_mad_u32_u24 v4, v3, 36, v5
	v_cmp_ne_u32_e64 s[20:21], 0, v3
	v_add_co_u32_e64 v3, s[22:23], -1, v3
	; wave barrier
	ds_read_b32 v14, v4 offset:32
	v_addc_co_u32_e64 v4, s[22:23], 0, -1, s[22:23]
	v_xor_b32_e32 v3, s20, v3
	v_xor_b32_e32 v4, s21, v4
	v_and_b32_e32 v3, exec_lo, v3
	v_and_b32_e32 v4, exec_hi, v4
	v_mbcnt_lo_u32_b32 v15, v3, 0
	v_mbcnt_hi_u32_b32 v15, v4, v15
	v_cmp_ne_u64_e64 s[20:21], 0, v[3:4]
	v_cmp_eq_u32_e64 s[22:23], 0, v15
	s_and_b64 s[22:23], s[20:21], s[22:23]
	v_add_u32_e32 v20, v5, v6
	; wave barrier
	s_and_saveexec_b64 s[20:21], s[22:23]
	s_cbranch_execz .LBB171_17
; %bb.16:
	v_bcnt_u32_b32 v3, v3, 0
	v_bcnt_u32_b32 v3, v4, v3
	s_waitcnt lgkmcnt(0)
	v_add_u32_e32 v3, v14, v3
	ds_write_b32 v20, v3 offset:32
.LBB171_17:
	s_or_b64 exec, exec, s[20:21]
	s_xor_b64 s[18:19], s[18:19], -1
	v_cndmask_b32_e64 v16, 0, 1, s[18:19]
	v_lshrrev_b32_e32 v3, s48, v16
	v_and_b32_e32 v3, s52, v3
	v_mul_u32_u24_e32 v6, 36, v3
	v_mad_u32_u24 v4, v3, 36, v5
	v_cmp_ne_u32_e64 s[18:19], 0, v3
	v_add_co_u32_e64 v3, s[20:21], -1, v3
	; wave barrier
	ds_read_b32 v18, v4 offset:32
	v_addc_co_u32_e64 v4, s[20:21], 0, -1, s[20:21]
	v_xor_b32_e32 v3, s18, v3
	v_xor_b32_e32 v4, s19, v4
	v_and_b32_e32 v3, exec_lo, v3
	v_and_b32_e32 v4, exec_hi, v4
	v_mbcnt_lo_u32_b32 v21, v3, 0
	v_mbcnt_hi_u32_b32 v21, v4, v21
	v_cmp_ne_u64_e64 s[18:19], 0, v[3:4]
	v_cmp_eq_u32_e64 s[20:21], 0, v21
	s_and_b64 s[20:21], s[18:19], s[20:21]
	v_add_u32_e32 v24, v5, v6
	; wave barrier
	s_and_saveexec_b64 s[18:19], s[20:21]
	s_cbranch_execz .LBB171_19
; %bb.18:
	v_bcnt_u32_b32 v3, v3, 0
	v_bcnt_u32_b32 v3, v4, v3
	s_waitcnt lgkmcnt(0)
	v_add_u32_e32 v3, v18, v3
	ds_write_b32 v24, v3 offset:32
.LBB171_19:
	;; [unrolled: 32-line block ×5, first 2 shown]
	s_or_b64 exec, exec, s[12:13]
	; wave barrier
	s_waitcnt lgkmcnt(0)
	s_barrier
	ds_read2_b32 v[5:6], v10 offset0:8 offset1:9
	ds_read2_b32 v[3:4], v10 offset0:10 offset1:11
	ds_read_b32 v35, v10 offset:48
	v_min_u32_e32 v7, 0x1c0, v7
	v_or_b32_e32 v7, 63, v7
	s_waitcnt lgkmcnt(1)
	v_add3_u32 v36, v6, v5, v3
	s_waitcnt lgkmcnt(0)
	v_add3_u32 v35, v36, v4, v35
	v_and_b32_e32 v36, 15, v12
	v_cmp_ne_u32_e64 s[12:13], 0, v36
	v_mov_b32_dpp v37, v35 row_shr:1 row_mask:0xf bank_mask:0xf
	v_cndmask_b32_e64 v37, 0, v37, s[12:13]
	v_add_u32_e32 v35, v37, v35
	v_cmp_lt_u32_e64 s[12:13], 1, v36
	s_nop 0
	v_mov_b32_dpp v37, v35 row_shr:2 row_mask:0xf bank_mask:0xf
	v_cndmask_b32_e64 v37, 0, v37, s[12:13]
	v_add_u32_e32 v35, v35, v37
	v_cmp_lt_u32_e64 s[12:13], 3, v36
	s_nop 0
	;; [unrolled: 5-line block ×3, first 2 shown]
	v_mov_b32_dpp v37, v35 row_shr:8 row_mask:0xf bank_mask:0xf
	v_cndmask_b32_e64 v36, 0, v37, s[12:13]
	v_add_u32_e32 v35, v35, v36
	v_bfe_i32 v37, v12, 4, 1
	v_cmp_lt_u32_e64 s[12:13], 31, v12
	v_mov_b32_dpp v36, v35 row_bcast:15 row_mask:0xf bank_mask:0xf
	v_and_b32_e32 v36, v37, v36
	v_add_u32_e32 v35, v35, v36
	s_nop 1
	v_mov_b32_dpp v36, v35 row_bcast:31 row_mask:0xf bank_mask:0xf
	v_cndmask_b32_e64 v36, 0, v36, s[12:13]
	v_add_u32_e32 v35, v35, v36
	v_lshrrev_b32_e32 v36, 6, v0
	v_cmp_eq_u32_e64 s[12:13], v0, v7
	s_and_saveexec_b64 s[14:15], s[12:13]
; %bb.26:
	v_lshlrev_b32_e32 v7, 2, v36
	ds_write_b32 v7, v35
; %bb.27:
	s_or_b64 exec, exec, s[14:15]
	v_cmp_gt_u32_e64 s[12:13], 8, v0
	s_waitcnt lgkmcnt(0)
	s_barrier
	s_and_saveexec_b64 s[14:15], s[12:13]
	s_cbranch_execz .LBB171_29
; %bb.28:
	v_lshlrev_b32_e32 v7, 2, v0
	ds_read_b32 v37, v7
	v_and_b32_e32 v38, 7, v12
	v_cmp_ne_u32_e64 s[12:13], 0, v38
	s_waitcnt lgkmcnt(0)
	v_mov_b32_dpp v39, v37 row_shr:1 row_mask:0xf bank_mask:0xf
	v_cndmask_b32_e64 v39, 0, v39, s[12:13]
	v_add_u32_e32 v37, v39, v37
	v_cmp_lt_u32_e64 s[12:13], 1, v38
	s_nop 0
	v_mov_b32_dpp v39, v37 row_shr:2 row_mask:0xf bank_mask:0xf
	v_cndmask_b32_e64 v39, 0, v39, s[12:13]
	v_add_u32_e32 v37, v37, v39
	v_cmp_lt_u32_e64 s[12:13], 3, v38
	s_nop 0
	v_mov_b32_dpp v39, v37 row_shr:4 row_mask:0xf bank_mask:0xf
	v_cndmask_b32_e64 v38, 0, v39, s[12:13]
	v_add_u32_e32 v37, v37, v38
	ds_write_b32 v7, v37
.LBB171_29:
	s_or_b64 exec, exec, s[14:15]
	v_cmp_lt_u32_e64 s[12:13], 63, v0
	v_mov_b32_e32 v7, 0
	s_waitcnt lgkmcnt(0)
	s_barrier
	s_and_saveexec_b64 s[14:15], s[12:13]
; %bb.30:
	v_lshl_add_u32 v7, v36, 2, -4
	ds_read_b32 v7, v7
; %bb.31:
	s_or_b64 exec, exec, s[14:15]
	v_subrev_co_u32_e64 v36, s[12:13], 1, v12
	v_and_b32_e32 v37, 64, v12
	v_cmp_lt_i32_e64 s[14:15], v36, v37
	v_cndmask_b32_e64 v36, v36, v12, s[14:15]
	s_waitcnt lgkmcnt(0)
	v_add_u32_e32 v35, v7, v35
	v_lshlrev_b32_e32 v36, 2, v36
	ds_bpermute_b32 v35, v36, v35
	s_movk_i32 s16, 0x100
	v_cmp_gt_u32_e64 s[14:15], s16, v0
	s_waitcnt lgkmcnt(0)
	v_cndmask_b32_e64 v7, v35, v7, s[12:13]
	v_cmp_ne_u32_e64 s[12:13], 0, v0
	v_cndmask_b32_e64 v7, 0, v7, s[12:13]
	v_add_u32_e32 v5, v7, v5
	v_add_u32_e32 v6, v5, v6
	;; [unrolled: 1-line block ×4, first 2 shown]
	ds_write2_b32 v10, v7, v5 offset0:8 offset1:9
	ds_write2_b32 v10, v6, v3 offset0:10 offset1:11
	ds_write_b32 v10, v4 offset:48
	s_waitcnt lgkmcnt(0)
	s_barrier
	ds_read_b32 v5, v17 offset:32
	ds_read_b32 v6, v20 offset:32
	;; [unrolled: 1-line block ×6, first 2 shown]
	s_movk_i32 s12, 0xff
	v_mov_b32_e32 v3, 0
	v_cmp_lt_u32_e64 s[12:13], s12, v0
	v_mov_b32_e32 v4, 0
                                        ; implicit-def: $vgpr20
	s_and_saveexec_b64 s[18:19], s[14:15]
	s_cbranch_execz .LBB171_35
; %bb.32:
	v_mul_u32_u24_e32 v3, 36, v0
	ds_read_b32 v3, v3 offset:32
	v_add_u32_e32 v20, 1, v0
	v_cmp_ne_u32_e64 s[16:17], s16, v20
	v_mov_b32_e32 v4, 0xc00
	s_and_saveexec_b64 s[20:21], s[16:17]
; %bb.33:
	v_mul_u32_u24_e32 v4, 36, v20
	ds_read_b32 v4, v4 offset:32
; %bb.34:
	s_or_b64 exec, exec, s[20:21]
	s_waitcnt lgkmcnt(0)
	v_sub_u32_e32 v20, v4, v3
	v_mov_b32_e32 v4, 0
.LBB171_35:
	s_or_b64 exec, exec, s[18:19]
	s_waitcnt lgkmcnt(5)
	v_add_u32_e32 v27, v5, v9
	s_waitcnt lgkmcnt(4)
	v_add3_u32 v26, v15, v14, v6
	s_waitcnt lgkmcnt(3)
	v_add3_u32 v25, v21, v18, v7
	;; [unrolled: 2-line block ×5, first 2 shown]
	v_mov_b32_e32 v6, 0
	v_lshlrev_b32_e32 v21, 3, v0
	s_barrier
	ds_write_b8 v27, v8 offset:2048
	ds_write_b8 v26, v13 offset:2048
	;; [unrolled: 1-line block ×6, first 2 shown]
	s_waitcnt lgkmcnt(0)
	s_barrier
	s_and_saveexec_b64 s[16:17], s[14:15]
	s_cbranch_execz .LBB171_45
; %bb.36:
	v_lshl_add_u32 v5, s6, 8, v0
	v_lshlrev_b64 v[7:8], 2, v[5:6]
	v_mov_b32_e32 v13, s35
	v_add_co_u32_e64 v7, s[14:15], s34, v7
	v_addc_co_u32_e64 v8, s[14:15], v13, v8, s[14:15]
	v_or_b32_e32 v5, 2.0, v20
	s_mov_b64 s[18:19], 0
	s_brev_b32 s24, -4
	s_mov_b32 s25, s6
	v_mov_b32_e32 v14, 0
	global_store_dword v[7:8], v5, off
                                        ; implicit-def: $sgpr14_sgpr15
	s_branch .LBB171_39
.LBB171_37:                             ;   in Loop: Header=BB171_39 Depth=1
	s_or_b64 exec, exec, s[22:23]
.LBB171_38:                             ;   in Loop: Header=BB171_39 Depth=1
	s_or_b64 exec, exec, s[20:21]
	v_and_b32_e32 v9, 0x3fffffff, v5
	v_add_u32_e32 v14, v9, v14
	v_cmp_gt_i32_e64 s[14:15], -2.0, v5
	s_and_b64 s[20:21], exec, s[14:15]
	s_or_b64 s[18:19], s[20:21], s[18:19]
	s_andn2_b64 exec, exec, s[18:19]
	s_cbranch_execz .LBB171_44
.LBB171_39:                             ; =>This Loop Header: Depth=1
                                        ;     Child Loop BB171_42 Depth 2
	s_or_b64 s[14:15], s[14:15], exec
	s_cmp_eq_u32 s25, 0
	s_cbranch_scc1 .LBB171_43
; %bb.40:                               ;   in Loop: Header=BB171_39 Depth=1
	s_add_i32 s25, s25, -1
	v_lshl_or_b32 v5, s25, 8, v0
	v_lshlrev_b64 v[9:10], 2, v[5:6]
	v_add_co_u32_e64 v9, s[14:15], s34, v9
	v_addc_co_u32_e64 v10, s[14:15], v13, v10, s[14:15]
	global_load_dword v5, v[9:10], off glc
	s_waitcnt vmcnt(0)
	v_cmp_gt_u32_e64 s[14:15], 2.0, v5
	s_and_saveexec_b64 s[20:21], s[14:15]
	s_cbranch_execz .LBB171_38
; %bb.41:                               ;   in Loop: Header=BB171_39 Depth=1
	s_mov_b64 s[22:23], 0
.LBB171_42:                             ;   Parent Loop BB171_39 Depth=1
                                        ; =>  This Inner Loop Header: Depth=2
	global_load_dword v5, v[9:10], off glc
	s_waitcnt vmcnt(0)
	v_cmp_lt_u32_e64 s[14:15], s24, v5
	s_or_b64 s[22:23], s[14:15], s[22:23]
	s_andn2_b64 exec, exec, s[22:23]
	s_cbranch_execnz .LBB171_42
	s_branch .LBB171_37
.LBB171_43:                             ;   in Loop: Header=BB171_39 Depth=1
                                        ; implicit-def: $sgpr25
	s_and_b64 s[20:21], exec, s[14:15]
	s_or_b64 s[18:19], s[20:21], s[18:19]
	s_andn2_b64 exec, exec, s[18:19]
	s_cbranch_execnz .LBB171_39
.LBB171_44:
	s_or_b64 exec, exec, s[18:19]
	v_add_u32_e32 v5, v14, v20
	v_or_b32_e32 v5, 0x80000000, v5
	global_store_dword v[7:8], v5, off
	global_load_dwordx2 v[5:6], v21, s[44:45]
	v_sub_co_u32_e64 v7, s[14:15], v14, v3
	v_subb_co_u32_e64 v8, s[14:15], 0, v4, s[14:15]
	s_waitcnt vmcnt(0)
	v_add_co_u32_e64 v5, s[14:15], v7, v5
	v_addc_co_u32_e64 v6, s[14:15], v8, v6, s[14:15]
	ds_write_b64 v21, v[5:6]
.LBB171_45:
	s_or_b64 exec, exec, s[16:17]
	v_cmp_gt_u32_e64 s[14:15], s33, v0
	s_waitcnt lgkmcnt(0)
	s_barrier
	s_and_saveexec_b64 s[18:19], s[14:15]
	s_cbranch_execz .LBB171_47
; %bb.46:
	ds_read_u8 v7, v0 offset:2048
	v_mov_b32_e32 v8, s39
	s_waitcnt lgkmcnt(0)
	v_and_b32_e32 v5, 1, v7
	v_lshrrev_b32_e32 v5, s48, v5
	v_and_b32_e32 v5, s52, v5
	v_lshlrev_b32_e32 v5, 3, v5
	ds_read_b64 v[5:6], v5
	v_xor_b32_e32 v7, 1, v7
	s_waitcnt lgkmcnt(0)
	v_add_co_u32_e64 v5, s[16:17], s38, v5
	v_addc_co_u32_e64 v6, s[16:17], v8, v6, s[16:17]
	v_add_co_u32_e64 v5, s[16:17], v5, v0
	v_addc_co_u32_e64 v6, s[16:17], 0, v6, s[16:17]
	global_store_byte v[5:6], v7, off
.LBB171_47:
	s_or_b64 exec, exec, s[18:19]
	v_or_b32_e32 v28, 0x200, v0
	v_cmp_gt_u32_e64 s[16:17], s33, v28
	s_and_saveexec_b64 s[20:21], s[16:17]
	s_cbranch_execz .LBB171_49
; %bb.48:
	ds_read_u8 v7, v0 offset:2560
	v_mov_b32_e32 v8, s39
	s_waitcnt lgkmcnt(0)
	v_and_b32_e32 v5, 1, v7
	v_lshrrev_b32_e32 v5, s48, v5
	v_and_b32_e32 v5, s52, v5
	v_lshlrev_b32_e32 v5, 3, v5
	ds_read_b64 v[5:6], v5
	v_xor_b32_e32 v7, 1, v7
	s_waitcnt lgkmcnt(0)
	v_add_co_u32_e64 v5, s[18:19], s38, v5
	v_addc_co_u32_e64 v6, s[18:19], v8, v6, s[18:19]
	v_add_co_u32_e64 v5, s[18:19], v5, v0
	v_addc_co_u32_e64 v6, s[18:19], 0, v6, s[18:19]
	global_store_byte v[5:6], v7, off offset:512
.LBB171_49:
	s_or_b64 exec, exec, s[20:21]
	v_or_b32_e32 v29, 0x400, v0
	v_cmp_gt_u32_e64 s[18:19], s33, v29
	s_and_saveexec_b64 s[22:23], s[18:19]
	s_cbranch_execz .LBB171_51
; %bb.50:
	ds_read_u8 v7, v0 offset:3072
	v_mov_b32_e32 v8, s39
	s_waitcnt lgkmcnt(0)
	v_and_b32_e32 v5, 1, v7
	v_lshrrev_b32_e32 v5, s48, v5
	v_and_b32_e32 v5, s52, v5
	v_lshlrev_b32_e32 v5, 3, v5
	ds_read_b64 v[5:6], v5
	v_xor_b32_e32 v7, 1, v7
	s_waitcnt lgkmcnt(0)
	v_add_co_u32_e64 v5, s[20:21], s38, v5
	v_addc_co_u32_e64 v6, s[20:21], v8, v6, s[20:21]
	v_add_co_u32_e64 v5, s[20:21], v5, v0
	v_addc_co_u32_e64 v6, s[20:21], 0, v6, s[20:21]
	global_store_byte v[5:6], v7, off offset:1024
.LBB171_51:
	;; [unrolled: 22-line block ×5, first 2 shown]
	s_or_b64 exec, exec, s[50:51]
	s_lshl_b64 s[28:29], s[30:31], 3
	s_add_u32 s28, s40, s28
	s_addc_u32 s29, s41, s29
	v_lshlrev_b32_e32 v5, 3, v12
	v_mov_b32_e32 v6, s29
	v_add_co_u32_e64 v5, s[28:29], s28, v5
	v_addc_co_u32_e64 v6, s[28:29], 0, v6, s[28:29]
	v_lshlrev_b32_e32 v7, 3, v11
	v_add_co_u32_e64 v17, s[28:29], v5, v7
	v_addc_co_u32_e64 v18, s[28:29], 0, v6, s[28:29]
                                        ; implicit-def: $vgpr5_vgpr6
	s_and_saveexec_b64 s[28:29], vcc
	s_xor_b64 s[28:29], exec, s[28:29]
	s_cbranch_execz .LBB171_63
; %bb.58:
	global_load_dwordx2 v[5:6], v[17:18], off
	s_or_b64 exec, exec, s[28:29]
                                        ; implicit-def: $vgpr7_vgpr8
	s_and_saveexec_b64 s[28:29], s[0:1]
	s_cbranch_execnz .LBB171_64
.LBB171_59:
	s_or_b64 exec, exec, s[28:29]
                                        ; implicit-def: $vgpr9_vgpr10
	s_and_saveexec_b64 s[0:1], s[2:3]
	s_cbranch_execz .LBB171_65
.LBB171_60:
	global_load_dwordx2 v[9:10], v[17:18], off offset:1024
	s_or_b64 exec, exec, s[0:1]
                                        ; implicit-def: $vgpr11_vgpr12
	s_and_saveexec_b64 s[0:1], s[26:27]
	s_cbranch_execnz .LBB171_66
.LBB171_61:
	s_or_b64 exec, exec, s[0:1]
                                        ; implicit-def: $vgpr13_vgpr14
	s_and_saveexec_b64 s[0:1], s[8:9]
	s_cbranch_execz .LBB171_67
.LBB171_62:
	global_load_dwordx2 v[13:14], v[17:18], off offset:2048
	s_or_b64 exec, exec, s[0:1]
                                        ; implicit-def: $vgpr15_vgpr16
	s_and_saveexec_b64 s[0:1], s[10:11]
	s_cbranch_execnz .LBB171_68
	s_branch .LBB171_69
.LBB171_63:
	s_or_b64 exec, exec, s[28:29]
                                        ; implicit-def: $vgpr7_vgpr8
	s_and_saveexec_b64 s[28:29], s[0:1]
	s_cbranch_execz .LBB171_59
.LBB171_64:
	global_load_dwordx2 v[7:8], v[17:18], off offset:512
	s_or_b64 exec, exec, s[28:29]
                                        ; implicit-def: $vgpr9_vgpr10
	s_and_saveexec_b64 s[0:1], s[2:3]
	s_cbranch_execnz .LBB171_60
.LBB171_65:
	s_or_b64 exec, exec, s[0:1]
                                        ; implicit-def: $vgpr11_vgpr12
	s_and_saveexec_b64 s[0:1], s[26:27]
	s_cbranch_execz .LBB171_61
.LBB171_66:
	global_load_dwordx2 v[11:12], v[17:18], off offset:1536
	s_or_b64 exec, exec, s[0:1]
                                        ; implicit-def: $vgpr13_vgpr14
	s_and_saveexec_b64 s[0:1], s[8:9]
	s_cbranch_execnz .LBB171_62
.LBB171_67:
	s_or_b64 exec, exec, s[0:1]
                                        ; implicit-def: $vgpr15_vgpr16
	s_and_saveexec_b64 s[0:1], s[10:11]
	s_cbranch_execz .LBB171_69
.LBB171_68:
	global_load_dwordx2 v[15:16], v[17:18], off offset:2560
.LBB171_69:
	s_or_b64 exec, exec, s[0:1]
	v_mov_b32_e32 v34, 0
	v_mov_b32_e32 v36, 0
	s_and_saveexec_b64 s[0:1], s[14:15]
	s_cbranch_execz .LBB171_71
; %bb.70:
	ds_read_u8 v17, v0 offset:2048
	s_waitcnt lgkmcnt(0)
	v_lshrrev_b32_e32 v17, s48, v17
	v_and_b32_e32 v36, s52, v17
.LBB171_71:
	s_or_b64 exec, exec, s[0:1]
	s_and_saveexec_b64 s[0:1], s[16:17]
	s_cbranch_execz .LBB171_73
; %bb.72:
	ds_read_u8 v17, v0 offset:2560
	s_waitcnt lgkmcnt(0)
	v_lshrrev_b32_e32 v17, s48, v17
	v_and_b32_e32 v34, s52, v17
.LBB171_73:
	s_or_b64 exec, exec, s[0:1]
	v_mov_b32_e32 v18, 0
	v_mov_b32_e32 v35, 0
	s_and_saveexec_b64 s[0:1], s[18:19]
	s_cbranch_execz .LBB171_75
; %bb.74:
	ds_read_u8 v17, v0 offset:3072
	s_waitcnt lgkmcnt(0)
	v_lshrrev_b32_e32 v17, s48, v17
	v_and_b32_e32 v35, s52, v17
.LBB171_75:
	s_or_b64 exec, exec, s[0:1]
	s_and_saveexec_b64 s[0:1], s[20:21]
	s_cbranch_execz .LBB171_77
; %bb.76:
	ds_read_u8 v17, v0 offset:3584
	s_waitcnt lgkmcnt(0)
	v_lshrrev_b32_e32 v17, s48, v17
	v_and_b32_e32 v18, s52, v17
.LBB171_77:
	;; [unrolled: 20-line block ×3, first 2 shown]
	s_or_b64 exec, exec, s[0:1]
	v_lshlrev_b32_e32 v27, 3, v27
	s_waitcnt vmcnt(0)
	s_barrier
	ds_write_b64 v27, v[5:6] offset:2048
	v_lshlrev_b32_e32 v5, 3, v26
	ds_write_b64 v5, v[7:8] offset:2048
	v_lshlrev_b32_e32 v5, 3, v25
	;; [unrolled: 2-line block ×5, first 2 shown]
	ds_write_b64 v5, v[15:16] offset:2048
	s_waitcnt lgkmcnt(0)
	s_barrier
	s_and_saveexec_b64 s[0:1], s[14:15]
	s_cbranch_execz .LBB171_87
; %bb.82:
	v_lshlrev_b32_e32 v5, 3, v36
	ds_read_b64 v[5:6], v5
	ds_read_b64 v[7:8], v21 offset:2048
	v_mov_b32_e32 v9, s43
	s_waitcnt lgkmcnt(1)
	v_lshlrev_b64 v[5:6], 3, v[5:6]
	v_add_co_u32_e32 v5, vcc, s42, v5
	v_addc_co_u32_e32 v6, vcc, v9, v6, vcc
	v_add_co_u32_e32 v5, vcc, v5, v21
	v_addc_co_u32_e32 v6, vcc, 0, v6, vcc
	s_waitcnt lgkmcnt(0)
	global_store_dwordx2 v[5:6], v[7:8], off
	s_or_b64 exec, exec, s[0:1]
	s_and_saveexec_b64 s[0:1], s[16:17]
	s_cbranch_execnz .LBB171_88
.LBB171_83:
	s_or_b64 exec, exec, s[0:1]
	s_and_saveexec_b64 s[0:1], s[18:19]
	s_cbranch_execz .LBB171_89
.LBB171_84:
	v_lshlrev_b32_e32 v5, 3, v35
	ds_read_b64 v[5:6], v5
	ds_read_b64 v[7:8], v21 offset:10240
	v_mov_b32_e32 v9, s43
	s_waitcnt lgkmcnt(1)
	v_lshlrev_b64 v[5:6], 3, v[5:6]
	v_add_co_u32_e32 v5, vcc, s42, v5
	v_addc_co_u32_e32 v6, vcc, v9, v6, vcc
	v_lshlrev_b32_e32 v9, 3, v29
	v_add_co_u32_e32 v5, vcc, v5, v9
	v_addc_co_u32_e32 v6, vcc, 0, v6, vcc
	s_waitcnt lgkmcnt(0)
	global_store_dwordx2 v[5:6], v[7:8], off
	s_or_b64 exec, exec, s[0:1]
	s_and_saveexec_b64 s[0:1], s[20:21]
	s_cbranch_execnz .LBB171_90
.LBB171_85:
	s_or_b64 exec, exec, s[0:1]
	s_and_saveexec_b64 s[0:1], s[22:23]
	s_cbranch_execz .LBB171_91
.LBB171_86:
	v_lshlrev_b32_e32 v5, 3, v33
	ds_read_b64 v[5:6], v5
	ds_read_b64 v[7:8], v21 offset:18432
	v_mov_b32_e32 v9, s43
	s_waitcnt lgkmcnt(1)
	v_lshlrev_b64 v[5:6], 3, v[5:6]
	v_add_co_u32_e32 v5, vcc, s42, v5
	v_addc_co_u32_e32 v6, vcc, v9, v6, vcc
	v_lshlrev_b32_e32 v9, 3, v31
	v_add_co_u32_e32 v5, vcc, v5, v9
	v_addc_co_u32_e32 v6, vcc, 0, v6, vcc
	s_waitcnt lgkmcnt(0)
	global_store_dwordx2 v[5:6], v[7:8], off
	s_or_b64 exec, exec, s[0:1]
	s_and_saveexec_b64 s[0:1], s[24:25]
	s_cbranch_execnz .LBB171_92
	s_branch .LBB171_93
.LBB171_87:
	s_or_b64 exec, exec, s[0:1]
	s_and_saveexec_b64 s[0:1], s[16:17]
	s_cbranch_execz .LBB171_83
.LBB171_88:
	v_lshlrev_b32_e32 v5, 3, v34
	ds_read_b64 v[5:6], v5
	ds_read_b64 v[7:8], v21 offset:6144
	v_mov_b32_e32 v9, s43
	s_waitcnt lgkmcnt(1)
	v_lshlrev_b64 v[5:6], 3, v[5:6]
	v_add_co_u32_e32 v5, vcc, s42, v5
	v_addc_co_u32_e32 v6, vcc, v9, v6, vcc
	v_lshlrev_b32_e32 v9, 3, v28
	v_add_co_u32_e32 v5, vcc, v5, v9
	v_addc_co_u32_e32 v6, vcc, 0, v6, vcc
	s_waitcnt lgkmcnt(0)
	global_store_dwordx2 v[5:6], v[7:8], off
	s_or_b64 exec, exec, s[0:1]
	s_and_saveexec_b64 s[0:1], s[18:19]
	s_cbranch_execnz .LBB171_84
.LBB171_89:
	s_or_b64 exec, exec, s[0:1]
	s_and_saveexec_b64 s[0:1], s[20:21]
	s_cbranch_execz .LBB171_85
.LBB171_90:
	v_lshlrev_b32_e32 v5, 3, v18
	ds_read_b64 v[5:6], v5
	ds_read_b64 v[7:8], v21 offset:14336
	v_mov_b32_e32 v9, s43
	s_waitcnt lgkmcnt(1)
	v_lshlrev_b64 v[5:6], 3, v[5:6]
	v_add_co_u32_e32 v5, vcc, s42, v5
	v_addc_co_u32_e32 v6, vcc, v9, v6, vcc
	v_lshlrev_b32_e32 v9, 3, v30
	v_add_co_u32_e32 v5, vcc, v5, v9
	v_addc_co_u32_e32 v6, vcc, 0, v6, vcc
	s_waitcnt lgkmcnt(0)
	global_store_dwordx2 v[5:6], v[7:8], off
	s_or_b64 exec, exec, s[0:1]
	s_and_saveexec_b64 s[0:1], s[22:23]
	s_cbranch_execnz .LBB171_86
.LBB171_91:
	s_or_b64 exec, exec, s[0:1]
	s_and_saveexec_b64 s[0:1], s[24:25]
	s_cbranch_execz .LBB171_93
.LBB171_92:
	v_lshlrev_b32_e32 v5, 3, v17
	ds_read_b64 v[5:6], v5
	ds_read_b64 v[7:8], v21 offset:22528
	v_mov_b32_e32 v9, s43
	s_waitcnt lgkmcnt(1)
	v_lshlrev_b64 v[5:6], 3, v[5:6]
	v_add_co_u32_e32 v5, vcc, s42, v5
	v_addc_co_u32_e32 v6, vcc, v9, v6, vcc
	v_lshlrev_b32_e32 v9, 3, v32
	v_add_co_u32_e32 v5, vcc, v5, v9
	v_addc_co_u32_e32 v6, vcc, 0, v6, vcc
	s_waitcnt lgkmcnt(0)
	global_store_dwordx2 v[5:6], v[7:8], off
.LBB171_93:
	s_or_b64 exec, exec, s[0:1]
	s_add_i32 s7, s7, -1
	s_cmp_eq_u32 s6, s7
	s_cselect_b64 s[0:1], -1, 0
	s_xor_b64 s[2:3], s[12:13], -1
	s_and_b64 s[2:3], s[2:3], s[0:1]
	s_and_saveexec_b64 s[0:1], s[2:3]
	s_cbranch_execz .LBB171_95
; %bb.94:
	ds_read_b64 v[5:6], v21
	v_add_co_u32_e32 v3, vcc, v3, v20
	v_addc_co_u32_e32 v4, vcc, 0, v4, vcc
	s_waitcnt lgkmcnt(0)
	v_add_co_u32_e32 v3, vcc, v3, v5
	v_addc_co_u32_e32 v4, vcc, v4, v6, vcc
	global_store_dwordx2 v21, v[3:4], s[46:47]
.LBB171_95:
	s_or_b64 exec, exec, s[0:1]
	s_mov_b64 s[0:1], 0
.LBB171_96:
	s_and_b64 vcc, exec, s[0:1]
	s_cbranch_vccz .LBB171_131
; %bb.97:
	s_add_u32 s0, s36, s30
	s_addc_u32 s1, s37, 0
	v_mbcnt_hi_u32_b32 v10, -1, v19
	v_and_b32_e32 v11, 0x1c0, v0
	v_mov_b32_e32 v3, s1
	v_add_co_u32_e32 v4, vcc, s0, v10
	v_mul_u32_u24_e32 v9, 6, v11
	v_addc_co_u32_e32 v3, vcc, 0, v3, vcc
	v_add_co_u32_e32 v4, vcc, v4, v9
	v_addc_co_u32_e32 v5, vcc, 0, v3, vcc
	global_load_ubyte v6, v[4:5], off
	s_load_dword s7, s[4:5], 0x50
	s_load_dword s2, s[4:5], 0x5c
	global_load_ubyte v8, v[4:5], off offset:64
	global_load_ubyte v14, v[4:5], off offset:128
	;; [unrolled: 1-line block ×5, first 2 shown]
	v_mov_b32_e32 v12, 0
	v_mul_u32_u24_e32 v7, 20, v0
	s_mov_b32 s31, 0
	s_waitcnt vmcnt(5)
	v_and_b32_e32 v4, 1, v6
	v_cmp_eq_u32_e32 vcc, 1, v4
	s_xor_b64 s[0:1], vcc, -1
	s_add_u32 s3, s4, 0x50
	s_addc_u32 s4, s5, 0
	s_waitcnt lgkmcnt(0)
	s_lshr_b32 s5, s2, 16
	s_cmp_lt_u32 s6, s7
	s_cselect_b32 s2, 12, 18
	s_add_u32 s2, s3, s2
	s_addc_u32 s3, s4, 0
	global_load_ushort v4, v12, s[2:3]
	v_cndmask_b32_e64 v5, 0, 1, s[0:1]
	s_lshl_b32 s0, -1, s49
	v_lshrrev_b32_e32 v6, s48, v5
	s_not_b32 s12, s0
	ds_write2_b32 v7, v12, v12 offset0:8 offset1:9
	ds_write2_b32 v7, v12, v12 offset0:10 offset1:11
	ds_write_b32 v7, v12 offset:48
	v_mad_u32_u24 v12, v2, s5, v1
	v_and_b32_e32 v1, s12, v6
	v_mul_u32_u24_e32 v15, 36, v1
	v_cmp_ne_u32_e32 vcc, 0, v1
	v_add_co_u32_e64 v1, s[0:1], -1, v1
	v_xor_b32_e32 v1, vcc_lo, v1
	v_and_b32_e32 v1, exec_lo, v1
	v_addc_co_u32_e64 v2, s[0:1], 0, -1, s[0:1]
	v_xor_b32_e32 v2, vcc_hi, v2
	v_and_b32_e32 v2, exec_hi, v2
	v_mbcnt_lo_u32_b32 v6, v1, 0
	v_cmp_ne_u64_e32 vcc, 0, v[1:2]
	v_mbcnt_hi_u32_b32 v6, v2, v6
	s_waitcnt vmcnt(0) lgkmcnt(0)
	s_barrier
	; wave barrier
	v_mad_u64_u32 v[12:13], s[0:1], v12, v4, v[0:1]
	v_cmp_eq_u32_e64 s[0:1], 0, v6
	s_and_b64 s[2:3], vcc, s[0:1]
	v_lshrrev_b32_e32 v4, 4, v12
	v_and_b32_e32 v4, 0xffffffc, v4
	v_add_u32_e32 v15, v4, v15
	s_and_saveexec_b64 s[0:1], s[2:3]
; %bb.98:
	v_bcnt_u32_b32 v1, v1, 0
	v_bcnt_u32_b32 v1, v2, v1
	ds_write_b32 v15, v1 offset:32
; %bb.99:
	s_or_b64 exec, exec, s[0:1]
	v_and_b32_e32 v1, 1, v8
	v_cmp_eq_u32_e32 vcc, 1, v1
	s_xor_b64 s[0:1], vcc, -1
	v_cndmask_b32_e64 v8, 0, 1, s[0:1]
	v_lshrrev_b32_e32 v1, s48, v8
	v_and_b32_e32 v1, s12, v1
	v_mul_u32_u24_e32 v16, 36, v1
	v_mad_u32_u24 v2, v1, 36, v4
	v_cmp_ne_u32_e32 vcc, 0, v1
	v_add_co_u32_e64 v1, s[0:1], -1, v1
	; wave barrier
	ds_read_b32 v12, v2 offset:32
	v_addc_co_u32_e64 v2, s[0:1], 0, -1, s[0:1]
	v_xor_b32_e32 v1, vcc_lo, v1
	v_xor_b32_e32 v2, vcc_hi, v2
	v_and_b32_e32 v1, exec_lo, v1
	v_and_b32_e32 v2, exec_hi, v2
	v_mbcnt_lo_u32_b32 v13, v1, 0
	v_mbcnt_hi_u32_b32 v13, v2, v13
	v_cmp_ne_u64_e32 vcc, 0, v[1:2]
	v_cmp_eq_u32_e64 s[0:1], 0, v13
	s_and_b64 s[2:3], vcc, s[0:1]
	v_add_u32_e32 v18, v4, v16
	; wave barrier
	s_and_saveexec_b64 s[0:1], s[2:3]
	s_cbranch_execz .LBB171_101
; %bb.100:
	v_bcnt_u32_b32 v1, v1, 0
	v_bcnt_u32_b32 v1, v2, v1
	s_waitcnt lgkmcnt(0)
	v_add_u32_e32 v1, v12, v1
	ds_write_b32 v18, v1 offset:32
.LBB171_101:
	s_or_b64 exec, exec, s[0:1]
	v_and_b32_e32 v1, 1, v14
	v_cmp_eq_u32_e32 vcc, 1, v1
	s_xor_b64 s[0:1], vcc, -1
	v_cndmask_b32_e64 v14, 0, 1, s[0:1]
	v_lshrrev_b32_e32 v1, s48, v14
	v_and_b32_e32 v1, s12, v1
	v_mul_u32_u24_e32 v19, 36, v1
	v_mad_u32_u24 v2, v1, 36, v4
	v_cmp_ne_u32_e32 vcc, 0, v1
	v_add_co_u32_e64 v1, s[0:1], -1, v1
	; wave barrier
	ds_read_b32 v16, v2 offset:32
	v_addc_co_u32_e64 v2, s[0:1], 0, -1, s[0:1]
	v_xor_b32_e32 v1, vcc_lo, v1
	v_xor_b32_e32 v2, vcc_hi, v2
	v_and_b32_e32 v1, exec_lo, v1
	v_and_b32_e32 v2, exec_hi, v2
	v_mbcnt_lo_u32_b32 v17, v1, 0
	v_mbcnt_hi_u32_b32 v17, v2, v17
	v_cmp_ne_u64_e32 vcc, 0, v[1:2]
	v_cmp_eq_u32_e64 s[0:1], 0, v17
	s_and_b64 s[2:3], vcc, s[0:1]
	v_add_u32_e32 v19, v4, v19
	; wave barrier
	s_and_saveexec_b64 s[0:1], s[2:3]
	s_cbranch_execz .LBB171_103
; %bb.102:
	v_bcnt_u32_b32 v1, v1, 0
	v_bcnt_u32_b32 v1, v2, v1
	s_waitcnt lgkmcnt(0)
	v_add_u32_e32 v1, v16, v1
	ds_write_b32 v19, v1 offset:32
.LBB171_103:
	;; [unrolled: 34-line block ×5, first 2 shown]
	s_or_b64 exec, exec, s[0:1]
	; wave barrier
	s_waitcnt lgkmcnt(0)
	s_barrier
	ds_read2_b32 v[3:4], v7 offset0:8 offset1:9
	ds_read2_b32 v[1:2], v7 offset0:10 offset1:11
	ds_read_b32 v32, v7 offset:48
	v_min_u32_e32 v11, 0x1c0, v11
	v_or_b32_e32 v11, 63, v11
	s_waitcnt lgkmcnt(1)
	v_add3_u32 v33, v4, v3, v1
	s_waitcnt lgkmcnt(0)
	v_add3_u32 v32, v33, v2, v32
	v_and_b32_e32 v33, 15, v10
	v_cmp_ne_u32_e32 vcc, 0, v33
	v_mov_b32_dpp v34, v32 row_shr:1 row_mask:0xf bank_mask:0xf
	v_cndmask_b32_e32 v34, 0, v34, vcc
	v_add_u32_e32 v32, v34, v32
	v_cmp_lt_u32_e32 vcc, 1, v33
	s_nop 0
	v_mov_b32_dpp v34, v32 row_shr:2 row_mask:0xf bank_mask:0xf
	v_cndmask_b32_e32 v34, 0, v34, vcc
	v_add_u32_e32 v32, v32, v34
	v_cmp_lt_u32_e32 vcc, 3, v33
	s_nop 0
	;; [unrolled: 5-line block ×3, first 2 shown]
	v_mov_b32_dpp v34, v32 row_shr:8 row_mask:0xf bank_mask:0xf
	v_cndmask_b32_e32 v33, 0, v34, vcc
	v_add_u32_e32 v32, v32, v33
	v_bfe_i32 v34, v10, 4, 1
	v_cmp_lt_u32_e32 vcc, 31, v10
	v_mov_b32_dpp v33, v32 row_bcast:15 row_mask:0xf bank_mask:0xf
	v_and_b32_e32 v33, v34, v33
	v_add_u32_e32 v32, v32, v33
	s_nop 1
	v_mov_b32_dpp v33, v32 row_bcast:31 row_mask:0xf bank_mask:0xf
	v_cndmask_b32_e32 v33, 0, v33, vcc
	v_add_u32_e32 v32, v32, v33
	v_lshrrev_b32_e32 v33, 6, v0
	v_cmp_eq_u32_e32 vcc, v0, v11
	s_and_saveexec_b64 s[0:1], vcc
; %bb.110:
	v_lshlrev_b32_e32 v11, 2, v33
	ds_write_b32 v11, v32
; %bb.111:
	s_or_b64 exec, exec, s[0:1]
	v_cmp_gt_u32_e32 vcc, 8, v0
	s_waitcnt lgkmcnt(0)
	s_barrier
	s_and_saveexec_b64 s[0:1], vcc
	s_cbranch_execz .LBB171_113
; %bb.112:
	v_lshlrev_b32_e32 v11, 2, v0
	ds_read_b32 v34, v11
	v_and_b32_e32 v35, 7, v10
	v_cmp_ne_u32_e32 vcc, 0, v35
	s_waitcnt lgkmcnt(0)
	v_mov_b32_dpp v36, v34 row_shr:1 row_mask:0xf bank_mask:0xf
	v_cndmask_b32_e32 v36, 0, v36, vcc
	v_add_u32_e32 v34, v36, v34
	v_cmp_lt_u32_e32 vcc, 1, v35
	s_nop 0
	v_mov_b32_dpp v36, v34 row_shr:2 row_mask:0xf bank_mask:0xf
	v_cndmask_b32_e32 v36, 0, v36, vcc
	v_add_u32_e32 v34, v34, v36
	v_cmp_lt_u32_e32 vcc, 3, v35
	s_nop 0
	v_mov_b32_dpp v36, v34 row_shr:4 row_mask:0xf bank_mask:0xf
	v_cndmask_b32_e32 v35, 0, v36, vcc
	v_add_u32_e32 v34, v34, v35
	ds_write_b32 v11, v34
.LBB171_113:
	s_or_b64 exec, exec, s[0:1]
	v_cmp_lt_u32_e32 vcc, 63, v0
	v_mov_b32_e32 v11, 0
	s_waitcnt lgkmcnt(0)
	s_barrier
	s_and_saveexec_b64 s[0:1], vcc
; %bb.114:
	v_lshl_add_u32 v11, v33, 2, -4
	ds_read_b32 v11, v11
; %bb.115:
	s_or_b64 exec, exec, s[0:1]
	v_subrev_co_u32_e32 v33, vcc, 1, v10
	v_and_b32_e32 v34, 64, v10
	v_cmp_lt_i32_e64 s[0:1], v33, v34
	v_cndmask_b32_e64 v33, v33, v10, s[0:1]
	s_waitcnt lgkmcnt(0)
	v_add_u32_e32 v32, v11, v32
	v_lshlrev_b32_e32 v33, 2, v33
	ds_bpermute_b32 v32, v33, v32
	s_movk_i32 s0, 0xff
	s_movk_i32 s2, 0x100
	s_waitcnt lgkmcnt(0)
	v_cndmask_b32_e32 v11, v32, v11, vcc
	v_cmp_ne_u32_e32 vcc, 0, v0
	v_cndmask_b32_e32 v11, 0, v11, vcc
	v_add_u32_e32 v3, v11, v3
	v_add_u32_e32 v4, v3, v4
	;; [unrolled: 1-line block ×4, first 2 shown]
	ds_write2_b32 v7, v11, v3 offset0:8 offset1:9
	ds_write2_b32 v7, v4, v1 offset0:10 offset1:11
	ds_write_b32 v7, v2 offset:48
	s_waitcnt lgkmcnt(0)
	s_barrier
	ds_read_b32 v3, v15 offset:32
	ds_read_b32 v4, v18 offset:32
	ds_read_b32 v7, v19 offset:32
	ds_read_b32 v15, v27 offset:32
	ds_read_b32 v27, v30 offset:32
	ds_read_b32 v30, v31 offset:32
	v_mov_b32_e32 v1, 0
	v_cmp_lt_u32_e32 vcc, s0, v0
	v_mov_b32_e32 v2, 0
	v_cmp_gt_u32_e64 s[0:1], s2, v0
                                        ; implicit-def: $vgpr11
	s_and_saveexec_b64 s[4:5], s[0:1]
	s_cbranch_execz .LBB171_119
; %bb.116:
	v_mul_u32_u24_e32 v1, 36, v0
	ds_read_b32 v1, v1 offset:32
	v_add_u32_e32 v11, 1, v0
	v_cmp_ne_u32_e64 s[2:3], s2, v11
	v_mov_b32_e32 v2, 0xc00
	s_and_saveexec_b64 s[8:9], s[2:3]
; %bb.117:
	v_mul_u32_u24_e32 v2, 36, v11
	ds_read_b32 v2, v2 offset:32
; %bb.118:
	s_or_b64 exec, exec, s[8:9]
	s_waitcnt lgkmcnt(0)
	v_sub_u32_e32 v11, v2, v1
	v_mov_b32_e32 v2, 0
.LBB171_119:
	s_or_b64 exec, exec, s[4:5]
	s_waitcnt lgkmcnt(5)
	v_add_u32_e32 v19, v3, v6
	s_waitcnt lgkmcnt(4)
	v_add3_u32 v18, v13, v12, v4
	s_waitcnt lgkmcnt(3)
	v_add3_u32 v17, v17, v16, v7
	;; [unrolled: 2-line block ×5, first 2 shown]
	v_mov_b32_e32 v4, 0
	v_lshlrev_b32_e32 v12, 3, v0
	s_barrier
	ds_write_b8 v19, v5 offset:2048
	ds_write_b8 v18, v8 offset:2048
	;; [unrolled: 1-line block ×6, first 2 shown]
	s_waitcnt lgkmcnt(0)
	s_barrier
	s_and_saveexec_b64 s[2:3], s[0:1]
	s_cbranch_execz .LBB171_129
; %bb.120:
	v_lshl_add_u32 v3, s6, 8, v0
	v_lshlrev_b64 v[5:6], 2, v[3:4]
	v_mov_b32_e32 v14, s35
	v_add_co_u32_e64 v5, s[0:1], s34, v5
	v_addc_co_u32_e64 v6, s[0:1], v14, v6, s[0:1]
	v_or_b32_e32 v3, 2.0, v11
	s_mov_b64 s[4:5], 0
	s_brev_b32 s13, -4
	s_mov_b32 s14, s6
	v_mov_b32_e32 v20, 0
	global_store_dword v[5:6], v3, off
                                        ; implicit-def: $sgpr0_sgpr1
	s_branch .LBB171_123
.LBB171_121:                            ;   in Loop: Header=BB171_123 Depth=1
	s_or_b64 exec, exec, s[10:11]
.LBB171_122:                            ;   in Loop: Header=BB171_123 Depth=1
	s_or_b64 exec, exec, s[8:9]
	v_and_b32_e32 v7, 0x3fffffff, v3
	v_add_u32_e32 v20, v7, v20
	v_cmp_gt_i32_e64 s[0:1], -2.0, v3
	s_and_b64 s[8:9], exec, s[0:1]
	s_or_b64 s[4:5], s[8:9], s[4:5]
	s_andn2_b64 exec, exec, s[4:5]
	s_cbranch_execz .LBB171_128
.LBB171_123:                            ; =>This Loop Header: Depth=1
                                        ;     Child Loop BB171_126 Depth 2
	s_or_b64 s[0:1], s[0:1], exec
	s_cmp_eq_u32 s14, 0
	s_cbranch_scc1 .LBB171_127
; %bb.124:                              ;   in Loop: Header=BB171_123 Depth=1
	s_add_i32 s14, s14, -1
	v_lshl_or_b32 v3, s14, 8, v0
	v_lshlrev_b64 v[7:8], 2, v[3:4]
	v_add_co_u32_e64 v7, s[0:1], s34, v7
	v_addc_co_u32_e64 v8, s[0:1], v14, v8, s[0:1]
	global_load_dword v3, v[7:8], off glc
	s_waitcnt vmcnt(0)
	v_cmp_gt_u32_e64 s[0:1], 2.0, v3
	s_and_saveexec_b64 s[8:9], s[0:1]
	s_cbranch_execz .LBB171_122
; %bb.125:                              ;   in Loop: Header=BB171_123 Depth=1
	s_mov_b64 s[10:11], 0
.LBB171_126:                            ;   Parent Loop BB171_123 Depth=1
                                        ; =>  This Inner Loop Header: Depth=2
	global_load_dword v3, v[7:8], off glc
	s_waitcnt vmcnt(0)
	v_cmp_lt_u32_e64 s[0:1], s13, v3
	s_or_b64 s[10:11], s[0:1], s[10:11]
	s_andn2_b64 exec, exec, s[10:11]
	s_cbranch_execnz .LBB171_126
	s_branch .LBB171_121
.LBB171_127:                            ;   in Loop: Header=BB171_123 Depth=1
                                        ; implicit-def: $sgpr14
	s_and_b64 s[8:9], exec, s[0:1]
	s_or_b64 s[4:5], s[8:9], s[4:5]
	s_andn2_b64 exec, exec, s[4:5]
	s_cbranch_execnz .LBB171_123
.LBB171_128:
	s_or_b64 exec, exec, s[4:5]
	v_add_u32_e32 v3, v20, v11
	v_or_b32_e32 v3, 0x80000000, v3
	global_store_dword v[5:6], v3, off
	global_load_dwordx2 v[3:4], v12, s[44:45]
	v_sub_co_u32_e64 v5, s[0:1], v20, v1
	v_subb_co_u32_e64 v6, s[0:1], 0, v2, s[0:1]
	s_waitcnt vmcnt(0)
	v_add_co_u32_e64 v3, s[0:1], v5, v3
	v_addc_co_u32_e64 v4, s[0:1], v6, v4, s[0:1]
	ds_write_b64 v12, v[3:4]
.LBB171_129:
	s_or_b64 exec, exec, s[2:3]
	s_waitcnt lgkmcnt(0)
	s_barrier
	ds_read_u8 v3, v0 offset:2048
	ds_read_u8 v14, v0 offset:2560
	;; [unrolled: 1-line block ×6, first 2 shown]
	s_waitcnt lgkmcnt(5)
	v_and_b32_e32 v4, 1, v3
	v_xor_b32_e32 v36, 1, v3
	s_waitcnt lgkmcnt(4)
	v_and_b32_e32 v3, 1, v14
	v_lshrrev_b32_e32 v3, s48, v3
	v_and_b32_e32 v3, s12, v3
	v_lshlrev_b32_e32 v38, 3, v3
	s_waitcnt lgkmcnt(3)
	v_and_b32_e32 v3, 1, v32
	v_lshrrev_b32_e32 v3, s48, v3
	v_and_b32_e32 v3, s12, v3
	v_lshrrev_b32_e32 v4, s48, v4
	v_lshlrev_b32_e32 v39, 3, v3
	s_waitcnt lgkmcnt(2)
	v_and_b32_e32 v3, 1, v33
	v_and_b32_e32 v4, s12, v4
	v_lshrrev_b32_e32 v3, s48, v3
	v_lshlrev_b32_e32 v37, 3, v4
	v_and_b32_e32 v3, s12, v3
	v_lshlrev_b32_e32 v40, 3, v3
	ds_read_b64 v[3:4], v37
	ds_read_b64 v[5:6], v38
	;; [unrolled: 1-line block ×4, first 2 shown]
	v_mov_b32_e32 v22, s39
	s_waitcnt lgkmcnt(3)
	v_add_co_u32_e64 v28, s[0:1], s38, v3
	v_addc_co_u32_e64 v29, s[0:1], v22, v4, s[0:1]
	s_lshl_b64 s[0:1], s[30:31], 3
	s_add_u32 s0, s40, s0
	s_addc_u32 s1, s41, s1
	v_lshlrev_b32_e32 v3, 3, v10
	v_mov_b32_e32 v4, s1
	v_add_co_u32_e64 v3, s[0:1], s0, v3
	v_addc_co_u32_e64 v4, s[0:1], 0, v4, s[0:1]
	v_lshlrev_b32_e32 v9, 3, v9
	v_add_co_u32_e64 v3, s[0:1], v3, v9
	v_addc_co_u32_e64 v4, s[0:1], 0, v4, s[0:1]
	global_load_dwordx2 v[9:10], v[3:4], off
	global_load_dwordx2 v[22:23], v[3:4], off offset:512
	global_load_dwordx2 v[24:25], v[3:4], off offset:1024
	;; [unrolled: 1-line block ×4, first 2 shown]
	v_add_co_u32_e64 v28, s[0:1], v28, v0
	global_load_dwordx2 v[3:4], v[3:4], off offset:2560
	v_addc_co_u32_e64 v29, s[0:1], 0, v29, s[0:1]
	global_store_byte v[28:29], v36, off
	v_mov_b32_e32 v28, s39
	s_waitcnt lgkmcnt(2)
	v_add_co_u32_e64 v5, s[0:1], s38, v5
	v_addc_co_u32_e64 v6, s[0:1], v28, v6, s[0:1]
	v_add_co_u32_e64 v5, s[0:1], v5, v0
	v_xor_b32_e32 v14, 1, v14
	v_addc_co_u32_e64 v6, s[0:1], 0, v6, s[0:1]
	global_store_byte v[5:6], v14, off offset:512
	v_mov_b32_e32 v5, s39
	s_waitcnt lgkmcnt(1)
	v_add_co_u32_e64 v6, s[0:1], s38, v7
	v_addc_co_u32_e64 v7, s[0:1], v5, v8, s[0:1]
	v_add_co_u32_e64 v5, s[0:1], v6, v0
	v_xor_b32_e32 v14, 1, v32
	v_addc_co_u32_e64 v6, s[0:1], 0, v7, s[0:1]
	global_store_byte v[5:6], v14, off offset:1024
	;; [unrolled: 8-line block ×3, first 2 shown]
	v_and_b32_e32 v5, 1, v34
	v_lshrrev_b32_e32 v5, s48, v5
	v_and_b32_e32 v5, s12, v5
	v_lshlrev_b32_e32 v20, 3, v5
	ds_read_b64 v[5:6], v20
	v_and_b32_e32 v7, 1, v35
	v_lshrrev_b32_e32 v7, s48, v7
	v_and_b32_e32 v7, s12, v7
	v_lshlrev_b32_e32 v28, 3, v7
	ds_read_b64 v[7:8], v28
	v_mov_b32_e32 v21, s39
	s_waitcnt lgkmcnt(1)
	v_add_co_u32_e64 v5, s[0:1], s38, v5
	v_addc_co_u32_e64 v6, s[0:1], v21, v6, s[0:1]
	v_add_co_u32_e64 v5, s[0:1], v5, v0
	v_xor_b32_e32 v14, 1, v34
	v_addc_co_u32_e64 v6, s[0:1], 0, v6, s[0:1]
	global_store_byte v[5:6], v14, off offset:2048
	v_mov_b32_e32 v5, s39
	s_waitcnt lgkmcnt(0)
	v_add_co_u32_e64 v6, s[0:1], s38, v7
	v_addc_co_u32_e64 v7, s[0:1], v5, v8, s[0:1]
	v_add_co_u32_e64 v5, s[0:1], v6, v0
	v_xor_b32_e32 v14, 1, v35
	v_addc_co_u32_e64 v6, s[0:1], 0, v7, s[0:1]
	global_store_byte v[5:6], v14, off offset:2560
	v_lshlrev_b32_e32 v5, 3, v19
	s_waitcnt vmcnt(0)
	s_barrier
	ds_write_b64 v5, v[9:10] offset:2048
	v_lshlrev_b32_e32 v5, 3, v18
	ds_write_b64 v5, v[22:23] offset:2048
	v_lshlrev_b32_e32 v5, 3, v17
	;; [unrolled: 2-line block ×5, first 2 shown]
	ds_write_b64 v5, v[3:4] offset:2048
	s_waitcnt lgkmcnt(0)
	s_barrier
	v_mad_u32_u24 v0, v0, 7, v0
	ds_read_b64 v[7:8], v37
	ds_read2st64_b64 v[3:6], v0 offset0:4 offset1:12
	ds_read_b64 v[9:10], v38
	ds_read_b64 v[13:14], v39
	;; [unrolled: 1-line block ×3, first 2 shown]
	s_waitcnt lgkmcnt(4)
	v_lshlrev_b64 v[7:8], 3, v[7:8]
	v_mov_b32_e32 v17, s43
	v_add_co_u32_e64 v7, s[0:1], s42, v7
	v_addc_co_u32_e64 v8, s[0:1], v17, v8, s[0:1]
	v_add_co_u32_e64 v7, s[0:1], v7, v12
	v_addc_co_u32_e64 v8, s[0:1], 0, v8, s[0:1]
	s_waitcnt lgkmcnt(3)
	global_store_dwordx2 v[7:8], v[3:4], off
	s_waitcnt lgkmcnt(2)
	v_lshlrev_b64 v[3:4], 3, v[9:10]
	v_mov_b32_e32 v7, s43
	v_add_co_u32_e64 v3, s[0:1], s42, v3
	v_addc_co_u32_e64 v4, s[0:1], v7, v4, s[0:1]
	v_or_b32_e32 v7, 0x1000, v12
	v_add_co_u32_e64 v3, s[0:1], v3, v7
	v_addc_co_u32_e64 v4, s[0:1], 0, v4, s[0:1]
	s_waitcnt lgkmcnt(1)
	v_lshlrev_b64 v[7:8], 3, v[13:14]
	global_store_dwordx2 v[3:4], v[5:6], off
	ds_read2st64_b64 v[3:6], v0 offset0:20 offset1:28
	v_mov_b32_e32 v9, s43
	v_add_co_u32_e64 v7, s[0:1], s42, v7
	v_addc_co_u32_e64 v8, s[0:1], v9, v8, s[0:1]
	v_or_b32_e32 v9, 0x2000, v12
	v_add_co_u32_e64 v7, s[0:1], v7, v9
	v_addc_co_u32_e64 v8, s[0:1], 0, v8, s[0:1]
	s_waitcnt lgkmcnt(0)
	global_store_dwordx2 v[7:8], v[3:4], off
	v_lshlrev_b64 v[3:4], 3, v[15:16]
	v_mov_b32_e32 v7, s43
	v_add_co_u32_e64 v3, s[0:1], s42, v3
	v_addc_co_u32_e64 v4, s[0:1], v7, v4, s[0:1]
	ds_read_b64 v[7:8], v20
	v_or_b32_e32 v9, 0x3000, v12
	v_add_co_u32_e64 v3, s[0:1], v3, v9
	v_addc_co_u32_e64 v4, s[0:1], 0, v4, s[0:1]
	global_store_dwordx2 v[3:4], v[5:6], off
	s_waitcnt lgkmcnt(0)
	v_lshlrev_b64 v[7:8], 3, v[7:8]
	ds_read2st64_b64 v[3:6], v0 offset0:36 offset1:44
	ds_read_b64 v[9:10], v28
	v_mov_b32_e32 v0, s43
	v_add_co_u32_e64 v7, s[0:1], s42, v7
	v_addc_co_u32_e64 v0, s[0:1], v0, v8, s[0:1]
	v_or_b32_e32 v8, 0x4000, v12
	v_add_co_u32_e64 v7, s[0:1], v7, v8
	v_addc_co_u32_e64 v8, s[0:1], 0, v0, s[0:1]
	s_waitcnt lgkmcnt(1)
	global_store_dwordx2 v[7:8], v[3:4], off
	s_waitcnt lgkmcnt(0)
	v_lshlrev_b64 v[3:4], 3, v[9:10]
	v_mov_b32_e32 v0, s43
	v_add_co_u32_e64 v3, s[0:1], s42, v3
	v_addc_co_u32_e64 v0, s[0:1], v0, v4, s[0:1]
	v_or_b32_e32 v4, 0x5000, v12
	v_add_co_u32_e64 v3, s[0:1], v3, v4
	s_add_i32 s7, s7, -1
	v_addc_co_u32_e64 v4, s[0:1], 0, v0, s[0:1]
	s_cmp_eq_u32 s6, s7
	s_cselect_b64 s[0:1], -1, 0
	s_xor_b64 s[2:3], vcc, -1
	s_and_b64 s[0:1], s[2:3], s[0:1]
	global_store_dwordx2 v[3:4], v[5:6], off
	s_and_saveexec_b64 s[2:3], s[0:1]
	s_cbranch_execz .LBB171_131
; %bb.130:
	ds_read_b64 v[3:4], v12
	v_add_co_u32_e32 v0, vcc, v1, v11
	v_addc_co_u32_e32 v1, vcc, 0, v2, vcc
	s_waitcnt lgkmcnt(0)
	v_add_co_u32_e32 v0, vcc, v0, v3
	v_addc_co_u32_e32 v1, vcc, v1, v4, vcc
	global_store_dwordx2 v12, v[0:1], s[46:47]
.LBB171_131:
	s_endpgm
	.section	.rodata,"a",@progbits
	.p2align	6, 0x0
	.amdhsa_kernel _ZN7rocprim17ROCPRIM_304000_NS6detail25onesweep_iteration_kernelINS1_34wrapped_radix_sort_onesweep_configINS0_14default_configEbN2at4cuda3cub6detail10OpaqueTypeILi8EEEEELb1EPbSC_PSA_SD_mNS0_19identity_decomposerEEEvT1_T2_T3_T4_jPT5_SK_PNS1_23onesweep_lookback_stateET6_jjj
		.amdhsa_group_segment_fixed_size 26624
		.amdhsa_private_segment_fixed_size 0
		.amdhsa_kernarg_size 336
		.amdhsa_user_sgpr_count 6
		.amdhsa_user_sgpr_private_segment_buffer 1
		.amdhsa_user_sgpr_dispatch_ptr 0
		.amdhsa_user_sgpr_queue_ptr 0
		.amdhsa_user_sgpr_kernarg_segment_ptr 1
		.amdhsa_user_sgpr_dispatch_id 0
		.amdhsa_user_sgpr_flat_scratch_init 0
		.amdhsa_user_sgpr_private_segment_size 0
		.amdhsa_uses_dynamic_stack 0
		.amdhsa_system_sgpr_private_segment_wavefront_offset 0
		.amdhsa_system_sgpr_workgroup_id_x 1
		.amdhsa_system_sgpr_workgroup_id_y 0
		.amdhsa_system_sgpr_workgroup_id_z 0
		.amdhsa_system_sgpr_workgroup_info 0
		.amdhsa_system_vgpr_workitem_id 2
		.amdhsa_next_free_vgpr 49
		.amdhsa_next_free_sgpr 98
		.amdhsa_reserve_vcc 1
		.amdhsa_reserve_flat_scratch 0
		.amdhsa_float_round_mode_32 0
		.amdhsa_float_round_mode_16_64 0
		.amdhsa_float_denorm_mode_32 3
		.amdhsa_float_denorm_mode_16_64 3
		.amdhsa_dx10_clamp 1
		.amdhsa_ieee_mode 1
		.amdhsa_fp16_overflow 0
		.amdhsa_exception_fp_ieee_invalid_op 0
		.amdhsa_exception_fp_denorm_src 0
		.amdhsa_exception_fp_ieee_div_zero 0
		.amdhsa_exception_fp_ieee_overflow 0
		.amdhsa_exception_fp_ieee_underflow 0
		.amdhsa_exception_fp_ieee_inexact 0
		.amdhsa_exception_int_div_zero 0
	.end_amdhsa_kernel
	.section	.text._ZN7rocprim17ROCPRIM_304000_NS6detail25onesweep_iteration_kernelINS1_34wrapped_radix_sort_onesweep_configINS0_14default_configEbN2at4cuda3cub6detail10OpaqueTypeILi8EEEEELb1EPbSC_PSA_SD_mNS0_19identity_decomposerEEEvT1_T2_T3_T4_jPT5_SK_PNS1_23onesweep_lookback_stateET6_jjj,"axG",@progbits,_ZN7rocprim17ROCPRIM_304000_NS6detail25onesweep_iteration_kernelINS1_34wrapped_radix_sort_onesweep_configINS0_14default_configEbN2at4cuda3cub6detail10OpaqueTypeILi8EEEEELb1EPbSC_PSA_SD_mNS0_19identity_decomposerEEEvT1_T2_T3_T4_jPT5_SK_PNS1_23onesweep_lookback_stateET6_jjj,comdat
.Lfunc_end171:
	.size	_ZN7rocprim17ROCPRIM_304000_NS6detail25onesweep_iteration_kernelINS1_34wrapped_radix_sort_onesweep_configINS0_14default_configEbN2at4cuda3cub6detail10OpaqueTypeILi8EEEEELb1EPbSC_PSA_SD_mNS0_19identity_decomposerEEEvT1_T2_T3_T4_jPT5_SK_PNS1_23onesweep_lookback_stateET6_jjj, .Lfunc_end171-_ZN7rocprim17ROCPRIM_304000_NS6detail25onesweep_iteration_kernelINS1_34wrapped_radix_sort_onesweep_configINS0_14default_configEbN2at4cuda3cub6detail10OpaqueTypeILi8EEEEELb1EPbSC_PSA_SD_mNS0_19identity_decomposerEEEvT1_T2_T3_T4_jPT5_SK_PNS1_23onesweep_lookback_stateET6_jjj
                                        ; -- End function
	.set _ZN7rocprim17ROCPRIM_304000_NS6detail25onesweep_iteration_kernelINS1_34wrapped_radix_sort_onesweep_configINS0_14default_configEbN2at4cuda3cub6detail10OpaqueTypeILi8EEEEELb1EPbSC_PSA_SD_mNS0_19identity_decomposerEEEvT1_T2_T3_T4_jPT5_SK_PNS1_23onesweep_lookback_stateET6_jjj.num_vgpr, 41
	.set _ZN7rocprim17ROCPRIM_304000_NS6detail25onesweep_iteration_kernelINS1_34wrapped_radix_sort_onesweep_configINS0_14default_configEbN2at4cuda3cub6detail10OpaqueTypeILi8EEEEELb1EPbSC_PSA_SD_mNS0_19identity_decomposerEEEvT1_T2_T3_T4_jPT5_SK_PNS1_23onesweep_lookback_stateET6_jjj.num_agpr, 0
	.set _ZN7rocprim17ROCPRIM_304000_NS6detail25onesweep_iteration_kernelINS1_34wrapped_radix_sort_onesweep_configINS0_14default_configEbN2at4cuda3cub6detail10OpaqueTypeILi8EEEEELb1EPbSC_PSA_SD_mNS0_19identity_decomposerEEEvT1_T2_T3_T4_jPT5_SK_PNS1_23onesweep_lookback_stateET6_jjj.numbered_sgpr, 53
	.set _ZN7rocprim17ROCPRIM_304000_NS6detail25onesweep_iteration_kernelINS1_34wrapped_radix_sort_onesweep_configINS0_14default_configEbN2at4cuda3cub6detail10OpaqueTypeILi8EEEEELb1EPbSC_PSA_SD_mNS0_19identity_decomposerEEEvT1_T2_T3_T4_jPT5_SK_PNS1_23onesweep_lookback_stateET6_jjj.num_named_barrier, 0
	.set _ZN7rocprim17ROCPRIM_304000_NS6detail25onesweep_iteration_kernelINS1_34wrapped_radix_sort_onesweep_configINS0_14default_configEbN2at4cuda3cub6detail10OpaqueTypeILi8EEEEELb1EPbSC_PSA_SD_mNS0_19identity_decomposerEEEvT1_T2_T3_T4_jPT5_SK_PNS1_23onesweep_lookback_stateET6_jjj.private_seg_size, 0
	.set _ZN7rocprim17ROCPRIM_304000_NS6detail25onesweep_iteration_kernelINS1_34wrapped_radix_sort_onesweep_configINS0_14default_configEbN2at4cuda3cub6detail10OpaqueTypeILi8EEEEELb1EPbSC_PSA_SD_mNS0_19identity_decomposerEEEvT1_T2_T3_T4_jPT5_SK_PNS1_23onesweep_lookback_stateET6_jjj.uses_vcc, 1
	.set _ZN7rocprim17ROCPRIM_304000_NS6detail25onesweep_iteration_kernelINS1_34wrapped_radix_sort_onesweep_configINS0_14default_configEbN2at4cuda3cub6detail10OpaqueTypeILi8EEEEELb1EPbSC_PSA_SD_mNS0_19identity_decomposerEEEvT1_T2_T3_T4_jPT5_SK_PNS1_23onesweep_lookback_stateET6_jjj.uses_flat_scratch, 0
	.set _ZN7rocprim17ROCPRIM_304000_NS6detail25onesweep_iteration_kernelINS1_34wrapped_radix_sort_onesweep_configINS0_14default_configEbN2at4cuda3cub6detail10OpaqueTypeILi8EEEEELb1EPbSC_PSA_SD_mNS0_19identity_decomposerEEEvT1_T2_T3_T4_jPT5_SK_PNS1_23onesweep_lookback_stateET6_jjj.has_dyn_sized_stack, 0
	.set _ZN7rocprim17ROCPRIM_304000_NS6detail25onesweep_iteration_kernelINS1_34wrapped_radix_sort_onesweep_configINS0_14default_configEbN2at4cuda3cub6detail10OpaqueTypeILi8EEEEELb1EPbSC_PSA_SD_mNS0_19identity_decomposerEEEvT1_T2_T3_T4_jPT5_SK_PNS1_23onesweep_lookback_stateET6_jjj.has_recursion, 0
	.set _ZN7rocprim17ROCPRIM_304000_NS6detail25onesweep_iteration_kernelINS1_34wrapped_radix_sort_onesweep_configINS0_14default_configEbN2at4cuda3cub6detail10OpaqueTypeILi8EEEEELb1EPbSC_PSA_SD_mNS0_19identity_decomposerEEEvT1_T2_T3_T4_jPT5_SK_PNS1_23onesweep_lookback_stateET6_jjj.has_indirect_call, 0
	.section	.AMDGPU.csdata,"",@progbits
; Kernel info:
; codeLenInByte = 8212
; TotalNumSgprs: 57
; NumVgprs: 41
; ScratchSize: 0
; MemoryBound: 0
; FloatMode: 240
; IeeeMode: 1
; LDSByteSize: 26624 bytes/workgroup (compile time only)
; SGPRBlocks: 12
; VGPRBlocks: 12
; NumSGPRsForWavesPerEU: 102
; NumVGPRsForWavesPerEU: 49
; Occupancy: 4
; WaveLimiterHint : 1
; COMPUTE_PGM_RSRC2:SCRATCH_EN: 0
; COMPUTE_PGM_RSRC2:USER_SGPR: 6
; COMPUTE_PGM_RSRC2:TRAP_HANDLER: 0
; COMPUTE_PGM_RSRC2:TGID_X_EN: 1
; COMPUTE_PGM_RSRC2:TGID_Y_EN: 0
; COMPUTE_PGM_RSRC2:TGID_Z_EN: 0
; COMPUTE_PGM_RSRC2:TIDIG_COMP_CNT: 2
	.section	.text._ZN7rocprim17ROCPRIM_304000_NS6detail28radix_sort_block_sort_kernelINS1_36wrapped_radix_sort_block_sort_configINS0_13kernel_configILj256ELj4ELj4294967295EEEbN2at4cuda3cub6detail10OpaqueTypeILi8EEEEELb0EPKbPbPKSB_PSB_NS0_19identity_decomposerEEEvT1_T2_T3_T4_jT5_jj,"axG",@progbits,_ZN7rocprim17ROCPRIM_304000_NS6detail28radix_sort_block_sort_kernelINS1_36wrapped_radix_sort_block_sort_configINS0_13kernel_configILj256ELj4ELj4294967295EEEbN2at4cuda3cub6detail10OpaqueTypeILi8EEEEELb0EPKbPbPKSB_PSB_NS0_19identity_decomposerEEEvT1_T2_T3_T4_jT5_jj,comdat
	.protected	_ZN7rocprim17ROCPRIM_304000_NS6detail28radix_sort_block_sort_kernelINS1_36wrapped_radix_sort_block_sort_configINS0_13kernel_configILj256ELj4ELj4294967295EEEbN2at4cuda3cub6detail10OpaqueTypeILi8EEEEELb0EPKbPbPKSB_PSB_NS0_19identity_decomposerEEEvT1_T2_T3_T4_jT5_jj ; -- Begin function _ZN7rocprim17ROCPRIM_304000_NS6detail28radix_sort_block_sort_kernelINS1_36wrapped_radix_sort_block_sort_configINS0_13kernel_configILj256ELj4ELj4294967295EEEbN2at4cuda3cub6detail10OpaqueTypeILi8EEEEELb0EPKbPbPKSB_PSB_NS0_19identity_decomposerEEEvT1_T2_T3_T4_jT5_jj
	.globl	_ZN7rocprim17ROCPRIM_304000_NS6detail28radix_sort_block_sort_kernelINS1_36wrapped_radix_sort_block_sort_configINS0_13kernel_configILj256ELj4ELj4294967295EEEbN2at4cuda3cub6detail10OpaqueTypeILi8EEEEELb0EPKbPbPKSB_PSB_NS0_19identity_decomposerEEEvT1_T2_T3_T4_jT5_jj
	.p2align	8
	.type	_ZN7rocprim17ROCPRIM_304000_NS6detail28radix_sort_block_sort_kernelINS1_36wrapped_radix_sort_block_sort_configINS0_13kernel_configILj256ELj4ELj4294967295EEEbN2at4cuda3cub6detail10OpaqueTypeILi8EEEEELb0EPKbPbPKSB_PSB_NS0_19identity_decomposerEEEvT1_T2_T3_T4_jT5_jj,@function
_ZN7rocprim17ROCPRIM_304000_NS6detail28radix_sort_block_sort_kernelINS1_36wrapped_radix_sort_block_sort_configINS0_13kernel_configILj256ELj4ELj4294967295EEEbN2at4cuda3cub6detail10OpaqueTypeILi8EEEEELb0EPKbPbPKSB_PSB_NS0_19identity_decomposerEEEvT1_T2_T3_T4_jT5_jj: ; @_ZN7rocprim17ROCPRIM_304000_NS6detail28radix_sort_block_sort_kernelINS1_36wrapped_radix_sort_block_sort_configINS0_13kernel_configILj256ELj4ELj4294967295EEEbN2at4cuda3cub6detail10OpaqueTypeILi8EEEEELb0EPKbPbPKSB_PSB_NS0_19identity_decomposerEEEvT1_T2_T3_T4_jT5_jj
; %bb.0:
	s_load_dword s2, s[4:5], 0x20
	s_load_dwordx8 s[36:43], s[4:5], 0x0
	s_lshl_b32 s28, s6, 10
	v_mbcnt_lo_u32_b32 v3, -1, 0
	v_mbcnt_hi_u32_b32 v7, -1, v3
	s_waitcnt lgkmcnt(0)
	s_lshr_b32 s0, s2, 10
	s_cmp_lg_u32 s6, s0
	s_cselect_b64 s[30:31], -1, 0
	s_add_u32 s1, s36, s28
	s_addc_u32 s3, s37, 0
	v_lshlrev_b32_e32 v8, 2, v0
	v_mov_b32_e32 v3, s3
	v_add_co_u32_e32 v4, vcc, s1, v7
	v_and_b32_e32 v12, 0x300, v8
	v_addc_co_u32_e32 v3, vcc, 0, v3, vcc
	v_add_co_u32_e32 v5, vcc, v4, v12
	s_mov_b32 s29, 0
	s_cmp_eq_u32 s6, s0
	v_addc_co_u32_e32 v6, vcc, 0, v3, vcc
	v_lshlrev_b32_e32 v11, 3, v7
	v_lshlrev_b32_e32 v10, 3, v12
	v_add_u32_e32 v9, v7, v12
	s_cbranch_scc1 .LBB172_2
; %bb.1:
	s_lshl_b64 s[0:1], s[28:29], 3
	s_add_u32 s0, s40, s0
	s_addc_u32 s1, s41, s1
	v_mov_b32_e32 v3, s1
	v_add_co_u32_e32 v4, vcc, s0, v11
	v_addc_co_u32_e32 v3, vcc, 0, v3, vcc
	v_add_co_u32_e32 v13, vcc, v4, v10
	v_addc_co_u32_e32 v14, vcc, 0, v3, vcc
	global_load_ubyte v26, v[5:6], off offset:192
	global_load_ubyte v24, v[5:6], off offset:128
	;; [unrolled: 1-line block ×3, first 2 shown]
	global_load_ubyte v25, v[5:6], off
	global_load_dwordx2 v[3:4], v[13:14], off
	global_load_dwordx2 v[17:18], v[13:14], off offset:512
	global_load_dwordx2 v[19:20], v[13:14], off offset:1024
	;; [unrolled: 1-line block ×3, first 2 shown]
	v_add_u32_e32 v31, v7, v12
	v_add_u32_e32 v28, 64, v31
	;; [unrolled: 1-line block ×4, first 2 shown]
	s_sub_i32 s33, s2, s28
	s_cbranch_execz .LBB172_3
	s_branch .LBB172_17
.LBB172_2:
                                        ; implicit-def: $vgpr25
                                        ; implicit-def: $vgpr27
                                        ; implicit-def: $vgpr24
                                        ; implicit-def: $vgpr26
                                        ; implicit-def: $vgpr3_vgpr4
                                        ; implicit-def: $vgpr17_vgpr18
                                        ; implicit-def: $vgpr19_vgpr20
                                        ; implicit-def: $vgpr21_vgpr22
                                        ; implicit-def: $vgpr31
                                        ; implicit-def: $vgpr28
                                        ; implicit-def: $vgpr29
                                        ; implicit-def: $vgpr30
	s_sub_i32 s33, s2, s28
.LBB172_3:
	v_cmp_gt_u32_e32 vcc, s33, v9
	s_waitcnt vmcnt(6)
	v_mov_b32_e32 v24, 1
	s_waitcnt vmcnt(4)
	v_mov_b32_e32 v25, 1
	v_mov_b32_e32 v26, 1
	s_and_saveexec_b64 s[0:1], vcc
	s_cbranch_execz .LBB172_5
; %bb.4:
	global_load_ubyte v25, v[5:6], off
	v_mov_b32_e32 v26, 1
.LBB172_5:
	s_or_b64 exec, exec, s[0:1]
	v_add_u32_e32 v28, 64, v9
	v_cmp_gt_u32_e64 s[0:1], s33, v28
	v_mov_b32_e32 v27, v24
	s_and_saveexec_b64 s[2:3], s[0:1]
	s_cbranch_execz .LBB172_7
; %bb.6:
	global_load_ubyte v27, v[5:6], off offset:64
.LBB172_7:
	s_or_b64 exec, exec, s[2:3]
	v_add_u32_e32 v29, 0x80, v9
	v_cmp_gt_u32_e64 s[2:3], s33, v29
	s_and_saveexec_b64 s[6:7], s[2:3]
	s_cbranch_execz .LBB172_9
; %bb.8:
	global_load_ubyte v24, v[5:6], off offset:128
.LBB172_9:
	s_or_b64 exec, exec, s[6:7]
	v_add_u32_e32 v30, 0xc0, v9
	v_cmp_gt_u32_e64 s[6:7], s33, v30
	s_and_saveexec_b64 s[8:9], s[6:7]
	s_cbranch_execz .LBB172_11
; %bb.10:
	global_load_ubyte v26, v[5:6], off offset:192
.LBB172_11:
	s_or_b64 exec, exec, s[8:9]
	s_lshl_b64 s[8:9], s[28:29], 3
	s_add_u32 s8, s40, s8
	s_addc_u32 s9, s41, s9
	s_waitcnt vmcnt(3)
	v_mov_b32_e32 v3, s9
	v_add_co_u32_e64 v4, s[8:9], s8, v11
	v_addc_co_u32_e64 v3, s[8:9], 0, v3, s[8:9]
	v_add_co_u32_e64 v5, s[8:9], v4, v10
	v_addc_co_u32_e64 v6, s[8:9], 0, v3, s[8:9]
                                        ; implicit-def: $vgpr3_vgpr4
	s_and_saveexec_b64 s[8:9], vcc
	s_cbranch_execnz .LBB172_54
; %bb.12:
	s_or_b64 exec, exec, s[8:9]
                                        ; implicit-def: $vgpr17_vgpr18
	s_and_saveexec_b64 s[8:9], s[0:1]
	s_cbranch_execnz .LBB172_55
.LBB172_13:
	s_or_b64 exec, exec, s[8:9]
                                        ; implicit-def: $vgpr19_vgpr20
	s_and_saveexec_b64 s[0:1], s[2:3]
	s_cbranch_execnz .LBB172_56
.LBB172_14:
	s_or_b64 exec, exec, s[0:1]
                                        ; implicit-def: $vgpr21_vgpr22
	s_and_saveexec_b64 s[0:1], s[6:7]
	s_cbranch_execz .LBB172_16
.LBB172_15:
	global_load_dwordx2 v[21:22], v[5:6], off offset:1536
.LBB172_16:
	s_or_b64 exec, exec, s[0:1]
	v_mov_b32_e32 v31, v9
.LBB172_17:
	s_load_dword s0, s[4:5], 0x3c
	s_load_dwordx2 s[34:35], s[4:5], 0x28
	v_cmp_lt_u32_e64 s[10:11], 31, v7
	v_mul_lo_u32 v5, v28, 7
	v_mul_lo_u32 v6, v29, 7
	s_waitcnt lgkmcnt(0)
	s_lshr_b32 s1, s0, 16
	s_and_b32 s0, s0, 0xffff
	v_mad_u32_u24 v1, v2, s1, v1
	v_mad_u64_u32 v[1:2], s[0:1], v1, s0, v[0:1]
	v_and_b32_e32 v2, 15, v7
	v_cmp_eq_u32_e64 s[0:1], 0, v2
	v_lshrrev_b32_e32 v1, 4, v1
	v_and_b32_e32 v33, 0xffffffc, v1
	v_and_b32_e32 v1, 16, v7
	v_cmp_eq_u32_e64 s[8:9], 0, v1
	v_or_b32_e32 v1, 63, v0
	v_cmp_lt_u32_e64 s[2:3], 1, v2
	v_cmp_lt_u32_e64 s[4:5], 3, v2
	;; [unrolled: 1-line block ×3, first 2 shown]
	v_cmp_eq_u32_e64 s[12:13], v0, v1
	v_subrev_co_u32_e64 v1, s[18:19], 1, v7
	v_and_b32_e32 v2, 64, v7
	v_cmp_lt_i32_e32 vcc, v1, v2
	v_and_b32_e32 v2, 3, v7
	v_cndmask_b32_e32 v1, v1, v7, vcc
	v_cmp_eq_u32_e64 s[22:23], 0, v2
	v_cmp_lt_u32_e64 s[24:25], 1, v2
	v_mul_lo_u32 v2, v31, 7
	v_mul_lo_u32 v7, v30, 7
	s_mov_b32 s26, 0
	v_lshlrev_b32_e32 v34, 2, v1
	v_lshrrev_b32_e32 v1, 4, v0
	s_mov_b32 s40, s26
	v_lshlrev_b32_e32 v32, 2, v8
	v_and_b32_e32 v35, 12, v1
	v_mul_i32_i24_e32 v1, -12, v0
	s_mov_b32 s27, s26
	s_mov_b32 s41, s26
	v_mov_b32_e32 v13, s26
	v_mov_b32_e32 v15, s40
	s_add_i32 s36, s35, s34
	v_cmp_gt_u32_e64 s[14:15], 4, v0
	v_cmp_lt_u32_e64 s[16:17], 63, v0
	v_cmp_eq_u32_e64 s[20:21], 0, v0
	v_add_u32_e32 v36, -4, v35
	v_mov_b32_e32 v14, s27
	v_mov_b32_e32 v16, s41
	v_add_u32_e32 v37, v32, v1
	v_add_u32_e32 v38, v31, v2
	;; [unrolled: 1-line block ×5, first 2 shown]
	s_branch .LBB172_19
.LBB172_18:                             ;   in Loop: Header=BB172_19 Depth=1
	s_andn2_b64 vcc, exec, s[26:27]
	s_cbranch_vccz .LBB172_35
.LBB172_19:                             ; =>This Inner Loop Header: Depth=1
	s_min_u32 s26, s35, 8
	s_lshl_b32 s26, -1, s26
	s_not_b32 s37, s26
	s_waitcnt vmcnt(0)
	v_lshrrev_b32_sdwa v1, s34, v25 dst_sel:DWORD dst_unused:UNUSED_PAD src0_sel:DWORD src1_sel:BYTE_0
	v_mov_b32_e32 v12, v4
	v_and_b32_e32 v1, s37, v1
	v_mov_b32_e32 v11, v3
	v_lshlrev_b32_e32 v3, 4, v1
	v_cmp_ne_u32_e32 vcc, 0, v1
	v_add_co_u32_e64 v1, s[26:27], -1, v1
	v_addc_co_u32_e64 v2, s[26:27], 0, -1, s[26:27]
	v_xor_b32_e32 v1, vcc_lo, v1
	v_xor_b32_e32 v2, vcc_hi, v2
	v_and_b32_e32 v1, exec_lo, v1
	v_mov_b32_e32 v9, v17
	v_and_b32_e32 v2, exec_hi, v2
	v_mbcnt_lo_u32_b32 v4, v1, 0
	v_mov_b32_e32 v10, v18
	v_mbcnt_hi_u32_b32 v17, v2, v4
	v_cmp_ne_u64_e32 vcc, 0, v[1:2]
	v_mov_b32_e32 v7, v19
	v_mov_b32_e32 v5, v21
	v_cmp_eq_u32_e64 s[26:27], 0, v17
	v_mov_b32_e32 v8, v20
	v_mov_b32_e32 v6, v22
	s_and_b64 s[40:41], vcc, s[26:27]
	v_add_u32_e32 v18, v33, v3
	ds_write2_b64 v32, v[13:14], v[15:16] offset0:2 offset1:3
	s_waitcnt lgkmcnt(0)
	s_barrier
	; wave barrier
	s_and_saveexec_b64 s[26:27], s[40:41]
; %bb.20:                               ;   in Loop: Header=BB172_19 Depth=1
	v_bcnt_u32_b32 v1, v1, 0
	v_bcnt_u32_b32 v1, v2, v1
	ds_write_b32 v18, v1 offset:16
; %bb.21:                               ;   in Loop: Header=BB172_19 Depth=1
	s_or_b64 exec, exec, s[26:27]
	v_lshrrev_b32_sdwa v1, s34, v27 dst_sel:DWORD dst_unused:UNUSED_PAD src0_sel:DWORD src1_sel:BYTE_0
	v_and_b32_e32 v1, s37, v1
	v_lshlrev_b32_e32 v2, 4, v1
	v_cmp_ne_u32_e32 vcc, 0, v1
	v_add_co_u32_e64 v1, s[26:27], -1, v1
	v_add_u32_e32 v20, v33, v2
	v_addc_co_u32_e64 v2, s[26:27], 0, -1, s[26:27]
	v_xor_b32_e32 v1, vcc_lo, v1
	; wave barrier
	ds_read_b32 v19, v20 offset:16
	v_xor_b32_e32 v2, vcc_hi, v2
	v_and_b32_e32 v1, exec_lo, v1
	v_and_b32_e32 v2, exec_hi, v2
	v_mbcnt_lo_u32_b32 v3, v1, 0
	v_mbcnt_hi_u32_b32 v21, v2, v3
	v_cmp_ne_u64_e32 vcc, 0, v[1:2]
	v_cmp_eq_u32_e64 s[26:27], 0, v21
	s_and_b64 s[40:41], vcc, s[26:27]
	; wave barrier
	s_and_saveexec_b64 s[26:27], s[40:41]
	s_cbranch_execz .LBB172_23
; %bb.22:                               ;   in Loop: Header=BB172_19 Depth=1
	v_bcnt_u32_b32 v1, v1, 0
	v_bcnt_u32_b32 v1, v2, v1
	s_waitcnt lgkmcnt(0)
	v_add_u32_e32 v1, v19, v1
	ds_write_b32 v20, v1 offset:16
.LBB172_23:                             ;   in Loop: Header=BB172_19 Depth=1
	s_or_b64 exec, exec, s[26:27]
	v_lshrrev_b32_sdwa v1, s34, v24 dst_sel:DWORD dst_unused:UNUSED_PAD src0_sel:DWORD src1_sel:BYTE_0
	v_and_b32_e32 v1, s37, v1
	v_lshlrev_b32_e32 v2, 4, v1
	v_cmp_ne_u32_e32 vcc, 0, v1
	v_add_co_u32_e64 v1, s[26:27], -1, v1
	v_add_u32_e32 v23, v33, v2
	v_addc_co_u32_e64 v2, s[26:27], 0, -1, s[26:27]
	v_xor_b32_e32 v1, vcc_lo, v1
	; wave barrier
	ds_read_b32 v22, v23 offset:16
	v_xor_b32_e32 v2, vcc_hi, v2
	v_and_b32_e32 v1, exec_lo, v1
	v_and_b32_e32 v2, exec_hi, v2
	v_mbcnt_lo_u32_b32 v3, v1, 0
	v_mbcnt_hi_u32_b32 v42, v2, v3
	v_cmp_ne_u64_e32 vcc, 0, v[1:2]
	v_cmp_eq_u32_e64 s[26:27], 0, v42
	s_and_b64 s[40:41], vcc, s[26:27]
	; wave barrier
	s_and_saveexec_b64 s[26:27], s[40:41]
	s_cbranch_execz .LBB172_25
; %bb.24:                               ;   in Loop: Header=BB172_19 Depth=1
	v_bcnt_u32_b32 v1, v1, 0
	v_bcnt_u32_b32 v1, v2, v1
	s_waitcnt lgkmcnt(0)
	v_add_u32_e32 v1, v22, v1
	ds_write_b32 v23, v1 offset:16
.LBB172_25:                             ;   in Loop: Header=BB172_19 Depth=1
	;; [unrolled: 29-line block ×3, first 2 shown]
	s_or_b64 exec, exec, s[26:27]
	; wave barrier
	s_waitcnt lgkmcnt(0)
	s_barrier
	ds_read2_b64 v[1:4], v32 offset0:2 offset1:3
	s_waitcnt lgkmcnt(0)
	v_add_u32_e32 v45, v2, v1
	v_add3_u32 v4, v45, v3, v4
	s_nop 1
	v_mov_b32_dpp v45, v4 row_shr:1 row_mask:0xf bank_mask:0xf
	v_cndmask_b32_e64 v45, v45, 0, s[0:1]
	v_add_u32_e32 v4, v45, v4
	s_nop 1
	v_mov_b32_dpp v45, v4 row_shr:2 row_mask:0xf bank_mask:0xf
	v_cndmask_b32_e64 v45, 0, v45, s[2:3]
	v_add_u32_e32 v4, v4, v45
	;; [unrolled: 4-line block ×4, first 2 shown]
	s_nop 1
	v_mov_b32_dpp v45, v4 row_bcast:15 row_mask:0xf bank_mask:0xf
	v_cndmask_b32_e64 v45, v45, 0, s[8:9]
	v_add_u32_e32 v4, v4, v45
	s_nop 1
	v_mov_b32_dpp v45, v4 row_bcast:31 row_mask:0xf bank_mask:0xf
	v_cndmask_b32_e64 v45, 0, v45, s[10:11]
	v_add_u32_e32 v4, v4, v45
	s_and_saveexec_b64 s[26:27], s[12:13]
; %bb.28:                               ;   in Loop: Header=BB172_19 Depth=1
	ds_write_b32 v35, v4
; %bb.29:                               ;   in Loop: Header=BB172_19 Depth=1
	s_or_b64 exec, exec, s[26:27]
	s_waitcnt lgkmcnt(0)
	s_barrier
	s_and_saveexec_b64 s[26:27], s[14:15]
	s_cbranch_execz .LBB172_31
; %bb.30:                               ;   in Loop: Header=BB172_19 Depth=1
	ds_read_b32 v45, v37
	s_waitcnt lgkmcnt(0)
	s_nop 0
	v_mov_b32_dpp v46, v45 row_shr:1 row_mask:0xf bank_mask:0xf
	v_cndmask_b32_e64 v46, v46, 0, s[22:23]
	v_add_u32_e32 v45, v46, v45
	s_nop 1
	v_mov_b32_dpp v46, v45 row_shr:2 row_mask:0xf bank_mask:0xf
	v_cndmask_b32_e64 v46, 0, v46, s[24:25]
	v_add_u32_e32 v45, v45, v46
	ds_write_b32 v37, v45
.LBB172_31:                             ;   in Loop: Header=BB172_19 Depth=1
	s_or_b64 exec, exec, s[26:27]
	v_mov_b32_e32 v49, 0
	s_waitcnt lgkmcnt(0)
	s_barrier
	s_and_saveexec_b64 s[26:27], s[16:17]
; %bb.32:                               ;   in Loop: Header=BB172_19 Depth=1
	ds_read_b32 v49, v36
; %bb.33:                               ;   in Loop: Header=BB172_19 Depth=1
	s_or_b64 exec, exec, s[26:27]
	s_waitcnt lgkmcnt(0)
	v_add_u32_e32 v4, v49, v4
	ds_bpermute_b32 v4, v34, v4
	s_add_i32 s34, s34, 8
	v_mov_b32_e32 v45, v25
	v_mov_b32_e32 v46, v27
	;; [unrolled: 1-line block ×3, first 2 shown]
	s_waitcnt lgkmcnt(0)
	v_cndmask_b32_e64 v4, v4, v49, s[18:19]
	v_cndmask_b32_e64 v49, v4, 0, s[20:21]
	v_add_u32_e32 v50, v49, v1
	v_add_u32_e32 v1, v50, v2
	;; [unrolled: 1-line block ×3, first 2 shown]
	ds_write2_b64 v32, v[49:50], v[1:2] offset0:2 offset1:3
	s_waitcnt lgkmcnt(0)
	s_barrier
	ds_read_b32 v1, v18 offset:16
	ds_read_b32 v2, v20 offset:16
	;; [unrolled: 1-line block ×4, first 2 shown]
	v_mov_b32_e32 v49, v26
	s_waitcnt lgkmcnt(3)
	v_add_u32_e32 v44, v1, v17
	s_waitcnt lgkmcnt(2)
	v_add3_u32 v23, v21, v19, v2
	s_waitcnt lgkmcnt(1)
	v_add3_u32 v2, v42, v22, v3
	v_mul_lo_u32 v42, v44, 7
	s_waitcnt lgkmcnt(0)
	v_add3_u32 v1, v48, v43, v4
	s_cmp_ge_u32 s34, s36
	s_mov_b64 s[26:27], -1
                                        ; implicit-def: $vgpr3_vgpr4
                                        ; implicit-def: $vgpr17_vgpr18
                                        ; implicit-def: $vgpr19_vgpr20
                                        ; implicit-def: $vgpr21_vgpr22
	s_cbranch_scc1 .LBB172_18
; %bb.34:                               ;   in Loop: Header=BB172_19 Depth=1
	s_barrier
	ds_write_b8 v44, v25
	ds_write_b8 v23, v27
	;; [unrolled: 1-line block ×4, first 2 shown]
	s_waitcnt lgkmcnt(0)
	s_barrier
	ds_read_u8 v26, v30
	ds_read_u8 v24, v29
	;; [unrolled: 1-line block ×4, first 2 shown]
	v_add_u32_e32 v20, v44, v42
	s_waitcnt lgkmcnt(0)
	v_mad_u64_u32 v[3:4], s[26:27], v23, 7, v[23:24]
	s_barrier
	v_mad_u64_u32 v[17:18], s[26:27], v2, 7, v[2:3]
	v_mad_u64_u32 v[18:19], s[26:27], v1, 7, v[1:2]
	ds_write_b64 v20, v[11:12]
	ds_write_b64 v3, v[9:10]
	;; [unrolled: 1-line block ×4, first 2 shown]
	s_waitcnt lgkmcnt(0)
	s_barrier
	ds_read_b64 v[3:4], v38
	ds_read_b64 v[17:18], v39
	;; [unrolled: 1-line block ×4, first 2 shown]
	s_add_i32 s35, s35, -8
	s_mov_b64 s[26:27], 0
	s_waitcnt lgkmcnt(0)
	s_barrier
	s_branch .LBB172_18
.LBB172_35:
	v_mad_u64_u32 v[3:4], s[0:1], v23, 7, v[23:24]
	s_barrier
	v_mad_u64_u32 v[17:18], s[0:1], v2, 7, v[2:3]
	ds_write_b8 v44, v45
	ds_write_b8 v23, v46
	ds_write_b8 v2, v47
	ds_write_b8 v1, v49
	s_waitcnt lgkmcnt(0)
	s_barrier
	ds_read_u8 v16, v0
	ds_read_u8 v15, v0 offset:256
	ds_read_u8 v14, v0 offset:512
	;; [unrolled: 1-line block ×3, first 2 shown]
	v_add_u32_e32 v19, v44, v42
	v_mad_u64_u32 v[1:2], s[0:1], v1, 7, v[1:2]
	s_waitcnt lgkmcnt(0)
	s_barrier
	ds_write_b64 v19, v[11:12]
	ds_write_b64 v3, v[9:10]
	;; [unrolled: 1-line block ×4, first 2 shown]
	v_mad_u32_u24 v1, v0, 7, v0
	s_waitcnt lgkmcnt(0)
	s_barrier
	ds_read2st64_b64 v[5:8], v1 offset1:4
	ds_read2st64_b64 v[1:4], v1 offset0:8 offset1:12
	s_add_u32 s0, s38, s28
	s_addc_u32 s1, s39, 0
	v_mov_b32_e32 v10, s1
	v_add_co_u32_e32 v9, vcc, s0, v0
	v_addc_co_u32_e32 v10, vcc, 0, v10, vcc
	s_andn2_b64 vcc, exec, s[30:31]
	v_lshlrev_b32_e32 v11, 3, v0
	s_cbranch_vccnz .LBB172_37
; %bb.36:
	s_lshl_b64 s[0:1], s[28:29], 3
	s_add_u32 s0, s42, s0
	s_addc_u32 s1, s43, s1
	v_mov_b32_e32 v12, s1
	v_add_co_u32_e32 v17, vcc, s0, v11
	v_addc_co_u32_e32 v12, vcc, 0, v12, vcc
	v_add_co_u32_e32 v17, vcc, 0x1000, v17
	global_store_byte v[9:10], v16, off
	global_store_byte v[9:10], v15, off offset:256
	global_store_byte v[9:10], v14, off offset:512
	global_store_byte v[9:10], v13, off offset:768
	s_waitcnt lgkmcnt(1)
	global_store_dwordx2 v11, v[5:6], s[0:1]
	global_store_dwordx2 v11, v[7:8], s[0:1] offset:2048
	v_addc_co_u32_e32 v18, vcc, 0, v12, vcc
	s_mov_b64 s[6:7], -1
	s_waitcnt lgkmcnt(0)
	global_store_dwordx2 v[17:18], v[1:2], off
	s_cbranch_execz .LBB172_38
	s_branch .LBB172_51
.LBB172_37:
	s_mov_b64 s[6:7], 0
.LBB172_38:
	v_cmp_gt_u32_e32 vcc, s33, v0
	s_and_saveexec_b64 s[0:1], vcc
	s_cbranch_execz .LBB172_40
; %bb.39:
	global_store_byte v[9:10], v16, off
.LBB172_40:
	s_or_b64 exec, exec, s[0:1]
	v_or_b32_e32 v12, 0x100, v0
	v_cmp_gt_u32_e64 s[0:1], s33, v12
	s_and_saveexec_b64 s[2:3], s[0:1]
	s_cbranch_execz .LBB172_42
; %bb.41:
	global_store_byte v[9:10], v15, off offset:256
.LBB172_42:
	s_or_b64 exec, exec, s[2:3]
	v_or_b32_e32 v12, 0x200, v0
	v_cmp_gt_u32_e64 s[2:3], s33, v12
	s_and_saveexec_b64 s[4:5], s[2:3]
	s_cbranch_execz .LBB172_44
; %bb.43:
	global_store_byte v[9:10], v14, off offset:512
.LBB172_44:
	;; [unrolled: 8-line block ×3, first 2 shown]
	s_or_b64 exec, exec, s[4:5]
	s_lshl_b64 s[4:5], s[28:29], 3
	s_add_u32 s4, s42, s4
	s_addc_u32 s5, s43, s5
	v_mov_b32_e32 v0, s5
	v_add_co_u32_e64 v9, s[4:5], s4, v11
	v_addc_co_u32_e64 v10, s[4:5], 0, v0, s[4:5]
	s_and_saveexec_b64 s[4:5], vcc
	s_cbranch_execnz .LBB172_57
; %bb.47:
	s_or_b64 exec, exec, s[4:5]
	s_and_saveexec_b64 s[4:5], s[0:1]
	s_cbranch_execnz .LBB172_58
.LBB172_48:
	s_or_b64 exec, exec, s[4:5]
	s_and_saveexec_b64 s[0:1], s[2:3]
	s_cbranch_execz .LBB172_50
.LBB172_49:
	s_waitcnt lgkmcnt(1)
	v_add_co_u32_e32 v5, vcc, 0x1000, v9
	v_addc_co_u32_e32 v6, vcc, 0, v10, vcc
	s_waitcnt lgkmcnt(0)
	global_store_dwordx2 v[5:6], v[1:2], off
.LBB172_50:
	s_or_b64 exec, exec, s[0:1]
.LBB172_51:
	s_and_saveexec_b64 s[0:1], s[6:7]
	s_cbranch_execnz .LBB172_53
; %bb.52:
	s_endpgm
.LBB172_53:
	s_lshl_b64 s[0:1], s[28:29], 3
	s_add_u32 s0, s42, s0
	s_addc_u32 s1, s43, s1
	v_mov_b32_e32 v0, s1
	s_waitcnt lgkmcnt(0)
	v_add_co_u32_e32 v1, vcc, s0, v11
	v_addc_co_u32_e32 v2, vcc, 0, v0, vcc
	v_add_co_u32_e32 v0, vcc, 0x1000, v1
	v_addc_co_u32_e32 v1, vcc, 0, v2, vcc
	global_store_dwordx2 v[0:1], v[3:4], off offset:2048
	s_endpgm
.LBB172_54:
	global_load_dwordx2 v[3:4], v[5:6], off
	s_or_b64 exec, exec, s[8:9]
                                        ; implicit-def: $vgpr17_vgpr18
	s_and_saveexec_b64 s[8:9], s[0:1]
	s_cbranch_execz .LBB172_13
.LBB172_55:
	global_load_dwordx2 v[17:18], v[5:6], off offset:512
	s_or_b64 exec, exec, s[8:9]
                                        ; implicit-def: $vgpr19_vgpr20
	s_and_saveexec_b64 s[0:1], s[2:3]
	s_cbranch_execz .LBB172_14
.LBB172_56:
	global_load_dwordx2 v[19:20], v[5:6], off offset:1024
	s_or_b64 exec, exec, s[0:1]
                                        ; implicit-def: $vgpr21_vgpr22
	s_and_saveexec_b64 s[0:1], s[6:7]
	s_cbranch_execnz .LBB172_15
	s_branch .LBB172_16
.LBB172_57:
	s_waitcnt lgkmcnt(1)
	global_store_dwordx2 v[9:10], v[5:6], off
	s_or_b64 exec, exec, s[4:5]
	s_and_saveexec_b64 s[4:5], s[0:1]
	s_cbranch_execz .LBB172_48
.LBB172_58:
	s_waitcnt lgkmcnt(1)
	global_store_dwordx2 v[9:10], v[7:8], off offset:2048
	s_or_b64 exec, exec, s[4:5]
	s_and_saveexec_b64 s[0:1], s[2:3]
	s_cbranch_execnz .LBB172_49
	s_branch .LBB172_50
	.section	.rodata,"a",@progbits
	.p2align	6, 0x0
	.amdhsa_kernel _ZN7rocprim17ROCPRIM_304000_NS6detail28radix_sort_block_sort_kernelINS1_36wrapped_radix_sort_block_sort_configINS0_13kernel_configILj256ELj4ELj4294967295EEEbN2at4cuda3cub6detail10OpaqueTypeILi8EEEEELb0EPKbPbPKSB_PSB_NS0_19identity_decomposerEEEvT1_T2_T3_T4_jT5_jj
		.amdhsa_group_segment_fixed_size 8192
		.amdhsa_private_segment_fixed_size 0
		.amdhsa_kernarg_size 304
		.amdhsa_user_sgpr_count 6
		.amdhsa_user_sgpr_private_segment_buffer 1
		.amdhsa_user_sgpr_dispatch_ptr 0
		.amdhsa_user_sgpr_queue_ptr 0
		.amdhsa_user_sgpr_kernarg_segment_ptr 1
		.amdhsa_user_sgpr_dispatch_id 0
		.amdhsa_user_sgpr_flat_scratch_init 0
		.amdhsa_user_sgpr_private_segment_size 0
		.amdhsa_uses_dynamic_stack 0
		.amdhsa_system_sgpr_private_segment_wavefront_offset 0
		.amdhsa_system_sgpr_workgroup_id_x 1
		.amdhsa_system_sgpr_workgroup_id_y 0
		.amdhsa_system_sgpr_workgroup_id_z 0
		.amdhsa_system_sgpr_workgroup_info 0
		.amdhsa_system_vgpr_workitem_id 2
		.amdhsa_next_free_vgpr 51
		.amdhsa_next_free_sgpr 61
		.amdhsa_reserve_vcc 1
		.amdhsa_reserve_flat_scratch 0
		.amdhsa_float_round_mode_32 0
		.amdhsa_float_round_mode_16_64 0
		.amdhsa_float_denorm_mode_32 3
		.amdhsa_float_denorm_mode_16_64 3
		.amdhsa_dx10_clamp 1
		.amdhsa_ieee_mode 1
		.amdhsa_fp16_overflow 0
		.amdhsa_exception_fp_ieee_invalid_op 0
		.amdhsa_exception_fp_denorm_src 0
		.amdhsa_exception_fp_ieee_div_zero 0
		.amdhsa_exception_fp_ieee_overflow 0
		.amdhsa_exception_fp_ieee_underflow 0
		.amdhsa_exception_fp_ieee_inexact 0
		.amdhsa_exception_int_div_zero 0
	.end_amdhsa_kernel
	.section	.text._ZN7rocprim17ROCPRIM_304000_NS6detail28radix_sort_block_sort_kernelINS1_36wrapped_radix_sort_block_sort_configINS0_13kernel_configILj256ELj4ELj4294967295EEEbN2at4cuda3cub6detail10OpaqueTypeILi8EEEEELb0EPKbPbPKSB_PSB_NS0_19identity_decomposerEEEvT1_T2_T3_T4_jT5_jj,"axG",@progbits,_ZN7rocprim17ROCPRIM_304000_NS6detail28radix_sort_block_sort_kernelINS1_36wrapped_radix_sort_block_sort_configINS0_13kernel_configILj256ELj4ELj4294967295EEEbN2at4cuda3cub6detail10OpaqueTypeILi8EEEEELb0EPKbPbPKSB_PSB_NS0_19identity_decomposerEEEvT1_T2_T3_T4_jT5_jj,comdat
.Lfunc_end172:
	.size	_ZN7rocprim17ROCPRIM_304000_NS6detail28radix_sort_block_sort_kernelINS1_36wrapped_radix_sort_block_sort_configINS0_13kernel_configILj256ELj4ELj4294967295EEEbN2at4cuda3cub6detail10OpaqueTypeILi8EEEEELb0EPKbPbPKSB_PSB_NS0_19identity_decomposerEEEvT1_T2_T3_T4_jT5_jj, .Lfunc_end172-_ZN7rocprim17ROCPRIM_304000_NS6detail28radix_sort_block_sort_kernelINS1_36wrapped_radix_sort_block_sort_configINS0_13kernel_configILj256ELj4ELj4294967295EEEbN2at4cuda3cub6detail10OpaqueTypeILi8EEEEELb0EPKbPbPKSB_PSB_NS0_19identity_decomposerEEEvT1_T2_T3_T4_jT5_jj
                                        ; -- End function
	.set _ZN7rocprim17ROCPRIM_304000_NS6detail28radix_sort_block_sort_kernelINS1_36wrapped_radix_sort_block_sort_configINS0_13kernel_configILj256ELj4ELj4294967295EEEbN2at4cuda3cub6detail10OpaqueTypeILi8EEEEELb0EPKbPbPKSB_PSB_NS0_19identity_decomposerEEEvT1_T2_T3_T4_jT5_jj.num_vgpr, 51
	.set _ZN7rocprim17ROCPRIM_304000_NS6detail28radix_sort_block_sort_kernelINS1_36wrapped_radix_sort_block_sort_configINS0_13kernel_configILj256ELj4ELj4294967295EEEbN2at4cuda3cub6detail10OpaqueTypeILi8EEEEELb0EPKbPbPKSB_PSB_NS0_19identity_decomposerEEEvT1_T2_T3_T4_jT5_jj.num_agpr, 0
	.set _ZN7rocprim17ROCPRIM_304000_NS6detail28radix_sort_block_sort_kernelINS1_36wrapped_radix_sort_block_sort_configINS0_13kernel_configILj256ELj4ELj4294967295EEEbN2at4cuda3cub6detail10OpaqueTypeILi8EEEEELb0EPKbPbPKSB_PSB_NS0_19identity_decomposerEEEvT1_T2_T3_T4_jT5_jj.numbered_sgpr, 44
	.set _ZN7rocprim17ROCPRIM_304000_NS6detail28radix_sort_block_sort_kernelINS1_36wrapped_radix_sort_block_sort_configINS0_13kernel_configILj256ELj4ELj4294967295EEEbN2at4cuda3cub6detail10OpaqueTypeILi8EEEEELb0EPKbPbPKSB_PSB_NS0_19identity_decomposerEEEvT1_T2_T3_T4_jT5_jj.num_named_barrier, 0
	.set _ZN7rocprim17ROCPRIM_304000_NS6detail28radix_sort_block_sort_kernelINS1_36wrapped_radix_sort_block_sort_configINS0_13kernel_configILj256ELj4ELj4294967295EEEbN2at4cuda3cub6detail10OpaqueTypeILi8EEEEELb0EPKbPbPKSB_PSB_NS0_19identity_decomposerEEEvT1_T2_T3_T4_jT5_jj.private_seg_size, 0
	.set _ZN7rocprim17ROCPRIM_304000_NS6detail28radix_sort_block_sort_kernelINS1_36wrapped_radix_sort_block_sort_configINS0_13kernel_configILj256ELj4ELj4294967295EEEbN2at4cuda3cub6detail10OpaqueTypeILi8EEEEELb0EPKbPbPKSB_PSB_NS0_19identity_decomposerEEEvT1_T2_T3_T4_jT5_jj.uses_vcc, 1
	.set _ZN7rocprim17ROCPRIM_304000_NS6detail28radix_sort_block_sort_kernelINS1_36wrapped_radix_sort_block_sort_configINS0_13kernel_configILj256ELj4ELj4294967295EEEbN2at4cuda3cub6detail10OpaqueTypeILi8EEEEELb0EPKbPbPKSB_PSB_NS0_19identity_decomposerEEEvT1_T2_T3_T4_jT5_jj.uses_flat_scratch, 0
	.set _ZN7rocprim17ROCPRIM_304000_NS6detail28radix_sort_block_sort_kernelINS1_36wrapped_radix_sort_block_sort_configINS0_13kernel_configILj256ELj4ELj4294967295EEEbN2at4cuda3cub6detail10OpaqueTypeILi8EEEEELb0EPKbPbPKSB_PSB_NS0_19identity_decomposerEEEvT1_T2_T3_T4_jT5_jj.has_dyn_sized_stack, 0
	.set _ZN7rocprim17ROCPRIM_304000_NS6detail28radix_sort_block_sort_kernelINS1_36wrapped_radix_sort_block_sort_configINS0_13kernel_configILj256ELj4ELj4294967295EEEbN2at4cuda3cub6detail10OpaqueTypeILi8EEEEELb0EPKbPbPKSB_PSB_NS0_19identity_decomposerEEEvT1_T2_T3_T4_jT5_jj.has_recursion, 0
	.set _ZN7rocprim17ROCPRIM_304000_NS6detail28radix_sort_block_sort_kernelINS1_36wrapped_radix_sort_block_sort_configINS0_13kernel_configILj256ELj4ELj4294967295EEEbN2at4cuda3cub6detail10OpaqueTypeILi8EEEEELb0EPKbPbPKSB_PSB_NS0_19identity_decomposerEEEvT1_T2_T3_T4_jT5_jj.has_indirect_call, 0
	.section	.AMDGPU.csdata,"",@progbits
; Kernel info:
; codeLenInByte = 2864
; TotalNumSgprs: 48
; NumVgprs: 51
; ScratchSize: 0
; MemoryBound: 0
; FloatMode: 240
; IeeeMode: 1
; LDSByteSize: 8192 bytes/workgroup (compile time only)
; SGPRBlocks: 8
; VGPRBlocks: 12
; NumSGPRsForWavesPerEU: 65
; NumVGPRsForWavesPerEU: 51
; Occupancy: 4
; WaveLimiterHint : 1
; COMPUTE_PGM_RSRC2:SCRATCH_EN: 0
; COMPUTE_PGM_RSRC2:USER_SGPR: 6
; COMPUTE_PGM_RSRC2:TRAP_HANDLER: 0
; COMPUTE_PGM_RSRC2:TGID_X_EN: 1
; COMPUTE_PGM_RSRC2:TGID_Y_EN: 0
; COMPUTE_PGM_RSRC2:TGID_Z_EN: 0
; COMPUTE_PGM_RSRC2:TIDIG_COMP_CNT: 2
	.section	.text._ZN7rocprim17ROCPRIM_304000_NS6detail45device_block_merge_mergepath_partition_kernelINS1_37wrapped_merge_sort_block_merge_configINS0_14default_configEbN2at4cuda3cub6detail10OpaqueTypeILi8EEEEEPbjNS1_19radix_merge_compareILb0ELb0EbNS0_19identity_decomposerEEEEEvT0_T1_jPSH_T2_SH_,"axG",@progbits,_ZN7rocprim17ROCPRIM_304000_NS6detail45device_block_merge_mergepath_partition_kernelINS1_37wrapped_merge_sort_block_merge_configINS0_14default_configEbN2at4cuda3cub6detail10OpaqueTypeILi8EEEEEPbjNS1_19radix_merge_compareILb0ELb0EbNS0_19identity_decomposerEEEEEvT0_T1_jPSH_T2_SH_,comdat
	.protected	_ZN7rocprim17ROCPRIM_304000_NS6detail45device_block_merge_mergepath_partition_kernelINS1_37wrapped_merge_sort_block_merge_configINS0_14default_configEbN2at4cuda3cub6detail10OpaqueTypeILi8EEEEEPbjNS1_19radix_merge_compareILb0ELb0EbNS0_19identity_decomposerEEEEEvT0_T1_jPSH_T2_SH_ ; -- Begin function _ZN7rocprim17ROCPRIM_304000_NS6detail45device_block_merge_mergepath_partition_kernelINS1_37wrapped_merge_sort_block_merge_configINS0_14default_configEbN2at4cuda3cub6detail10OpaqueTypeILi8EEEEEPbjNS1_19radix_merge_compareILb0ELb0EbNS0_19identity_decomposerEEEEEvT0_T1_jPSH_T2_SH_
	.globl	_ZN7rocprim17ROCPRIM_304000_NS6detail45device_block_merge_mergepath_partition_kernelINS1_37wrapped_merge_sort_block_merge_configINS0_14default_configEbN2at4cuda3cub6detail10OpaqueTypeILi8EEEEEPbjNS1_19radix_merge_compareILb0ELb0EbNS0_19identity_decomposerEEEEEvT0_T1_jPSH_T2_SH_
	.p2align	8
	.type	_ZN7rocprim17ROCPRIM_304000_NS6detail45device_block_merge_mergepath_partition_kernelINS1_37wrapped_merge_sort_block_merge_configINS0_14default_configEbN2at4cuda3cub6detail10OpaqueTypeILi8EEEEEPbjNS1_19radix_merge_compareILb0ELb0EbNS0_19identity_decomposerEEEEEvT0_T1_jPSH_T2_SH_,@function
_ZN7rocprim17ROCPRIM_304000_NS6detail45device_block_merge_mergepath_partition_kernelINS1_37wrapped_merge_sort_block_merge_configINS0_14default_configEbN2at4cuda3cub6detail10OpaqueTypeILi8EEEEEPbjNS1_19radix_merge_compareILb0ELb0EbNS0_19identity_decomposerEEEEEvT0_T1_jPSH_T2_SH_: ; @_ZN7rocprim17ROCPRIM_304000_NS6detail45device_block_merge_mergepath_partition_kernelINS1_37wrapped_merge_sort_block_merge_configINS0_14default_configEbN2at4cuda3cub6detail10OpaqueTypeILi8EEEEEPbjNS1_19radix_merge_compareILb0ELb0EbNS0_19identity_decomposerEEEEEvT0_T1_jPSH_T2_SH_
; %bb.0:
	s_load_dwordx2 s[0:1], s[4:5], 0x8
	v_lshl_or_b32 v0, s6, 7, v0
	s_waitcnt lgkmcnt(0)
	v_cmp_gt_u32_e32 vcc, s1, v0
	s_and_saveexec_b64 s[2:3], vcc
	s_cbranch_execz .LBB173_6
; %bb.1:
	s_load_dword s1, s[4:5], 0x1c
	s_waitcnt lgkmcnt(0)
	s_lshr_b32 s2, s1, 9
	s_and_b32 s2, s2, 0x7ffffe
	s_add_i32 s3, s2, -1
	s_sub_i32 s2, 0, s2
	v_and_b32_e32 v1, s2, v0
	v_lshlrev_b32_e32 v3, 10, v1
	v_min_u32_e32 v1, s0, v3
	v_add_u32_e32 v3, s1, v3
	v_min_u32_e32 v7, s0, v3
	v_add_u32_e32 v3, s1, v7
	v_and_b32_e32 v2, s3, v0
	v_min_u32_e32 v4, s0, v3
	v_lshlrev_b32_e32 v2, 10, v2
	v_sub_u32_e32 v3, v4, v1
	v_min_u32_e32 v3, v3, v2
	v_sub_u32_e32 v5, v7, v1
	v_sub_u32_e32 v2, v4, v7
	v_sub_u32_e64 v2, v3, v2 clamp
	v_min_u32_e32 v4, v3, v5
	v_cmp_lt_u32_e32 vcc, v2, v4
	s_and_saveexec_b64 s[0:1], vcc
	s_cbranch_execz .LBB173_5
; %bb.2:
	s_load_dwordx2 s[2:3], s[4:5], 0x0
	s_waitcnt lgkmcnt(0)
	v_mov_b32_e32 v8, s3
	v_add_co_u32_e32 v5, vcc, s2, v1
	v_addc_co_u32_e32 v6, vcc, 0, v8, vcc
	v_add_co_u32_e32 v7, vcc, s2, v7
	v_addc_co_u32_e32 v8, vcc, 0, v8, vcc
	s_mov_b64 s[2:3], 0
.LBB173_3:                              ; =>This Inner Loop Header: Depth=1
	v_add_u32_e32 v9, v4, v2
	v_lshrrev_b32_e32 v13, 1, v9
	v_add_co_u32_e32 v9, vcc, v5, v13
	v_xad_u32 v11, v13, -1, v3
	v_addc_co_u32_e32 v10, vcc, 0, v6, vcc
	v_add_co_u32_e32 v11, vcc, v7, v11
	v_addc_co_u32_e32 v12, vcc, 0, v8, vcc
	global_load_ubyte v14, v[9:10], off
	global_load_ubyte v15, v[11:12], off
	v_add_u32_e32 v9, 1, v13
	s_waitcnt vmcnt(0)
	v_cmp_gt_u16_e32 vcc, v14, v15
	v_cndmask_b32_e32 v4, v4, v13, vcc
	v_cndmask_b32_e32 v2, v9, v2, vcc
	v_cmp_ge_u32_e32 vcc, v2, v4
	s_or_b64 s[2:3], vcc, s[2:3]
	s_andn2_b64 exec, exec, s[2:3]
	s_cbranch_execnz .LBB173_3
; %bb.4:
	s_or_b64 exec, exec, s[2:3]
.LBB173_5:
	s_or_b64 exec, exec, s[0:1]
	s_load_dwordx2 s[0:1], s[4:5], 0x10
	v_add_u32_e32 v2, v2, v1
	v_mov_b32_e32 v1, 0
	v_lshlrev_b64 v[0:1], 2, v[0:1]
	s_waitcnt lgkmcnt(0)
	v_mov_b32_e32 v3, s1
	v_add_co_u32_e32 v0, vcc, s0, v0
	v_addc_co_u32_e32 v1, vcc, v3, v1, vcc
	global_store_dword v[0:1], v2, off
.LBB173_6:
	s_endpgm
	.section	.rodata,"a",@progbits
	.p2align	6, 0x0
	.amdhsa_kernel _ZN7rocprim17ROCPRIM_304000_NS6detail45device_block_merge_mergepath_partition_kernelINS1_37wrapped_merge_sort_block_merge_configINS0_14default_configEbN2at4cuda3cub6detail10OpaqueTypeILi8EEEEEPbjNS1_19radix_merge_compareILb0ELb0EbNS0_19identity_decomposerEEEEEvT0_T1_jPSH_T2_SH_
		.amdhsa_group_segment_fixed_size 0
		.amdhsa_private_segment_fixed_size 0
		.amdhsa_kernarg_size 32
		.amdhsa_user_sgpr_count 6
		.amdhsa_user_sgpr_private_segment_buffer 1
		.amdhsa_user_sgpr_dispatch_ptr 0
		.amdhsa_user_sgpr_queue_ptr 0
		.amdhsa_user_sgpr_kernarg_segment_ptr 1
		.amdhsa_user_sgpr_dispatch_id 0
		.amdhsa_user_sgpr_flat_scratch_init 0
		.amdhsa_user_sgpr_private_segment_size 0
		.amdhsa_uses_dynamic_stack 0
		.amdhsa_system_sgpr_private_segment_wavefront_offset 0
		.amdhsa_system_sgpr_workgroup_id_x 1
		.amdhsa_system_sgpr_workgroup_id_y 0
		.amdhsa_system_sgpr_workgroup_id_z 0
		.amdhsa_system_sgpr_workgroup_info 0
		.amdhsa_system_vgpr_workitem_id 0
		.amdhsa_next_free_vgpr 16
		.amdhsa_next_free_sgpr 7
		.amdhsa_reserve_vcc 1
		.amdhsa_reserve_flat_scratch 0
		.amdhsa_float_round_mode_32 0
		.amdhsa_float_round_mode_16_64 0
		.amdhsa_float_denorm_mode_32 3
		.amdhsa_float_denorm_mode_16_64 3
		.amdhsa_dx10_clamp 1
		.amdhsa_ieee_mode 1
		.amdhsa_fp16_overflow 0
		.amdhsa_exception_fp_ieee_invalid_op 0
		.amdhsa_exception_fp_denorm_src 0
		.amdhsa_exception_fp_ieee_div_zero 0
		.amdhsa_exception_fp_ieee_overflow 0
		.amdhsa_exception_fp_ieee_underflow 0
		.amdhsa_exception_fp_ieee_inexact 0
		.amdhsa_exception_int_div_zero 0
	.end_amdhsa_kernel
	.section	.text._ZN7rocprim17ROCPRIM_304000_NS6detail45device_block_merge_mergepath_partition_kernelINS1_37wrapped_merge_sort_block_merge_configINS0_14default_configEbN2at4cuda3cub6detail10OpaqueTypeILi8EEEEEPbjNS1_19radix_merge_compareILb0ELb0EbNS0_19identity_decomposerEEEEEvT0_T1_jPSH_T2_SH_,"axG",@progbits,_ZN7rocprim17ROCPRIM_304000_NS6detail45device_block_merge_mergepath_partition_kernelINS1_37wrapped_merge_sort_block_merge_configINS0_14default_configEbN2at4cuda3cub6detail10OpaqueTypeILi8EEEEEPbjNS1_19radix_merge_compareILb0ELb0EbNS0_19identity_decomposerEEEEEvT0_T1_jPSH_T2_SH_,comdat
.Lfunc_end173:
	.size	_ZN7rocprim17ROCPRIM_304000_NS6detail45device_block_merge_mergepath_partition_kernelINS1_37wrapped_merge_sort_block_merge_configINS0_14default_configEbN2at4cuda3cub6detail10OpaqueTypeILi8EEEEEPbjNS1_19radix_merge_compareILb0ELb0EbNS0_19identity_decomposerEEEEEvT0_T1_jPSH_T2_SH_, .Lfunc_end173-_ZN7rocprim17ROCPRIM_304000_NS6detail45device_block_merge_mergepath_partition_kernelINS1_37wrapped_merge_sort_block_merge_configINS0_14default_configEbN2at4cuda3cub6detail10OpaqueTypeILi8EEEEEPbjNS1_19radix_merge_compareILb0ELb0EbNS0_19identity_decomposerEEEEEvT0_T1_jPSH_T2_SH_
                                        ; -- End function
	.set _ZN7rocprim17ROCPRIM_304000_NS6detail45device_block_merge_mergepath_partition_kernelINS1_37wrapped_merge_sort_block_merge_configINS0_14default_configEbN2at4cuda3cub6detail10OpaqueTypeILi8EEEEEPbjNS1_19radix_merge_compareILb0ELb0EbNS0_19identity_decomposerEEEEEvT0_T1_jPSH_T2_SH_.num_vgpr, 16
	.set _ZN7rocprim17ROCPRIM_304000_NS6detail45device_block_merge_mergepath_partition_kernelINS1_37wrapped_merge_sort_block_merge_configINS0_14default_configEbN2at4cuda3cub6detail10OpaqueTypeILi8EEEEEPbjNS1_19radix_merge_compareILb0ELb0EbNS0_19identity_decomposerEEEEEvT0_T1_jPSH_T2_SH_.num_agpr, 0
	.set _ZN7rocprim17ROCPRIM_304000_NS6detail45device_block_merge_mergepath_partition_kernelINS1_37wrapped_merge_sort_block_merge_configINS0_14default_configEbN2at4cuda3cub6detail10OpaqueTypeILi8EEEEEPbjNS1_19radix_merge_compareILb0ELb0EbNS0_19identity_decomposerEEEEEvT0_T1_jPSH_T2_SH_.numbered_sgpr, 7
	.set _ZN7rocprim17ROCPRIM_304000_NS6detail45device_block_merge_mergepath_partition_kernelINS1_37wrapped_merge_sort_block_merge_configINS0_14default_configEbN2at4cuda3cub6detail10OpaqueTypeILi8EEEEEPbjNS1_19radix_merge_compareILb0ELb0EbNS0_19identity_decomposerEEEEEvT0_T1_jPSH_T2_SH_.num_named_barrier, 0
	.set _ZN7rocprim17ROCPRIM_304000_NS6detail45device_block_merge_mergepath_partition_kernelINS1_37wrapped_merge_sort_block_merge_configINS0_14default_configEbN2at4cuda3cub6detail10OpaqueTypeILi8EEEEEPbjNS1_19radix_merge_compareILb0ELb0EbNS0_19identity_decomposerEEEEEvT0_T1_jPSH_T2_SH_.private_seg_size, 0
	.set _ZN7rocprim17ROCPRIM_304000_NS6detail45device_block_merge_mergepath_partition_kernelINS1_37wrapped_merge_sort_block_merge_configINS0_14default_configEbN2at4cuda3cub6detail10OpaqueTypeILi8EEEEEPbjNS1_19radix_merge_compareILb0ELb0EbNS0_19identity_decomposerEEEEEvT0_T1_jPSH_T2_SH_.uses_vcc, 1
	.set _ZN7rocprim17ROCPRIM_304000_NS6detail45device_block_merge_mergepath_partition_kernelINS1_37wrapped_merge_sort_block_merge_configINS0_14default_configEbN2at4cuda3cub6detail10OpaqueTypeILi8EEEEEPbjNS1_19radix_merge_compareILb0ELb0EbNS0_19identity_decomposerEEEEEvT0_T1_jPSH_T2_SH_.uses_flat_scratch, 0
	.set _ZN7rocprim17ROCPRIM_304000_NS6detail45device_block_merge_mergepath_partition_kernelINS1_37wrapped_merge_sort_block_merge_configINS0_14default_configEbN2at4cuda3cub6detail10OpaqueTypeILi8EEEEEPbjNS1_19radix_merge_compareILb0ELb0EbNS0_19identity_decomposerEEEEEvT0_T1_jPSH_T2_SH_.has_dyn_sized_stack, 0
	.set _ZN7rocprim17ROCPRIM_304000_NS6detail45device_block_merge_mergepath_partition_kernelINS1_37wrapped_merge_sort_block_merge_configINS0_14default_configEbN2at4cuda3cub6detail10OpaqueTypeILi8EEEEEPbjNS1_19radix_merge_compareILb0ELb0EbNS0_19identity_decomposerEEEEEvT0_T1_jPSH_T2_SH_.has_recursion, 0
	.set _ZN7rocprim17ROCPRIM_304000_NS6detail45device_block_merge_mergepath_partition_kernelINS1_37wrapped_merge_sort_block_merge_configINS0_14default_configEbN2at4cuda3cub6detail10OpaqueTypeILi8EEEEEPbjNS1_19radix_merge_compareILb0ELb0EbNS0_19identity_decomposerEEEEEvT0_T1_jPSH_T2_SH_.has_indirect_call, 0
	.section	.AMDGPU.csdata,"",@progbits
; Kernel info:
; codeLenInByte = 320
; TotalNumSgprs: 11
; NumVgprs: 16
; ScratchSize: 0
; MemoryBound: 0
; FloatMode: 240
; IeeeMode: 1
; LDSByteSize: 0 bytes/workgroup (compile time only)
; SGPRBlocks: 1
; VGPRBlocks: 3
; NumSGPRsForWavesPerEU: 11
; NumVGPRsForWavesPerEU: 16
; Occupancy: 10
; WaveLimiterHint : 0
; COMPUTE_PGM_RSRC2:SCRATCH_EN: 0
; COMPUTE_PGM_RSRC2:USER_SGPR: 6
; COMPUTE_PGM_RSRC2:TRAP_HANDLER: 0
; COMPUTE_PGM_RSRC2:TGID_X_EN: 1
; COMPUTE_PGM_RSRC2:TGID_Y_EN: 0
; COMPUTE_PGM_RSRC2:TGID_Z_EN: 0
; COMPUTE_PGM_RSRC2:TIDIG_COMP_CNT: 0
	.section	.text._ZN7rocprim17ROCPRIM_304000_NS6detail35device_block_merge_mergepath_kernelINS1_37wrapped_merge_sort_block_merge_configINS0_14default_configEbN2at4cuda3cub6detail10OpaqueTypeILi8EEEEEPbSC_PSA_SD_jNS1_19radix_merge_compareILb0ELb0EbNS0_19identity_decomposerEEEEEvT0_T1_T2_T3_T4_SL_jT5_PKSL_NS1_7vsmem_tE,"axG",@progbits,_ZN7rocprim17ROCPRIM_304000_NS6detail35device_block_merge_mergepath_kernelINS1_37wrapped_merge_sort_block_merge_configINS0_14default_configEbN2at4cuda3cub6detail10OpaqueTypeILi8EEEEEPbSC_PSA_SD_jNS1_19radix_merge_compareILb0ELb0EbNS0_19identity_decomposerEEEEEvT0_T1_T2_T3_T4_SL_jT5_PKSL_NS1_7vsmem_tE,comdat
	.protected	_ZN7rocprim17ROCPRIM_304000_NS6detail35device_block_merge_mergepath_kernelINS1_37wrapped_merge_sort_block_merge_configINS0_14default_configEbN2at4cuda3cub6detail10OpaqueTypeILi8EEEEEPbSC_PSA_SD_jNS1_19radix_merge_compareILb0ELb0EbNS0_19identity_decomposerEEEEEvT0_T1_T2_T3_T4_SL_jT5_PKSL_NS1_7vsmem_tE ; -- Begin function _ZN7rocprim17ROCPRIM_304000_NS6detail35device_block_merge_mergepath_kernelINS1_37wrapped_merge_sort_block_merge_configINS0_14default_configEbN2at4cuda3cub6detail10OpaqueTypeILi8EEEEEPbSC_PSA_SD_jNS1_19radix_merge_compareILb0ELb0EbNS0_19identity_decomposerEEEEEvT0_T1_T2_T3_T4_SL_jT5_PKSL_NS1_7vsmem_tE
	.globl	_ZN7rocprim17ROCPRIM_304000_NS6detail35device_block_merge_mergepath_kernelINS1_37wrapped_merge_sort_block_merge_configINS0_14default_configEbN2at4cuda3cub6detail10OpaqueTypeILi8EEEEEPbSC_PSA_SD_jNS1_19radix_merge_compareILb0ELb0EbNS0_19identity_decomposerEEEEEvT0_T1_T2_T3_T4_SL_jT5_PKSL_NS1_7vsmem_tE
	.p2align	8
	.type	_ZN7rocprim17ROCPRIM_304000_NS6detail35device_block_merge_mergepath_kernelINS1_37wrapped_merge_sort_block_merge_configINS0_14default_configEbN2at4cuda3cub6detail10OpaqueTypeILi8EEEEEPbSC_PSA_SD_jNS1_19radix_merge_compareILb0ELb0EbNS0_19identity_decomposerEEEEEvT0_T1_T2_T3_T4_SL_jT5_PKSL_NS1_7vsmem_tE,@function
_ZN7rocprim17ROCPRIM_304000_NS6detail35device_block_merge_mergepath_kernelINS1_37wrapped_merge_sort_block_merge_configINS0_14default_configEbN2at4cuda3cub6detail10OpaqueTypeILi8EEEEEPbSC_PSA_SD_jNS1_19radix_merge_compareILb0ELb0EbNS0_19identity_decomposerEEEEEvT0_T1_T2_T3_T4_SL_jT5_PKSL_NS1_7vsmem_tE: ; @_ZN7rocprim17ROCPRIM_304000_NS6detail35device_block_merge_mergepath_kernelINS1_37wrapped_merge_sort_block_merge_configINS0_14default_configEbN2at4cuda3cub6detail10OpaqueTypeILi8EEEEEPbSC_PSA_SD_jNS1_19radix_merge_compareILb0ELb0EbNS0_19identity_decomposerEEEEEvT0_T1_T2_T3_T4_SL_jT5_PKSL_NS1_7vsmem_tE
; %bb.0:
	s_load_dwordx2 s[10:11], s[4:5], 0x40
	s_load_dwordx4 s[20:23], s[4:5], 0x20
	s_add_u32 s2, s4, 64
	s_addc_u32 s3, s5, 0
	s_waitcnt lgkmcnt(0)
	s_mul_i32 s0, s11, s8
	s_add_i32 s0, s0, s7
	s_mul_i32 s0, s0, s10
	s_add_i32 s0, s0, s6
	s_cmp_ge_u32 s0, s22
	s_cbranch_scc1 .LBB174_111
; %bb.1:
	s_load_dwordx8 s[12:19], s[4:5], 0x0
	s_load_dwordx2 s[8:9], s[4:5], 0x30
	s_lshr_b32 s11, s20, 10
	s_cmp_lg_u32 s0, s11
	s_mov_b32 s1, 0
	s_cselect_b64 s[22:23], -1, 0
	s_lshl_b64 s[4:5], s[0:1], 2
	s_waitcnt lgkmcnt(0)
	s_add_u32 s4, s8, s4
	s_addc_u32 s5, s9, s5
	s_load_dwordx2 s[24:25], s[4:5], 0x0
	s_lshr_b32 s4, s21, 9
	s_and_b32 s4, s4, 0x7ffffe
	s_sub_i32 s4, 0, s4
	s_and_b32 s5, s0, s4
	s_lshl_b32 s7, s5, 10
	s_lshl_b32 s28, s0, 10
	;; [unrolled: 1-line block ×3, first 2 shown]
	s_sub_i32 s8, s28, s7
	s_add_i32 s5, s5, s21
	s_add_i32 s8, s5, s8
	s_waitcnt lgkmcnt(0)
	s_sub_i32 s9, s8, s24
	s_sub_i32 s8, s8, s25
	;; [unrolled: 1-line block ×3, first 2 shown]
	s_min_u32 s26, s20, s9
	s_addk_i32 s8, 0x400
	s_or_b32 s4, s0, s4
	s_min_u32 s7, s20, s5
	s_add_i32 s5, s5, s21
	s_cmp_eq_u32 s4, -1
	s_cselect_b32 s4, s5, s8
	s_cselect_b32 s5, s7, s25
	s_min_u32 s4, s4, s20
	s_sub_i32 s21, s5, s24
	s_sub_i32 s29, s4, s26
	s_add_u32 s4, s12, s24
	s_addc_u32 s5, s13, 0
	s_add_u32 s7, s12, s26
	v_mov_b32_e32 v1, 0
	global_load_dword v2, v1, s[2:3] offset:14
	s_addc_u32 s8, s13, 0
	s_cmp_lt_u32 s6, s10
	s_cselect_b32 s6, 12, 18
	s_add_u32 s2, s2, s6
	s_addc_u32 s3, s3, 0
	global_load_ushort v1, v1, s[2:3]
	s_mov_b32 s25, s1
	s_mov_b32 s27, s1
	s_cmp_eq_u32 s0, s11
	v_cmp_gt_u32_e32 vcc, s21, v0
	s_waitcnt vmcnt(1)
	v_lshrrev_b32_e32 v3, 16, v2
	v_and_b32_e32 v2, 0xffff, v2
	v_mul_lo_u32 v2, v2, v3
	s_waitcnt vmcnt(0)
	v_mul_lo_u32 v3, v2, v1
	v_add_u32_e32 v4, v3, v0
	s_cbranch_scc1 .LBB174_3
; %bb.2:
	v_subrev_u32_e32 v1, s21, v0
	v_mov_b32_e32 v17, s7
	v_mov_b32_e32 v18, s4
	v_min_u32_e32 v1, v0, v1
	v_mov_b32_e32 v15, s8
	v_mov_b32_e32 v16, s5
	v_cndmask_b32_e32 v5, v17, v18, vcc
	v_cndmask_b32_e32 v2, v15, v16, vcc
	v_add_co_u32_e32 v1, vcc, v5, v1
	v_addc_co_u32_e32 v2, vcc, 0, v2, vcc
	v_subrev_u32_e32 v5, s21, v4
	v_cmp_gt_u32_e32 vcc, s21, v4
	v_min_u32_e32 v5, v4, v5
	v_cndmask_b32_e32 v7, v17, v18, vcc
	v_cndmask_b32_e32 v6, v15, v16, vcc
	v_add_co_u32_e32 v5, vcc, v7, v5
	v_addc_co_u32_e32 v6, vcc, 0, v6, vcc
	v_add_u32_e32 v9, v4, v3
	v_subrev_u32_e32 v7, s21, v9
	v_cmp_gt_u32_e32 vcc, s21, v9
	v_min_u32_e32 v7, v9, v7
	v_cndmask_b32_e32 v10, v17, v18, vcc
	v_cndmask_b32_e32 v8, v15, v16, vcc
	v_add_co_u32_e32 v7, vcc, v10, v7
	v_addc_co_u32_e32 v8, vcc, 0, v8, vcc
	v_add_u32_e32 v11, v9, v3
	;; [unrolled: 8-line block ×5, first 2 shown]
	v_subrev_u32_e32 v20, s21, v19
	v_cmp_gt_u32_e32 vcc, s21, v19
	v_min_u32_e32 v20, v19, v20
	v_cndmask_b32_e32 v16, v15, v16, vcc
	v_cndmask_b32_e32 v15, v17, v18, vcc
	v_add_co_u32_e32 v15, vcc, v15, v20
	v_addc_co_u32_e32 v16, vcc, 0, v16, vcc
	global_load_ubyte v17, v[7:8], off
	global_load_ubyte v18, v[5:6], off
	;; [unrolled: 1-line block ×7, first 2 shown]
	s_mov_b32 s6, 0xc0c0004
	s_add_i32 s9, s29, s21
	s_mov_b64 s[0:1], -1
	v_add_u32_e32 v5, v19, v3
	v_mov_b32_e32 v7, s9
	s_waitcnt vmcnt(4)
	v_perm_b32 v1, v20, v18, s6
	s_waitcnt vmcnt(3)
	v_perm_b32 v2, v17, v21, s6
	v_lshl_or_b32 v1, v2, 16, v1
	s_waitcnt vmcnt(1)
	v_perm_b32 v2, v22, v23, s6
	s_waitcnt vmcnt(0)
	v_lshl_or_b32 v2, v24, 16, v2
	s_cbranch_execz .LBB174_4
	s_branch .LBB174_19
.LBB174_3:
	s_mov_b64 s[0:1], 0
                                        ; implicit-def: $vgpr5
                                        ; implicit-def: $vgpr1_vgpr2
                                        ; implicit-def: $vgpr7
.LBB174_4:
	s_add_i32 s2, s29, s21
	v_mov_b32_e32 v1, 0
	v_cmp_gt_u32_e32 vcc, s2, v0
	s_mov_b32 s3, 0
	v_mov_b32_e32 v2, v1
	s_and_saveexec_b64 s[0:1], vcc
	s_cbranch_execz .LBB174_6
; %bb.5:
	v_mov_b32_e32 v1, s8
	v_mov_b32_e32 v2, s5
	v_cmp_gt_u32_e32 vcc, s21, v0
	v_cndmask_b32_e32 v2, v1, v2, vcc
	v_mov_b32_e32 v1, s7
	v_mov_b32_e32 v5, s4
	v_cndmask_b32_e32 v1, v1, v5, vcc
	v_subrev_u32_e32 v5, s21, v0
	v_min_u32_e32 v5, v0, v5
	v_add_co_u32_e32 v1, vcc, v1, v5
	v_addc_co_u32_e32 v2, vcc, 0, v2, vcc
	global_load_ubyte v1, v[1:2], off
	v_mov_b32_e32 v2, s3
	s_waitcnt vmcnt(0)
	v_and_b32_e32 v1, 0xffff, v1
.LBB174_6:
	s_or_b64 exec, exec, s[0:1]
	v_cmp_gt_u32_e32 vcc, s2, v4
	s_and_saveexec_b64 s[0:1], vcc
	s_cbranch_execz .LBB174_8
; %bb.7:
	v_mov_b32_e32 v5, s8
	v_mov_b32_e32 v6, s5
	v_cmp_gt_u32_e32 vcc, s21, v4
	v_cndmask_b32_e32 v6, v5, v6, vcc
	v_mov_b32_e32 v5, s7
	v_mov_b32_e32 v7, s4
	v_cndmask_b32_e32 v5, v5, v7, vcc
	v_subrev_u32_e32 v7, s21, v4
	v_min_u32_e32 v7, v4, v7
	v_add_co_u32_e32 v5, vcc, v5, v7
	v_addc_co_u32_e32 v6, vcc, 0, v6, vcc
	global_load_ubyte v5, v[5:6], off
	s_mov_b32 s3, 0x7060004
	s_waitcnt vmcnt(0)
	v_perm_b32 v1, v1, v5, s3
.LBB174_8:
	s_or_b64 exec, exec, s[0:1]
	v_add_u32_e32 v4, v4, v3
	v_cmp_gt_u32_e32 vcc, s2, v4
	s_and_saveexec_b64 s[0:1], vcc
	s_cbranch_execz .LBB174_10
; %bb.9:
	v_mov_b32_e32 v5, s8
	v_mov_b32_e32 v6, s5
	v_cmp_gt_u32_e32 vcc, s21, v4
	v_cndmask_b32_e32 v6, v5, v6, vcc
	v_mov_b32_e32 v5, s7
	v_mov_b32_e32 v7, s4
	v_cndmask_b32_e32 v5, v5, v7, vcc
	v_subrev_u32_e32 v7, s21, v4
	v_min_u32_e32 v7, v4, v7
	v_add_co_u32_e32 v5, vcc, v5, v7
	v_addc_co_u32_e32 v6, vcc, 0, v6, vcc
	global_load_ubyte v5, v[5:6], off
	s_mov_b32 s3, 0xc0c0304
	s_waitcnt vmcnt(0)
	v_perm_b32 v5, v5, v1, s3
	v_lshlrev_b32_e32 v5, 16, v5
	s_mov_b32 s3, 0xffff
	v_and_or_b32 v1, v1, s3, v5
.LBB174_10:
	s_or_b64 exec, exec, s[0:1]
	v_add_u32_e32 v4, v4, v3
	v_cmp_gt_u32_e32 vcc, s2, v4
	s_and_saveexec_b64 s[0:1], vcc
	s_cbranch_execz .LBB174_12
; %bb.11:
	v_mov_b32_e32 v5, s8
	v_mov_b32_e32 v6, s5
	v_cmp_gt_u32_e32 vcc, s21, v4
	v_cndmask_b32_e32 v6, v5, v6, vcc
	v_mov_b32_e32 v5, s7
	v_mov_b32_e32 v7, s4
	v_cndmask_b32_e32 v5, v5, v7, vcc
	v_subrev_u32_e32 v7, s21, v4
	v_min_u32_e32 v7, v4, v7
	v_add_co_u32_e32 v5, vcc, v5, v7
	v_addc_co_u32_e32 v6, vcc, 0, v6, vcc
	global_load_ubyte v5, v[5:6], off
	s_mov_b32 s3, 0xc0c0006
	s_waitcnt vmcnt(0)
	v_perm_b32 v5, v1, v5, s3
	v_lshlrev_b32_e32 v5, 16, v5
	s_mov_b32 s3, 0xffff
	v_and_or_b32 v1, v1, s3, v5
.LBB174_12:
	s_or_b64 exec, exec, s[0:1]
	v_add_u32_e32 v4, v4, v3
	v_cmp_gt_u32_e32 vcc, s2, v4
	s_and_saveexec_b64 s[0:1], vcc
	s_cbranch_execz .LBB174_14
; %bb.13:
	v_mov_b32_e32 v5, s8
	v_mov_b32_e32 v6, s5
	v_cmp_gt_u32_e32 vcc, s21, v4
	v_cndmask_b32_e32 v6, v5, v6, vcc
	v_mov_b32_e32 v5, s7
	v_mov_b32_e32 v7, s4
	v_cndmask_b32_e32 v5, v5, v7, vcc
	v_subrev_u32_e32 v7, s21, v4
	v_min_u32_e32 v7, v4, v7
	v_add_co_u32_e32 v5, vcc, v5, v7
	v_addc_co_u32_e32 v6, vcc, 0, v6, vcc
	global_load_ubyte v5, v[5:6], off
	s_mov_b32 s3, 0x3020104
	s_waitcnt vmcnt(0)
	v_perm_b32 v2, v5, v2, s3
.LBB174_14:
	s_or_b64 exec, exec, s[0:1]
	v_add_u32_e32 v4, v4, v3
	v_cmp_gt_u32_e32 vcc, s2, v4
	s_and_saveexec_b64 s[0:1], vcc
	s_cbranch_execz .LBB174_16
; %bb.15:
	v_mov_b32_e32 v5, s8
	v_mov_b32_e32 v6, s5
	v_cmp_gt_u32_e32 vcc, s21, v4
	v_cndmask_b32_e32 v6, v5, v6, vcc
	v_mov_b32_e32 v5, s7
	v_mov_b32_e32 v7, s4
	v_cndmask_b32_e32 v5, v5, v7, vcc
	v_subrev_u32_e32 v7, s21, v4
	v_min_u32_e32 v7, v4, v7
	v_add_co_u32_e32 v5, vcc, v5, v7
	v_addc_co_u32_e32 v6, vcc, 0, v6, vcc
	global_load_ubyte v5, v[5:6], off
	s_mov_b32 s3, 0x7060004
	s_waitcnt vmcnt(0)
	v_perm_b32 v2, v2, v5, s3
.LBB174_16:
	s_or_b64 exec, exec, s[0:1]
	v_add_u32_e32 v4, v4, v3
	v_cmp_gt_u32_e32 vcc, s2, v4
	s_and_saveexec_b64 s[0:1], vcc
	s_cbranch_execz .LBB174_18
; %bb.17:
	v_mov_b32_e32 v5, s8
	v_mov_b32_e32 v6, s5
	v_cmp_gt_u32_e32 vcc, s21, v4
	v_cndmask_b32_e32 v6, v5, v6, vcc
	v_mov_b32_e32 v5, s7
	v_mov_b32_e32 v7, s4
	v_cndmask_b32_e32 v5, v5, v7, vcc
	v_subrev_u32_e32 v7, s21, v4
	v_min_u32_e32 v7, v4, v7
	v_add_co_u32_e32 v5, vcc, v5, v7
	v_addc_co_u32_e32 v6, vcc, 0, v6, vcc
	global_load_ubyte v5, v[5:6], off
	s_mov_b32 s3, 0x7000504
	s_waitcnt vmcnt(0)
	v_perm_b32 v2, v2, v5, s3
.LBB174_18:
	s_or_b64 exec, exec, s[0:1]
	v_add_u32_e32 v5, v4, v3
	v_cmp_gt_u32_e64 s[0:1], s2, v5
	v_mov_b32_e32 v7, s2
.LBB174_19:
	s_and_saveexec_b64 s[2:3], s[0:1]
	s_cbranch_execz .LBB174_21
; %bb.20:
	v_subrev_u32_e32 v3, s21, v5
	v_mov_b32_e32 v4, s8
	v_mov_b32_e32 v6, s5
	v_cmp_gt_u32_e32 vcc, s21, v5
	v_min_u32_e32 v3, v5, v3
	v_cndmask_b32_e32 v4, v4, v6, vcc
	v_mov_b32_e32 v5, s7
	v_mov_b32_e32 v6, s4
	v_cndmask_b32_e32 v5, v5, v6, vcc
	v_add_co_u32_e32 v3, vcc, v5, v3
	v_addc_co_u32_e32 v4, vcc, 0, v4, vcc
	global_load_ubyte v3, v[3:4], off
	s_mov_b32 s0, 0x60504
	s_waitcnt vmcnt(0)
	v_perm_b32 v2, v2, v3, s0
.LBB174_21:
	s_or_b64 exec, exec, s[2:3]
	v_lshrrev_b32_e32 v3, 8, v1
	ds_write_b8 v0, v1
	ds_write_b8 v0, v3 offset:128
	ds_write_b8_d16_hi v0, v1 offset:256
	v_lshrrev_b32_e32 v3, 24, v1
	ds_write_b8 v0, v3 offset:384
	ds_write_b8 v0, v2 offset:512
	v_lshrrev_b32_e32 v3, 8, v2
	v_lshlrev_b32_e32 v8, 3, v0
	ds_write_b8 v0, v3 offset:640
	ds_write_b8_d16_hi v0, v2 offset:768
	v_lshrrev_b32_e32 v3, 24, v2
	v_min_u32_e32 v4, v7, v8
	ds_write_b8 v0, v3 offset:896
	v_sub_u32_e64 v3, v4, s29 clamp
	v_min_u32_e32 v5, s21, v4
	v_cmp_lt_u32_e32 vcc, v3, v5
	s_waitcnt lgkmcnt(0)
	s_barrier
	s_and_saveexec_b64 s[0:1], vcc
	s_cbranch_execz .LBB174_25
; %bb.22:
	v_add_u32_e32 v6, s21, v4
	s_mov_b64 s[2:3], 0
.LBB174_23:                             ; =>This Inner Loop Header: Depth=1
	v_add_u32_e32 v9, v5, v3
	v_lshrrev_b32_e32 v9, 1, v9
	v_xad_u32 v10, v9, -1, v6
	ds_read_u8 v11, v9
	ds_read_u8 v10, v10
	v_add_u32_e32 v12, 1, v9
	s_waitcnt lgkmcnt(0)
	v_cmp_gt_u16_e32 vcc, v11, v10
	v_cndmask_b32_e32 v5, v5, v9, vcc
	v_cndmask_b32_e32 v3, v12, v3, vcc
	v_cmp_ge_u32_e32 vcc, v3, v5
	s_or_b64 s[2:3], vcc, s[2:3]
	s_andn2_b64 exec, exec, s[2:3]
	s_cbranch_execnz .LBB174_23
; %bb.24:
	s_or_b64 exec, exec, s[2:3]
.LBB174_25:
	s_or_b64 exec, exec, s[0:1]
	v_sub_u32_e32 v4, v4, v3
	v_add_u32_e32 v4, s21, v4
	v_cmp_ge_u32_e32 vcc, s21, v3
	v_cmp_le_u32_e64 s[0:1], v4, v7
	s_or_b64 s[0:1], vcc, s[0:1]
	v_mov_b32_e32 v9, 0
	v_mov_b32_e32 v10, 0
	;; [unrolled: 1-line block ×8, first 2 shown]
	s_and_saveexec_b64 s[12:13], s[0:1]
	s_cbranch_execz .LBB174_31
; %bb.26:
	v_cmp_gt_u32_e32 vcc, s21, v3
                                        ; implicit-def: $vgpr1
	s_and_saveexec_b64 s[0:1], vcc
; %bb.27:
	ds_read_u8 v1, v3
; %bb.28:
	s_or_b64 exec, exec, s[0:1]
	v_cmp_ge_u32_e64 s[0:1], v4, v7
	v_cmp_lt_u32_e64 s[2:3], v4, v7
                                        ; implicit-def: $vgpr2
	s_and_saveexec_b64 s[4:5], s[2:3]
; %bb.29:
	ds_read_u8 v2, v4
; %bb.30:
	s_or_b64 exec, exec, s[4:5]
	s_waitcnt lgkmcnt(0)
	v_cmp_le_u16_sdwa s[2:3], v1, v2 src0_sel:BYTE_0 src1_sel:BYTE_0
	s_and_b64 s[2:3], vcc, s[2:3]
	s_or_b64 vcc, s[0:1], s[2:3]
	v_mov_b32_e32 v5, s21
	v_cndmask_b32_e32 v16, v4, v3, vcc
	v_cndmask_b32_e32 v6, v7, v5, vcc
	v_add_u32_e32 v9, 1, v16
	v_add_u32_e32 v6, -1, v6
	v_min_u32_e32 v6, v9, v6
	ds_read_u8 v6, v6
	v_cndmask_b32_e32 v3, v3, v9, vcc
	v_cndmask_b32_e32 v4, v9, v4, vcc
	v_cmp_gt_u32_e64 s[2:3], s21, v3
	v_cmp_ge_u32_e64 s[0:1], v4, v7
	s_waitcnt lgkmcnt(0)
	v_cndmask_b32_e32 v10, v6, v2, vcc
	v_cndmask_b32_e32 v6, v1, v6, vcc
	v_cmp_le_u16_sdwa s[4:5], v6, v10 src0_sel:BYTE_0 src1_sel:BYTE_0
	s_and_b64 s[2:3], s[2:3], s[4:5]
	s_or_b64 s[0:1], s[0:1], s[2:3]
	v_cndmask_b32_e64 v15, v4, v3, s[0:1]
	v_cndmask_b32_e64 v9, v7, v5, s[0:1]
	v_add_u32_e32 v11, 1, v15
	v_add_u32_e32 v9, -1, v9
	v_min_u32_e32 v9, v11, v9
	ds_read_u8 v9, v9
	v_cndmask_b32_e64 v3, v3, v11, s[0:1]
	v_cndmask_b32_e64 v4, v11, v4, s[0:1]
	v_cmp_gt_u32_e64 s[4:5], s21, v3
	v_cmp_ge_u32_e64 s[2:3], v4, v7
	s_waitcnt lgkmcnt(0)
	v_cndmask_b32_e64 v17, v9, v10, s[0:1]
	v_cndmask_b32_e64 v9, v6, v9, s[0:1]
	v_cmp_le_u16_sdwa s[6:7], v9, v17 src0_sel:BYTE_0 src1_sel:BYTE_0
	s_and_b64 s[4:5], s[4:5], s[6:7]
	s_or_b64 s[2:3], s[2:3], s[4:5]
	v_cndmask_b32_e64 v14, v4, v3, s[2:3]
	v_cndmask_b32_e64 v11, v7, v5, s[2:3]
	v_add_u32_e32 v12, 1, v14
	v_add_u32_e32 v11, -1, v11
	v_min_u32_e32 v11, v12, v11
	ds_read_u8 v11, v11
	v_cndmask_b32_e64 v3, v3, v12, s[2:3]
	v_cndmask_b32_e64 v4, v12, v4, s[2:3]
	v_cmp_gt_u32_e64 s[6:7], s21, v3
	v_cmp_ge_u32_e64 s[4:5], v4, v7
	s_waitcnt lgkmcnt(0)
	v_cndmask_b32_e64 v18, v11, v17, s[2:3]
	v_cndmask_b32_e64 v19, v9, v11, s[2:3]
	v_cmp_le_u16_sdwa s[8:9], v19, v18 src0_sel:BYTE_0 src1_sel:BYTE_0
	s_and_b64 s[6:7], s[6:7], s[8:9]
	s_or_b64 s[4:5], s[4:5], s[6:7]
	v_cndmask_b32_e64 v13, v4, v3, s[4:5]
	v_cndmask_b32_e64 v11, v7, v5, s[4:5]
	v_add_u32_e32 v12, 1, v13
	v_add_u32_e32 v11, -1, v11
	v_min_u32_e32 v11, v12, v11
	ds_read_u8 v11, v11
	v_cndmask_b32_e64 v3, v3, v12, s[4:5]
	v_cndmask_b32_e64 v4, v12, v4, s[4:5]
	v_cmp_gt_u32_e64 s[8:9], s21, v3
	v_cmp_ge_u32_e64 s[6:7], v4, v7
	s_waitcnt lgkmcnt(0)
	v_cndmask_b32_e64 v20, v11, v18, s[4:5]
	v_cndmask_b32_e64 v21, v19, v11, s[4:5]
	v_cmp_le_u16_sdwa s[10:11], v21, v20 src0_sel:BYTE_0 src1_sel:BYTE_0
	s_and_b64 s[8:9], s[8:9], s[10:11]
	s_or_b64 s[6:7], s[6:7], s[8:9]
	v_cndmask_b32_e64 v12, v4, v3, s[6:7]
	v_cndmask_b32_e64 v11, v7, v5, s[6:7]
	v_add_u32_e32 v22, 1, v12
	v_add_u32_e32 v11, -1, v11
	v_min_u32_e32 v11, v22, v11
	ds_read_u8 v11, v11
	v_cndmask_b32_e64 v3, v3, v22, s[6:7]
	v_cndmask_b32_e64 v4, v22, v4, s[6:7]
	v_cmp_gt_u32_e64 s[10:11], s21, v3
	v_cmp_ge_u32_e64 s[8:9], v4, v7
	s_waitcnt lgkmcnt(0)
	v_cndmask_b32_e64 v23, v11, v20, s[6:7]
	v_cndmask_b32_e64 v24, v21, v11, s[6:7]
	v_cmp_le_u16_sdwa s[30:31], v24, v23 src0_sel:BYTE_0 src1_sel:BYTE_0
	s_and_b64 s[10:11], s[10:11], s[30:31]
	s_or_b64 s[8:9], s[8:9], s[10:11]
	v_cndmask_b32_e64 v11, v4, v3, s[8:9]
	v_cndmask_b32_e64 v22, v7, v5, s[8:9]
	v_add_u32_e32 v25, 1, v11
	v_add_u32_e32 v22, -1, v22
	v_min_u32_e32 v22, v25, v22
	ds_read_u8 v22, v22
	v_cndmask_b32_e32 v1, v2, v1, vcc
	v_cndmask_b32_e64 v17, v17, v9, s[2:3]
	v_cndmask_b32_e64 v3, v3, v25, s[8:9]
	v_cndmask_b32_e64 v6, v10, v6, s[0:1]
	s_waitcnt lgkmcnt(0)
	v_cndmask_b32_e64 v2, v22, v23, s[8:9]
	v_cndmask_b32_e64 v9, v24, v22, s[8:9]
	;; [unrolled: 1-line block ×3, first 2 shown]
	v_cmp_gt_u32_e64 s[0:1], s21, v3
	v_cmp_le_u16_sdwa s[2:3], v9, v2 src0_sel:BYTE_0 src1_sel:BYTE_0
	v_cmp_ge_u32_e32 vcc, v4, v7
	s_and_b64 s[0:1], s[0:1], s[2:3]
	s_or_b64 vcc, vcc, s[0:1]
	v_cndmask_b32_e32 v10, v4, v3, vcc
	v_cndmask_b32_e32 v5, v7, v5, vcc
	v_add_u32_e32 v22, 1, v10
	v_add_u32_e32 v5, -1, v5
	v_min_u32_e32 v5, v22, v5
	ds_read_u8 v5, v5
	v_cndmask_b32_e64 v18, v18, v19, s[4:5]
	v_cndmask_b32_e64 v19, v20, v21, s[6:7]
	v_cndmask_b32_e32 v21, v2, v9, vcc
	v_cndmask_b32_e32 v3, v3, v22, vcc
	s_waitcnt lgkmcnt(0)
	v_cndmask_b32_e32 v2, v5, v2, vcc
	v_cndmask_b32_e32 v5, v9, v5, vcc
	;; [unrolled: 1-line block ×3, first 2 shown]
	v_cmp_gt_u32_e64 s[0:1], s21, v3
	v_cmp_le_u16_sdwa s[2:3], v5, v2 src0_sel:BYTE_0 src1_sel:BYTE_0
	v_cmp_ge_u32_e32 vcc, v4, v7
	s_and_b64 s[0:1], s[0:1], s[2:3]
	s_or_b64 vcc, vcc, s[0:1]
	v_cndmask_b32_e64 v20, v23, v24, s[8:9]
	v_cndmask_b32_e32 v2, v2, v5, vcc
	v_cndmask_b32_e32 v9, v4, v3, vcc
	v_lshlrev_b16_e32 v2, 8, v2
	v_lshlrev_b16_e32 v3, 8, v20
	v_or_b32_sdwa v2, v21, v2 dst_sel:WORD_1 dst_unused:UNUSED_PAD src0_sel:BYTE_0 src1_sel:DWORD
	v_or_b32_sdwa v3, v19, v3 dst_sel:DWORD dst_unused:UNUSED_PAD src0_sel:BYTE_0 src1_sel:DWORD
	v_or_b32_sdwa v2, v3, v2 dst_sel:DWORD dst_unused:UNUSED_PAD src0_sel:WORD_0 src1_sel:DWORD
	v_lshlrev_b16_e32 v3, 8, v18
	v_lshlrev_b16_e32 v4, 8, v6
	v_or_b32_sdwa v3, v17, v3 dst_sel:WORD_1 dst_unused:UNUSED_PAD src0_sel:BYTE_0 src1_sel:DWORD
	v_or_b32_sdwa v1, v1, v4 dst_sel:DWORD dst_unused:UNUSED_PAD src0_sel:BYTE_0 src1_sel:DWORD
	v_or_b32_sdwa v1, v1, v3 dst_sel:DWORD dst_unused:UNUSED_PAD src0_sel:WORD_0 src1_sel:DWORD
.LBB174_31:
	s_or_b64 exec, exec, s[12:13]
	s_lshl_b64 s[0:1], s[24:25], 3
	s_add_u32 s8, s16, s0
	s_addc_u32 s9, s17, s1
	s_lshl_b64 s[0:1], s[26:27], 3
	s_add_u32 s6, s16, s0
	v_cndmask_b32_e64 v3, 0, 1, s[22:23]
	s_addc_u32 s7, s17, s1
	v_cmp_gt_u32_e64 s[4:5], s21, v0
	v_cmp_ne_u32_e64 s[0:1], 1, v3
	s_andn2_b64 vcc, exec, s[22:23]
	v_cmp_le_u32_e64 s[2:3], s21, v0
	s_barrier
	s_cbranch_vccnz .LBB174_33
; %bb.32:
	v_mov_b32_e32 v3, s9
	v_add_co_u32_e32 v5, vcc, s8, v8
	v_subrev_u32_e32 v4, s21, v0
	v_addc_co_u32_e32 v3, vcc, 0, v3, vcc
	v_lshlrev_b32_e32 v4, 3, v4
	v_mov_b32_e32 v6, s7
	v_add_co_u32_e32 v17, vcc, s6, v4
	v_addc_co_u32_e32 v4, vcc, 0, v6, vcc
	v_cndmask_b32_e64 v4, v4, v3, s[4:5]
	v_cndmask_b32_e64 v3, v17, v5, s[4:5]
	v_or_b32_e32 v5, 0x80, v0
	v_subrev_u32_e32 v6, s21, v5
	v_min_u32_e32 v6, v5, v6
	v_cmp_gt_u32_e32 vcc, s21, v5
	v_mov_b32_e32 v29, s6
	v_mov_b32_e32 v30, s8
	;; [unrolled: 1-line block ×4, first 2 shown]
	v_cndmask_b32_e32 v5, v29, v30, vcc
	v_lshlrev_b32_e32 v6, 3, v6
	v_cndmask_b32_e32 v17, v27, v28, vcc
	v_add_co_u32_e32 v5, vcc, v5, v6
	v_addc_co_u32_e32 v6, vcc, 0, v17, vcc
	v_or_b32_e32 v17, 0x100, v0
	v_subrev_u32_e32 v18, s21, v17
	v_min_u32_e32 v18, v17, v18
	v_cmp_gt_u32_e32 vcc, s21, v17
	v_cndmask_b32_e32 v17, v29, v30, vcc
	v_lshlrev_b32_e32 v18, 3, v18
	v_cndmask_b32_e32 v19, v27, v28, vcc
	v_add_co_u32_e32 v17, vcc, v17, v18
	v_addc_co_u32_e32 v18, vcc, 0, v19, vcc
	v_or_b32_e32 v19, 0x180, v0
	v_subrev_u32_e32 v20, s21, v19
	v_min_u32_e32 v20, v19, v20
	v_cmp_gt_u32_e32 vcc, s21, v19
	;; [unrolled: 9-line block ×5, first 2 shown]
	global_load_dwordx2 v[3:4], v[3:4], off
	v_cndmask_b32_e32 v25, v29, v30, vcc
	global_load_dwordx2 v[5:6], v[5:6], off
	v_lshlrev_b32_e32 v26, 3, v26
	global_load_dwordx2 v[17:18], v[17:18], off
	v_cndmask_b32_e32 v31, v27, v28, vcc
	global_load_dwordx2 v[19:20], v[19:20], off
	v_add_co_u32_e32 v25, vcc, v25, v26
	global_load_dwordx2 v[21:22], v[21:22], off
	v_addc_co_u32_e32 v26, vcc, 0, v31, vcc
	global_load_dwordx2 v[23:24], v[23:24], off
	s_nop 0
	global_load_dwordx2 v[25:26], v[25:26], off
	s_mov_b64 s[4:5], -1
	s_waitcnt vmcnt(5)
	ds_write2st64_b64 v8, v[3:4], v[5:6] offset1:2
	s_waitcnt vmcnt(3)
	ds_write2st64_b64 v8, v[17:18], v[19:20] offset0:4 offset1:6
	s_waitcnt vmcnt(1)
	ds_write2st64_b64 v8, v[21:22], v[23:24] offset0:8 offset1:10
	s_waitcnt vmcnt(0)
	ds_write_b64 v8, v[25:26] offset:6144
	v_or_b32_e32 v17, 0x380, v0
	v_subrev_u32_e32 v3, s21, v17
	v_cmp_gt_u32_e32 vcc, s21, v17
	v_min_u32_e32 v5, v17, v3
	v_cndmask_b32_e32 v4, v27, v28, vcc
	v_cndmask_b32_e32 v3, v29, v30, vcc
	s_cbranch_execz .LBB174_34
	s_branch .LBB174_67
.LBB174_33:
	s_mov_b64 s[4:5], 0
                                        ; implicit-def: $vgpr17
                                        ; implicit-def: $vgpr3_vgpr4
                                        ; implicit-def: $vgpr5
.LBB174_34:
	s_and_saveexec_b64 s[4:5], s[2:3]
	s_xor_b64 s[2:3], exec, s[4:5]
	s_cbranch_execz .LBB174_38
; %bb.35:
	v_subrev_u32_e32 v3, s21, v0
	v_cmp_gt_u32_e32 vcc, s29, v3
	s_and_saveexec_b64 s[4:5], vcc
	s_cbranch_execz .LBB174_37
; %bb.36:
	v_lshlrev_b32_e32 v3, 3, v3
	global_load_dwordx2 v[3:4], v3, s[6:7]
	s_waitcnt vmcnt(0)
	ds_write_b64 v8, v[3:4]
.LBB174_37:
	s_or_b64 exec, exec, s[4:5]
.LBB174_38:
	s_or_saveexec_b64 s[2:3], s[2:3]
	v_mad_u32_u24 v5, v0, 7, v0
	s_xor_b64 exec, exec, s[2:3]
	s_cbranch_execz .LBB174_40
; %bb.39:
	global_load_dwordx2 v[3:4], v8, s[8:9]
	s_waitcnt vmcnt(0)
	ds_write_b64 v5, v[3:4]
.LBB174_40:
	s_or_b64 exec, exec, s[2:3]
	v_or_b32_e32 v6, 0x80, v0
	v_mov_b32_e32 v3, s24
	v_cmp_le_u32_e32 vcc, s21, v6
	s_mov_b64 s[2:3], -1
	v_mov_b32_e32 v4, s25
	s_and_saveexec_b64 s[4:5], vcc
; %bb.41:
	v_subrev_u32_e32 v6, s21, v6
	v_cmp_gt_u32_e32 vcc, s29, v6
	v_mov_b32_e32 v3, s26
	v_mov_b32_e32 v4, s27
	s_orn2_b64 s[2:3], vcc, exec
; %bb.42:
	s_or_b64 exec, exec, s[4:5]
	s_and_saveexec_b64 s[4:5], s[2:3]
	s_cbranch_execz .LBB174_44
; %bb.43:
	v_lshlrev_b64 v[3:4], 3, v[3:4]
	v_mov_b32_e32 v17, s17
	v_add_co_u32_e32 v3, vcc, s16, v3
	v_addc_co_u32_e32 v4, vcc, v17, v4, vcc
	v_lshlrev_b32_e32 v6, 3, v6
	v_add_co_u32_e32 v3, vcc, v3, v6
	v_addc_co_u32_e32 v4, vcc, 0, v4, vcc
	global_load_dwordx2 v[3:4], v[3:4], off
	s_waitcnt vmcnt(0)
	ds_write_b64 v5, v[3:4] offset:1024
.LBB174_44:
	s_or_b64 exec, exec, s[4:5]
	v_or_b32_e32 v6, 0x100, v0
	v_mov_b32_e32 v3, s24
	v_cmp_le_u32_e32 vcc, s21, v6
	s_mov_b64 s[2:3], -1
	v_mov_b32_e32 v4, s25
	s_and_saveexec_b64 s[4:5], vcc
; %bb.45:
	v_subrev_u32_e32 v6, s21, v6
	v_cmp_gt_u32_e32 vcc, s29, v6
	v_mov_b32_e32 v3, s26
	v_mov_b32_e32 v4, s27
	s_orn2_b64 s[2:3], vcc, exec
; %bb.46:
	s_or_b64 exec, exec, s[4:5]
	s_and_saveexec_b64 s[4:5], s[2:3]
	s_cbranch_execz .LBB174_48
; %bb.47:
	v_lshlrev_b64 v[3:4], 3, v[3:4]
	v_mov_b32_e32 v17, s17
	v_add_co_u32_e32 v3, vcc, s16, v3
	v_addc_co_u32_e32 v4, vcc, v17, v4, vcc
	v_lshlrev_b32_e32 v6, 3, v6
	v_add_co_u32_e32 v3, vcc, v3, v6
	v_addc_co_u32_e32 v4, vcc, 0, v4, vcc
	global_load_dwordx2 v[3:4], v[3:4], off
	s_waitcnt vmcnt(0)
	ds_write_b64 v5, v[3:4] offset:2048
.LBB174_48:
	;; [unrolled: 29-line block ×6, first 2 shown]
	s_or_b64 exec, exec, s[4:5]
	v_or_b32_e32 v17, 0x380, v0
	v_mov_b32_e32 v3, s8
	v_cmp_le_u32_e32 vcc, s21, v17
	s_mov_b64 s[4:5], -1
	v_mov_b32_e32 v4, s9
	v_mov_b32_e32 v5, v17
	s_and_saveexec_b64 s[2:3], vcc
; %bb.65:
	v_subrev_u32_e32 v5, s21, v17
	v_cmp_gt_u32_e32 vcc, s29, v5
	v_mov_b32_e32 v3, s6
	v_mov_b32_e32 v4, s7
	s_orn2_b64 s[4:5], vcc, exec
; %bb.66:
	s_or_b64 exec, exec, s[2:3]
.LBB174_67:
	s_and_saveexec_b64 s[2:3], s[4:5]
	s_cbranch_execz .LBB174_69
; %bb.68:
	v_mov_b32_e32 v6, 0
	v_lshlrev_b64 v[5:6], 3, v[5:6]
	v_add_co_u32_e32 v3, vcc, v3, v5
	v_addc_co_u32_e32 v4, vcc, v4, v6, vcc
	global_load_dwordx2 v[3:4], v[3:4], off
	v_lshlrev_b32_e32 v5, 3, v17
	s_waitcnt vmcnt(0)
	ds_write_b64 v5, v[3:4]
.LBB174_69:
	s_or_b64 exec, exec, s[2:3]
	s_and_b64 vcc, exec, s[0:1]
	v_add_u32_e32 v3, s28, v8
	s_waitcnt lgkmcnt(0)
	s_barrier
	s_cbranch_vccnz .LBB174_71
; %bb.70:
	v_lshlrev_b32_e32 v17, 3, v16
	v_lshlrev_b32_e32 v19, 3, v15
	;; [unrolled: 1-line block ×7, first 2 shown]
	v_mov_b32_e32 v4, 0
	ds_read_b64 v[17:18], v17
	ds_read_b64 v[19:20], v19
	;; [unrolled: 1-line block ×7, first 2 shown]
	v_lshlrev_b64 v[5:6], 3, v[3:4]
	v_mov_b32_e32 v31, s19
	v_add_co_u32_e32 v5, vcc, s18, v5
	v_addc_co_u32_e32 v6, vcc, v31, v6, vcc
	s_mov_b64 s[0:1], -1
	s_waitcnt lgkmcnt(5)
	global_store_dwordx4 v[5:6], v[17:20], off
	s_waitcnt lgkmcnt(3)
	global_store_dwordx4 v[5:6], v[21:24], off offset:16
	s_waitcnt lgkmcnt(1)
	global_store_dwordx4 v[5:6], v[25:28], off offset:32
	s_waitcnt lgkmcnt(0)
	global_store_dwordx2 v[5:6], v[29:30], off offset:48
	s_cbranch_execz .LBB174_72
	s_branch .LBB174_89
.LBB174_71:
	s_mov_b64 s[0:1], 0
.LBB174_72:
	v_cmp_lt_u32_e32 vcc, v8, v7
	s_and_saveexec_b64 s[2:3], vcc
	s_cbranch_execz .LBB174_74
; %bb.73:
	v_lshlrev_b32_e32 v6, 3, v16
	v_mov_b32_e32 v4, 0
	ds_read_b64 v[16:17], v6
	v_lshlrev_b64 v[4:5], 3, v[3:4]
	v_mov_b32_e32 v18, s19
	v_add_co_u32_e32 v4, vcc, s18, v4
	v_addc_co_u32_e32 v5, vcc, v18, v5, vcc
	s_waitcnt lgkmcnt(0)
	global_store_dwordx2 v[4:5], v[16:17], off
.LBB174_74:
	s_or_b64 exec, exec, s[2:3]
	v_or_b32_e32 v4, 1, v8
	v_cmp_lt_u32_e32 vcc, v4, v7
	s_and_saveexec_b64 s[2:3], vcc
	s_cbranch_execz .LBB174_76
; %bb.75:
	v_lshlrev_b32_e32 v6, 3, v15
	v_mov_b32_e32 v4, 0
	ds_read_b64 v[15:16], v6
	v_lshlrev_b64 v[4:5], 3, v[3:4]
	v_mov_b32_e32 v17, s19
	v_add_co_u32_e32 v4, vcc, s18, v4
	v_addc_co_u32_e32 v5, vcc, v17, v5, vcc
	s_waitcnt lgkmcnt(0)
	global_store_dwordx2 v[4:5], v[15:16], off offset:8
.LBB174_76:
	s_or_b64 exec, exec, s[2:3]
	v_or_b32_e32 v4, 2, v8
	v_cmp_lt_u32_e32 vcc, v4, v7
	s_and_saveexec_b64 s[2:3], vcc
	s_cbranch_execz .LBB174_78
; %bb.77:
	v_lshlrev_b32_e32 v6, 3, v14
	v_mov_b32_e32 v4, 0
	ds_read_b64 v[14:15], v6
	v_lshlrev_b64 v[4:5], 3, v[3:4]
	v_mov_b32_e32 v16, s19
	v_add_co_u32_e32 v4, vcc, s18, v4
	v_addc_co_u32_e32 v5, vcc, v16, v5, vcc
	s_waitcnt lgkmcnt(0)
	global_store_dwordx2 v[4:5], v[14:15], off offset:16
.LBB174_78:
	;; [unrolled: 16-line block ×6, first 2 shown]
	s_or_b64 exec, exec, s[2:3]
	v_or_b32_e32 v4, 7, v8
	v_cmp_lt_u32_e32 vcc, v4, v7
	s_and_saveexec_b64 s[2:3], vcc
; %bb.87:
	v_mov_b32_e32 v4, 0
	s_or_b64 s[0:1], s[0:1], exec
; %bb.88:
	s_or_b64 exec, exec, s[2:3]
.LBB174_89:
	s_and_saveexec_b64 s[2:3], s[0:1]
	s_cbranch_execz .LBB174_91
; %bb.90:
	v_lshlrev_b32_e32 v5, 3, v9
	ds_read_b64 v[5:6], v5
	v_lshlrev_b64 v[3:4], 3, v[3:4]
	v_mov_b32_e32 v7, s19
	v_add_co_u32_e32 v3, vcc, s18, v3
	v_addc_co_u32_e32 v4, vcc, v7, v4, vcc
	s_waitcnt lgkmcnt(0)
	global_store_dwordx2 v[3:4], v[5:6], off offset:56
.LBB174_91:
	s_or_b64 exec, exec, s[2:3]
	v_lshrrev_b32_e32 v3, 2, v0
	s_add_u32 s0, s14, s28
	v_and_b32_e32 v3, 28, v3
	s_addc_u32 s1, s15, 0
	v_add_u32_e32 v3, v3, v8
	s_waitcnt vmcnt(0)
	s_barrier
	s_barrier
	ds_write2_b32 v3, v1, v2 offset1:1
	v_mov_b32_e32 v2, s1
	v_add_co_u32_e32 v1, vcc, s0, v0
	v_addc_co_u32_e32 v2, vcc, 0, v2, vcc
	s_and_b64 vcc, exec, s[22:23]
	v_add_u32_e32 v4, 4, v0
	v_add_u32_e32 v5, 8, v0
	;; [unrolled: 1-line block ×7, first 2 shown]
	s_waitcnt lgkmcnt(0)
	s_cbranch_vccz .LBB174_93
; %bb.92:
	s_barrier
	ds_read_u8 v11, v0
	ds_read_u8 v12, v4 offset:128
	ds_read_u8 v13, v5 offset:256
	;; [unrolled: 1-line block ×7, first 2 shown]
	s_waitcnt lgkmcnt(7)
	global_store_byte v[1:2], v11, off
	s_waitcnt lgkmcnt(6)
	global_store_byte v[1:2], v12, off offset:128
	s_waitcnt lgkmcnt(5)
	global_store_byte v[1:2], v13, off offset:256
	;; [unrolled: 2-line block ×6, first 2 shown]
	s_mov_b64 s[0:1], -1
	s_cbranch_execz .LBB174_94
	s_branch .LBB174_109
.LBB174_93:
	s_mov_b64 s[0:1], 0
                                        ; implicit-def: $vgpr3
.LBB174_94:
	s_waitcnt vmcnt(0) lgkmcnt(0)
	s_barrier
	ds_read_u8 v13, v4 offset:128
	ds_read_u8 v12, v5 offset:256
	;; [unrolled: 1-line block ×7, first 2 shown]
	s_sub_i32 s2, s20, s28
	v_or_b32_e32 v7, 0x80, v0
	v_cmp_gt_u32_e32 vcc, s2, v0
	s_and_saveexec_b64 s[0:1], vcc
	s_cbranch_execz .LBB174_96
; %bb.95:
	ds_read_u8 v8, v0
	s_waitcnt lgkmcnt(0)
	global_store_byte v[1:2], v8, off
.LBB174_96:
	s_or_b64 exec, exec, s[0:1]
	v_or_b32_e32 v8, 0x100, v0
	v_cmp_gt_u32_e32 vcc, s2, v7
	s_and_saveexec_b64 s[0:1], vcc
	s_cbranch_execz .LBB174_98
; %bb.97:
	s_waitcnt lgkmcnt(6)
	global_store_byte v[1:2], v13, off offset:128
.LBB174_98:
	s_or_b64 exec, exec, s[0:1]
	v_or_b32_e32 v7, 0x180, v0
	v_cmp_gt_u32_e32 vcc, s2, v8
	s_and_saveexec_b64 s[0:1], vcc
	s_cbranch_execz .LBB174_100
; %bb.99:
	s_waitcnt lgkmcnt(5)
	global_store_byte v[1:2], v12, off offset:256
.LBB174_100:
	;; [unrolled: 9-line block ×4, first 2 shown]
	s_or_b64 exec, exec, s[0:1]
	s_waitcnt lgkmcnt(3)
	v_or_b32_e32 v6, 0x300, v0
	v_cmp_gt_u32_e32 vcc, s2, v7
	s_and_saveexec_b64 s[0:1], vcc
	s_cbranch_execz .LBB174_106
; %bb.105:
	s_waitcnt lgkmcnt(2)
	global_store_byte v[1:2], v5, off offset:640
.LBB174_106:
	s_or_b64 exec, exec, s[0:1]
	v_or_b32_e32 v0, 0x380, v0
	v_cmp_gt_u32_e32 vcc, s2, v6
	s_and_saveexec_b64 s[0:1], vcc
	s_cbranch_execz .LBB174_108
; %bb.107:
	s_waitcnt lgkmcnt(1)
	global_store_byte v[1:2], v4, off offset:768
.LBB174_108:
	s_or_b64 exec, exec, s[0:1]
	v_cmp_gt_u32_e64 s[0:1], s2, v0
.LBB174_109:
	s_and_saveexec_b64 s[2:3], s[0:1]
	s_cbranch_execz .LBB174_111
; %bb.110:
	s_waitcnt lgkmcnt(0)
	global_store_byte v[1:2], v3, off offset:896
.LBB174_111:
	s_endpgm
	.section	.rodata,"a",@progbits
	.p2align	6, 0x0
	.amdhsa_kernel _ZN7rocprim17ROCPRIM_304000_NS6detail35device_block_merge_mergepath_kernelINS1_37wrapped_merge_sort_block_merge_configINS0_14default_configEbN2at4cuda3cub6detail10OpaqueTypeILi8EEEEEPbSC_PSA_SD_jNS1_19radix_merge_compareILb0ELb0EbNS0_19identity_decomposerEEEEEvT0_T1_T2_T3_T4_SL_jT5_PKSL_NS1_7vsmem_tE
		.amdhsa_group_segment_fixed_size 8208
		.amdhsa_private_segment_fixed_size 0
		.amdhsa_kernarg_size 320
		.amdhsa_user_sgpr_count 6
		.amdhsa_user_sgpr_private_segment_buffer 1
		.amdhsa_user_sgpr_dispatch_ptr 0
		.amdhsa_user_sgpr_queue_ptr 0
		.amdhsa_user_sgpr_kernarg_segment_ptr 1
		.amdhsa_user_sgpr_dispatch_id 0
		.amdhsa_user_sgpr_flat_scratch_init 0
		.amdhsa_user_sgpr_private_segment_size 0
		.amdhsa_uses_dynamic_stack 0
		.amdhsa_system_sgpr_private_segment_wavefront_offset 0
		.amdhsa_system_sgpr_workgroup_id_x 1
		.amdhsa_system_sgpr_workgroup_id_y 1
		.amdhsa_system_sgpr_workgroup_id_z 1
		.amdhsa_system_sgpr_workgroup_info 0
		.amdhsa_system_vgpr_workitem_id 0
		.amdhsa_next_free_vgpr 49
		.amdhsa_next_free_sgpr 98
		.amdhsa_reserve_vcc 1
		.amdhsa_reserve_flat_scratch 0
		.amdhsa_float_round_mode_32 0
		.amdhsa_float_round_mode_16_64 0
		.amdhsa_float_denorm_mode_32 3
		.amdhsa_float_denorm_mode_16_64 3
		.amdhsa_dx10_clamp 1
		.amdhsa_ieee_mode 1
		.amdhsa_fp16_overflow 0
		.amdhsa_exception_fp_ieee_invalid_op 0
		.amdhsa_exception_fp_denorm_src 0
		.amdhsa_exception_fp_ieee_div_zero 0
		.amdhsa_exception_fp_ieee_overflow 0
		.amdhsa_exception_fp_ieee_underflow 0
		.amdhsa_exception_fp_ieee_inexact 0
		.amdhsa_exception_int_div_zero 0
	.end_amdhsa_kernel
	.section	.text._ZN7rocprim17ROCPRIM_304000_NS6detail35device_block_merge_mergepath_kernelINS1_37wrapped_merge_sort_block_merge_configINS0_14default_configEbN2at4cuda3cub6detail10OpaqueTypeILi8EEEEEPbSC_PSA_SD_jNS1_19radix_merge_compareILb0ELb0EbNS0_19identity_decomposerEEEEEvT0_T1_T2_T3_T4_SL_jT5_PKSL_NS1_7vsmem_tE,"axG",@progbits,_ZN7rocprim17ROCPRIM_304000_NS6detail35device_block_merge_mergepath_kernelINS1_37wrapped_merge_sort_block_merge_configINS0_14default_configEbN2at4cuda3cub6detail10OpaqueTypeILi8EEEEEPbSC_PSA_SD_jNS1_19radix_merge_compareILb0ELb0EbNS0_19identity_decomposerEEEEEvT0_T1_T2_T3_T4_SL_jT5_PKSL_NS1_7vsmem_tE,comdat
.Lfunc_end174:
	.size	_ZN7rocprim17ROCPRIM_304000_NS6detail35device_block_merge_mergepath_kernelINS1_37wrapped_merge_sort_block_merge_configINS0_14default_configEbN2at4cuda3cub6detail10OpaqueTypeILi8EEEEEPbSC_PSA_SD_jNS1_19radix_merge_compareILb0ELb0EbNS0_19identity_decomposerEEEEEvT0_T1_T2_T3_T4_SL_jT5_PKSL_NS1_7vsmem_tE, .Lfunc_end174-_ZN7rocprim17ROCPRIM_304000_NS6detail35device_block_merge_mergepath_kernelINS1_37wrapped_merge_sort_block_merge_configINS0_14default_configEbN2at4cuda3cub6detail10OpaqueTypeILi8EEEEEPbSC_PSA_SD_jNS1_19radix_merge_compareILb0ELb0EbNS0_19identity_decomposerEEEEEvT0_T1_T2_T3_T4_SL_jT5_PKSL_NS1_7vsmem_tE
                                        ; -- End function
	.set _ZN7rocprim17ROCPRIM_304000_NS6detail35device_block_merge_mergepath_kernelINS1_37wrapped_merge_sort_block_merge_configINS0_14default_configEbN2at4cuda3cub6detail10OpaqueTypeILi8EEEEEPbSC_PSA_SD_jNS1_19radix_merge_compareILb0ELb0EbNS0_19identity_decomposerEEEEEvT0_T1_T2_T3_T4_SL_jT5_PKSL_NS1_7vsmem_tE.num_vgpr, 32
	.set _ZN7rocprim17ROCPRIM_304000_NS6detail35device_block_merge_mergepath_kernelINS1_37wrapped_merge_sort_block_merge_configINS0_14default_configEbN2at4cuda3cub6detail10OpaqueTypeILi8EEEEEPbSC_PSA_SD_jNS1_19radix_merge_compareILb0ELb0EbNS0_19identity_decomposerEEEEEvT0_T1_T2_T3_T4_SL_jT5_PKSL_NS1_7vsmem_tE.num_agpr, 0
	.set _ZN7rocprim17ROCPRIM_304000_NS6detail35device_block_merge_mergepath_kernelINS1_37wrapped_merge_sort_block_merge_configINS0_14default_configEbN2at4cuda3cub6detail10OpaqueTypeILi8EEEEEPbSC_PSA_SD_jNS1_19radix_merge_compareILb0ELb0EbNS0_19identity_decomposerEEEEEvT0_T1_T2_T3_T4_SL_jT5_PKSL_NS1_7vsmem_tE.numbered_sgpr, 32
	.set _ZN7rocprim17ROCPRIM_304000_NS6detail35device_block_merge_mergepath_kernelINS1_37wrapped_merge_sort_block_merge_configINS0_14default_configEbN2at4cuda3cub6detail10OpaqueTypeILi8EEEEEPbSC_PSA_SD_jNS1_19radix_merge_compareILb0ELb0EbNS0_19identity_decomposerEEEEEvT0_T1_T2_T3_T4_SL_jT5_PKSL_NS1_7vsmem_tE.num_named_barrier, 0
	.set _ZN7rocprim17ROCPRIM_304000_NS6detail35device_block_merge_mergepath_kernelINS1_37wrapped_merge_sort_block_merge_configINS0_14default_configEbN2at4cuda3cub6detail10OpaqueTypeILi8EEEEEPbSC_PSA_SD_jNS1_19radix_merge_compareILb0ELb0EbNS0_19identity_decomposerEEEEEvT0_T1_T2_T3_T4_SL_jT5_PKSL_NS1_7vsmem_tE.private_seg_size, 0
	.set _ZN7rocprim17ROCPRIM_304000_NS6detail35device_block_merge_mergepath_kernelINS1_37wrapped_merge_sort_block_merge_configINS0_14default_configEbN2at4cuda3cub6detail10OpaqueTypeILi8EEEEEPbSC_PSA_SD_jNS1_19radix_merge_compareILb0ELb0EbNS0_19identity_decomposerEEEEEvT0_T1_T2_T3_T4_SL_jT5_PKSL_NS1_7vsmem_tE.uses_vcc, 1
	.set _ZN7rocprim17ROCPRIM_304000_NS6detail35device_block_merge_mergepath_kernelINS1_37wrapped_merge_sort_block_merge_configINS0_14default_configEbN2at4cuda3cub6detail10OpaqueTypeILi8EEEEEPbSC_PSA_SD_jNS1_19radix_merge_compareILb0ELb0EbNS0_19identity_decomposerEEEEEvT0_T1_T2_T3_T4_SL_jT5_PKSL_NS1_7vsmem_tE.uses_flat_scratch, 0
	.set _ZN7rocprim17ROCPRIM_304000_NS6detail35device_block_merge_mergepath_kernelINS1_37wrapped_merge_sort_block_merge_configINS0_14default_configEbN2at4cuda3cub6detail10OpaqueTypeILi8EEEEEPbSC_PSA_SD_jNS1_19radix_merge_compareILb0ELb0EbNS0_19identity_decomposerEEEEEvT0_T1_T2_T3_T4_SL_jT5_PKSL_NS1_7vsmem_tE.has_dyn_sized_stack, 0
	.set _ZN7rocprim17ROCPRIM_304000_NS6detail35device_block_merge_mergepath_kernelINS1_37wrapped_merge_sort_block_merge_configINS0_14default_configEbN2at4cuda3cub6detail10OpaqueTypeILi8EEEEEPbSC_PSA_SD_jNS1_19radix_merge_compareILb0ELb0EbNS0_19identity_decomposerEEEEEvT0_T1_T2_T3_T4_SL_jT5_PKSL_NS1_7vsmem_tE.has_recursion, 0
	.set _ZN7rocprim17ROCPRIM_304000_NS6detail35device_block_merge_mergepath_kernelINS1_37wrapped_merge_sort_block_merge_configINS0_14default_configEbN2at4cuda3cub6detail10OpaqueTypeILi8EEEEEPbSC_PSA_SD_jNS1_19radix_merge_compareILb0ELb0EbNS0_19identity_decomposerEEEEEvT0_T1_T2_T3_T4_SL_jT5_PKSL_NS1_7vsmem_tE.has_indirect_call, 0
	.section	.AMDGPU.csdata,"",@progbits
; Kernel info:
; codeLenInByte = 5428
; TotalNumSgprs: 36
; NumVgprs: 32
; ScratchSize: 0
; MemoryBound: 0
; FloatMode: 240
; IeeeMode: 1
; LDSByteSize: 8208 bytes/workgroup (compile time only)
; SGPRBlocks: 12
; VGPRBlocks: 12
; NumSGPRsForWavesPerEU: 102
; NumVGPRsForWavesPerEU: 49
; Occupancy: 4
; WaveLimiterHint : 1
; COMPUTE_PGM_RSRC2:SCRATCH_EN: 0
; COMPUTE_PGM_RSRC2:USER_SGPR: 6
; COMPUTE_PGM_RSRC2:TRAP_HANDLER: 0
; COMPUTE_PGM_RSRC2:TGID_X_EN: 1
; COMPUTE_PGM_RSRC2:TGID_Y_EN: 1
; COMPUTE_PGM_RSRC2:TGID_Z_EN: 1
; COMPUTE_PGM_RSRC2:TIDIG_COMP_CNT: 0
	.section	.text._ZN7rocprim17ROCPRIM_304000_NS6detail33device_block_merge_oddeven_kernelINS1_37wrapped_merge_sort_block_merge_configINS0_14default_configEbN2at4cuda3cub6detail10OpaqueTypeILi8EEEEEPbSC_PSA_SD_jNS1_19radix_merge_compareILb0ELb0EbNS0_19identity_decomposerEEEEEvT0_T1_T2_T3_T4_SL_T5_,"axG",@progbits,_ZN7rocprim17ROCPRIM_304000_NS6detail33device_block_merge_oddeven_kernelINS1_37wrapped_merge_sort_block_merge_configINS0_14default_configEbN2at4cuda3cub6detail10OpaqueTypeILi8EEEEEPbSC_PSA_SD_jNS1_19radix_merge_compareILb0ELb0EbNS0_19identity_decomposerEEEEEvT0_T1_T2_T3_T4_SL_T5_,comdat
	.protected	_ZN7rocprim17ROCPRIM_304000_NS6detail33device_block_merge_oddeven_kernelINS1_37wrapped_merge_sort_block_merge_configINS0_14default_configEbN2at4cuda3cub6detail10OpaqueTypeILi8EEEEEPbSC_PSA_SD_jNS1_19radix_merge_compareILb0ELb0EbNS0_19identity_decomposerEEEEEvT0_T1_T2_T3_T4_SL_T5_ ; -- Begin function _ZN7rocprim17ROCPRIM_304000_NS6detail33device_block_merge_oddeven_kernelINS1_37wrapped_merge_sort_block_merge_configINS0_14default_configEbN2at4cuda3cub6detail10OpaqueTypeILi8EEEEEPbSC_PSA_SD_jNS1_19radix_merge_compareILb0ELb0EbNS0_19identity_decomposerEEEEEvT0_T1_T2_T3_T4_SL_T5_
	.globl	_ZN7rocprim17ROCPRIM_304000_NS6detail33device_block_merge_oddeven_kernelINS1_37wrapped_merge_sort_block_merge_configINS0_14default_configEbN2at4cuda3cub6detail10OpaqueTypeILi8EEEEEPbSC_PSA_SD_jNS1_19radix_merge_compareILb0ELb0EbNS0_19identity_decomposerEEEEEvT0_T1_T2_T3_T4_SL_T5_
	.p2align	8
	.type	_ZN7rocprim17ROCPRIM_304000_NS6detail33device_block_merge_oddeven_kernelINS1_37wrapped_merge_sort_block_merge_configINS0_14default_configEbN2at4cuda3cub6detail10OpaqueTypeILi8EEEEEPbSC_PSA_SD_jNS1_19radix_merge_compareILb0ELb0EbNS0_19identity_decomposerEEEEEvT0_T1_T2_T3_T4_SL_T5_,@function
_ZN7rocprim17ROCPRIM_304000_NS6detail33device_block_merge_oddeven_kernelINS1_37wrapped_merge_sort_block_merge_configINS0_14default_configEbN2at4cuda3cub6detail10OpaqueTypeILi8EEEEEPbSC_PSA_SD_jNS1_19radix_merge_compareILb0ELb0EbNS0_19identity_decomposerEEEEEvT0_T1_T2_T3_T4_SL_T5_: ; @_ZN7rocprim17ROCPRIM_304000_NS6detail33device_block_merge_oddeven_kernelINS1_37wrapped_merge_sort_block_merge_configINS0_14default_configEbN2at4cuda3cub6detail10OpaqueTypeILi8EEEEEPbSC_PSA_SD_jNS1_19radix_merge_compareILb0ELb0EbNS0_19identity_decomposerEEEEEvT0_T1_T2_T3_T4_SL_T5_
; %bb.0:
	s_load_dwordx2 s[18:19], s[4:5], 0x20
	s_waitcnt lgkmcnt(0)
	s_lshr_b32 s0, s18, 8
	s_cmp_eq_u32 s6, s0
	s_cselect_b64 s[16:17], -1, 0
	s_cmp_lg_u32 s6, s0
	s_cselect_b64 s[0:1], -1, 0
	s_lshl_b32 s20, s6, 8
	s_sub_i32 s2, s18, s20
	v_cmp_gt_u32_e64 s[2:3], s2, v0
	s_or_b64 s[0:1], s[0:1], s[2:3]
	s_and_saveexec_b64 s[8:9], s[0:1]
	s_cbranch_execz .LBB175_24
; %bb.1:
	s_load_dwordx8 s[8:15], s[4:5], 0x0
	s_mov_b32 s21, 0
	v_lshlrev_b32_e32 v3, 3, v0
	s_waitcnt lgkmcnt(0)
	s_add_u32 s0, s8, s20
	s_addc_u32 s1, s9, 0
	s_lshl_b64 s[4:5], s[20:21], 3
	s_add_u32 s4, s12, s4
	s_addc_u32 s5, s13, s5
	global_load_dwordx2 v[1:2], v3, s[4:5]
	global_load_ubyte v5, v0, s[0:1]
	s_lshr_b32 s0, s19, 8
	s_sub_i32 s1, 0, s0
	s_and_b32 s1, s6, s1
	s_and_b32 s0, s1, s0
	s_lshl_b32 s13, s1, 8
	s_sub_i32 s6, 0, s19
	s_cmp_eq_u32 s0, 0
	s_cselect_b64 s[0:1], -1, 0
	s_and_b64 s[4:5], s[0:1], exec
	s_cselect_b32 s6, s19, s6
	s_add_i32 s6, s6, s13
	s_mov_b64 s[4:5], -1
	s_cmp_gt_u32 s18, s6
	v_add_u32_e32 v3, s20, v0
	s_cbranch_scc1 .LBB175_9
; %bb.2:
	s_and_b64 vcc, exec, s[16:17]
	s_cbranch_vccz .LBB175_6
; %bb.3:
	v_cmp_gt_u32_e32 vcc, s18, v3
	s_and_saveexec_b64 s[4:5], vcc
	s_cbranch_execz .LBB175_5
; %bb.4:
	v_mov_b32_e32 v4, 0
	v_lshlrev_b64 v[6:7], 3, v[3:4]
	v_mov_b32_e32 v0, s15
	v_add_co_u32_e32 v6, vcc, s14, v6
	v_addc_co_u32_e32 v7, vcc, v0, v7, vcc
	s_waitcnt vmcnt(0)
	global_store_byte v3, v5, s[10:11]
	global_store_dwordx2 v[6:7], v[1:2], off
.LBB175_5:
	s_or_b64 exec, exec, s[4:5]
	s_mov_b64 s[4:5], 0
.LBB175_6:
	s_andn2_b64 vcc, exec, s[4:5]
	s_cbranch_vccnz .LBB175_8
; %bb.7:
	v_mov_b32_e32 v4, 0
	v_lshlrev_b64 v[6:7], 3, v[3:4]
	v_mov_b32_e32 v0, s15
	v_add_co_u32_e32 v6, vcc, s14, v6
	v_addc_co_u32_e32 v7, vcc, v0, v7, vcc
	s_waitcnt vmcnt(0)
	global_store_byte v3, v5, s[10:11]
	global_store_dwordx2 v[6:7], v[1:2], off
.LBB175_8:
	s_mov_b64 s[4:5], 0
.LBB175_9:
	s_andn2_b64 vcc, exec, s[4:5]
	s_cbranch_vccnz .LBB175_24
; %bb.10:
	s_min_u32 s7, s6, s18
	s_add_i32 s4, s7, s19
	s_min_u32 s12, s4, s18
	s_min_u32 s4, s13, s7
	s_add_i32 s13, s13, s7
	v_subrev_u32_e32 v0, s13, v3
	v_add_u32_e32 v0, s4, v0
	s_andn2_b64 vcc, exec, s[16:17]
	s_mov_b64 s[4:5], -1
	s_cbranch_vccnz .LBB175_18
; %bb.11:
	s_and_saveexec_b64 s[4:5], s[2:3]
	s_cbranch_execz .LBB175_17
; %bb.12:
	s_cmp_ge_u32 s6, s12
	v_mov_b32_e32 v3, s7
	s_cbranch_scc1 .LBB175_16
; %bb.13:
	s_mov_b64 s[2:3], 0
	v_mov_b32_e32 v4, s12
	v_mov_b32_e32 v3, s7
.LBB175_14:                             ; =>This Inner Loop Header: Depth=1
	v_add_u32_e32 v6, v3, v4
	v_lshrrev_b32_e32 v6, 1, v6
	global_load_ubyte v7, v6, s[8:9]
	v_add_u32_e32 v8, 1, v6
	s_waitcnt vmcnt(0)
	v_cmp_gt_u16_sdwa s[16:17], v5, v7 src0_sel:BYTE_0 src1_sel:DWORD
	v_cndmask_b32_e64 v9, 0, 1, s[16:17]
	v_cmp_le_u16_sdwa s[16:17], v7, v5 src0_sel:DWORD src1_sel:BYTE_0
	v_cndmask_b32_e64 v7, 0, 1, s[16:17]
	v_cndmask_b32_e64 v7, v7, v9, s[0:1]
	v_and_b32_e32 v7, 1, v7
	v_cmp_eq_u32_e32 vcc, 1, v7
	v_cndmask_b32_e32 v4, v6, v4, vcc
	v_cndmask_b32_e32 v3, v3, v8, vcc
	v_cmp_ge_u32_e32 vcc, v3, v4
	s_or_b64 s[2:3], vcc, s[2:3]
	s_andn2_b64 exec, exec, s[2:3]
	s_cbranch_execnz .LBB175_14
; %bb.15:
	s_or_b64 exec, exec, s[2:3]
.LBB175_16:
	v_add_u32_e32 v3, v3, v0
	v_mov_b32_e32 v4, 0
	s_waitcnt vmcnt(0)
	global_store_byte v3, v5, s[10:11]
	v_lshlrev_b64 v[3:4], 3, v[3:4]
	v_mov_b32_e32 v6, s15
	v_add_co_u32_e32 v3, vcc, s14, v3
	v_addc_co_u32_e32 v4, vcc, v6, v4, vcc
	global_store_dwordx2 v[3:4], v[1:2], off
.LBB175_17:
	s_or_b64 exec, exec, s[4:5]
	s_mov_b64 s[4:5], 0
.LBB175_18:
	s_andn2_b64 vcc, exec, s[4:5]
	s_cbranch_vccnz .LBB175_24
; %bb.19:
	s_cmp_ge_u32 s6, s12
	v_mov_b32_e32 v3, s7
	s_cbranch_scc1 .LBB175_23
; %bb.20:
	s_mov_b64 s[2:3], 0
	v_mov_b32_e32 v4, s12
	v_mov_b32_e32 v3, s7
.LBB175_21:                             ; =>This Inner Loop Header: Depth=1
	v_add_u32_e32 v6, v3, v4
	v_lshrrev_b32_e32 v6, 1, v6
	global_load_ubyte v7, v6, s[8:9]
	v_add_u32_e32 v8, 1, v6
	s_waitcnt vmcnt(0)
	v_cmp_gt_u16_sdwa s[4:5], v5, v7 src0_sel:BYTE_0 src1_sel:DWORD
	v_cndmask_b32_e64 v9, 0, 1, s[4:5]
	v_cmp_le_u16_sdwa s[4:5], v7, v5 src0_sel:DWORD src1_sel:BYTE_0
	v_cndmask_b32_e64 v7, 0, 1, s[4:5]
	v_cndmask_b32_e64 v7, v7, v9, s[0:1]
	v_and_b32_e32 v7, 1, v7
	v_cmp_eq_u32_e32 vcc, 1, v7
	v_cndmask_b32_e32 v4, v6, v4, vcc
	v_cndmask_b32_e32 v3, v3, v8, vcc
	v_cmp_ge_u32_e32 vcc, v3, v4
	s_or_b64 s[2:3], vcc, s[2:3]
	s_andn2_b64 exec, exec, s[2:3]
	s_cbranch_execnz .LBB175_21
; %bb.22:
	s_or_b64 exec, exec, s[2:3]
.LBB175_23:
	v_add_u32_e32 v3, v3, v0
	v_mov_b32_e32 v4, 0
	s_waitcnt vmcnt(0)
	global_store_byte v3, v5, s[10:11]
	v_lshlrev_b64 v[3:4], 3, v[3:4]
	v_mov_b32_e32 v0, s15
	v_add_co_u32_e32 v3, vcc, s14, v3
	v_addc_co_u32_e32 v4, vcc, v0, v4, vcc
	global_store_dwordx2 v[3:4], v[1:2], off
.LBB175_24:
	s_endpgm
	.section	.rodata,"a",@progbits
	.p2align	6, 0x0
	.amdhsa_kernel _ZN7rocprim17ROCPRIM_304000_NS6detail33device_block_merge_oddeven_kernelINS1_37wrapped_merge_sort_block_merge_configINS0_14default_configEbN2at4cuda3cub6detail10OpaqueTypeILi8EEEEEPbSC_PSA_SD_jNS1_19radix_merge_compareILb0ELb0EbNS0_19identity_decomposerEEEEEvT0_T1_T2_T3_T4_SL_T5_
		.amdhsa_group_segment_fixed_size 0
		.amdhsa_private_segment_fixed_size 0
		.amdhsa_kernarg_size 44
		.amdhsa_user_sgpr_count 6
		.amdhsa_user_sgpr_private_segment_buffer 1
		.amdhsa_user_sgpr_dispatch_ptr 0
		.amdhsa_user_sgpr_queue_ptr 0
		.amdhsa_user_sgpr_kernarg_segment_ptr 1
		.amdhsa_user_sgpr_dispatch_id 0
		.amdhsa_user_sgpr_flat_scratch_init 0
		.amdhsa_user_sgpr_private_segment_size 0
		.amdhsa_uses_dynamic_stack 0
		.amdhsa_system_sgpr_private_segment_wavefront_offset 0
		.amdhsa_system_sgpr_workgroup_id_x 1
		.amdhsa_system_sgpr_workgroup_id_y 0
		.amdhsa_system_sgpr_workgroup_id_z 0
		.amdhsa_system_sgpr_workgroup_info 0
		.amdhsa_system_vgpr_workitem_id 0
		.amdhsa_next_free_vgpr 10
		.amdhsa_next_free_sgpr 22
		.amdhsa_reserve_vcc 1
		.amdhsa_reserve_flat_scratch 0
		.amdhsa_float_round_mode_32 0
		.amdhsa_float_round_mode_16_64 0
		.amdhsa_float_denorm_mode_32 3
		.amdhsa_float_denorm_mode_16_64 3
		.amdhsa_dx10_clamp 1
		.amdhsa_ieee_mode 1
		.amdhsa_fp16_overflow 0
		.amdhsa_exception_fp_ieee_invalid_op 0
		.amdhsa_exception_fp_denorm_src 0
		.amdhsa_exception_fp_ieee_div_zero 0
		.amdhsa_exception_fp_ieee_overflow 0
		.amdhsa_exception_fp_ieee_underflow 0
		.amdhsa_exception_fp_ieee_inexact 0
		.amdhsa_exception_int_div_zero 0
	.end_amdhsa_kernel
	.section	.text._ZN7rocprim17ROCPRIM_304000_NS6detail33device_block_merge_oddeven_kernelINS1_37wrapped_merge_sort_block_merge_configINS0_14default_configEbN2at4cuda3cub6detail10OpaqueTypeILi8EEEEEPbSC_PSA_SD_jNS1_19radix_merge_compareILb0ELb0EbNS0_19identity_decomposerEEEEEvT0_T1_T2_T3_T4_SL_T5_,"axG",@progbits,_ZN7rocprim17ROCPRIM_304000_NS6detail33device_block_merge_oddeven_kernelINS1_37wrapped_merge_sort_block_merge_configINS0_14default_configEbN2at4cuda3cub6detail10OpaqueTypeILi8EEEEEPbSC_PSA_SD_jNS1_19radix_merge_compareILb0ELb0EbNS0_19identity_decomposerEEEEEvT0_T1_T2_T3_T4_SL_T5_,comdat
.Lfunc_end175:
	.size	_ZN7rocprim17ROCPRIM_304000_NS6detail33device_block_merge_oddeven_kernelINS1_37wrapped_merge_sort_block_merge_configINS0_14default_configEbN2at4cuda3cub6detail10OpaqueTypeILi8EEEEEPbSC_PSA_SD_jNS1_19radix_merge_compareILb0ELb0EbNS0_19identity_decomposerEEEEEvT0_T1_T2_T3_T4_SL_T5_, .Lfunc_end175-_ZN7rocprim17ROCPRIM_304000_NS6detail33device_block_merge_oddeven_kernelINS1_37wrapped_merge_sort_block_merge_configINS0_14default_configEbN2at4cuda3cub6detail10OpaqueTypeILi8EEEEEPbSC_PSA_SD_jNS1_19radix_merge_compareILb0ELb0EbNS0_19identity_decomposerEEEEEvT0_T1_T2_T3_T4_SL_T5_
                                        ; -- End function
	.set _ZN7rocprim17ROCPRIM_304000_NS6detail33device_block_merge_oddeven_kernelINS1_37wrapped_merge_sort_block_merge_configINS0_14default_configEbN2at4cuda3cub6detail10OpaqueTypeILi8EEEEEPbSC_PSA_SD_jNS1_19radix_merge_compareILb0ELb0EbNS0_19identity_decomposerEEEEEvT0_T1_T2_T3_T4_SL_T5_.num_vgpr, 10
	.set _ZN7rocprim17ROCPRIM_304000_NS6detail33device_block_merge_oddeven_kernelINS1_37wrapped_merge_sort_block_merge_configINS0_14default_configEbN2at4cuda3cub6detail10OpaqueTypeILi8EEEEEPbSC_PSA_SD_jNS1_19radix_merge_compareILb0ELb0EbNS0_19identity_decomposerEEEEEvT0_T1_T2_T3_T4_SL_T5_.num_agpr, 0
	.set _ZN7rocprim17ROCPRIM_304000_NS6detail33device_block_merge_oddeven_kernelINS1_37wrapped_merge_sort_block_merge_configINS0_14default_configEbN2at4cuda3cub6detail10OpaqueTypeILi8EEEEEPbSC_PSA_SD_jNS1_19radix_merge_compareILb0ELb0EbNS0_19identity_decomposerEEEEEvT0_T1_T2_T3_T4_SL_T5_.numbered_sgpr, 22
	.set _ZN7rocprim17ROCPRIM_304000_NS6detail33device_block_merge_oddeven_kernelINS1_37wrapped_merge_sort_block_merge_configINS0_14default_configEbN2at4cuda3cub6detail10OpaqueTypeILi8EEEEEPbSC_PSA_SD_jNS1_19radix_merge_compareILb0ELb0EbNS0_19identity_decomposerEEEEEvT0_T1_T2_T3_T4_SL_T5_.num_named_barrier, 0
	.set _ZN7rocprim17ROCPRIM_304000_NS6detail33device_block_merge_oddeven_kernelINS1_37wrapped_merge_sort_block_merge_configINS0_14default_configEbN2at4cuda3cub6detail10OpaqueTypeILi8EEEEEPbSC_PSA_SD_jNS1_19radix_merge_compareILb0ELb0EbNS0_19identity_decomposerEEEEEvT0_T1_T2_T3_T4_SL_T5_.private_seg_size, 0
	.set _ZN7rocprim17ROCPRIM_304000_NS6detail33device_block_merge_oddeven_kernelINS1_37wrapped_merge_sort_block_merge_configINS0_14default_configEbN2at4cuda3cub6detail10OpaqueTypeILi8EEEEEPbSC_PSA_SD_jNS1_19radix_merge_compareILb0ELb0EbNS0_19identity_decomposerEEEEEvT0_T1_T2_T3_T4_SL_T5_.uses_vcc, 1
	.set _ZN7rocprim17ROCPRIM_304000_NS6detail33device_block_merge_oddeven_kernelINS1_37wrapped_merge_sort_block_merge_configINS0_14default_configEbN2at4cuda3cub6detail10OpaqueTypeILi8EEEEEPbSC_PSA_SD_jNS1_19radix_merge_compareILb0ELb0EbNS0_19identity_decomposerEEEEEvT0_T1_T2_T3_T4_SL_T5_.uses_flat_scratch, 0
	.set _ZN7rocprim17ROCPRIM_304000_NS6detail33device_block_merge_oddeven_kernelINS1_37wrapped_merge_sort_block_merge_configINS0_14default_configEbN2at4cuda3cub6detail10OpaqueTypeILi8EEEEEPbSC_PSA_SD_jNS1_19radix_merge_compareILb0ELb0EbNS0_19identity_decomposerEEEEEvT0_T1_T2_T3_T4_SL_T5_.has_dyn_sized_stack, 0
	.set _ZN7rocprim17ROCPRIM_304000_NS6detail33device_block_merge_oddeven_kernelINS1_37wrapped_merge_sort_block_merge_configINS0_14default_configEbN2at4cuda3cub6detail10OpaqueTypeILi8EEEEEPbSC_PSA_SD_jNS1_19radix_merge_compareILb0ELb0EbNS0_19identity_decomposerEEEEEvT0_T1_T2_T3_T4_SL_T5_.has_recursion, 0
	.set _ZN7rocprim17ROCPRIM_304000_NS6detail33device_block_merge_oddeven_kernelINS1_37wrapped_merge_sort_block_merge_configINS0_14default_configEbN2at4cuda3cub6detail10OpaqueTypeILi8EEEEEPbSC_PSA_SD_jNS1_19radix_merge_compareILb0ELb0EbNS0_19identity_decomposerEEEEEvT0_T1_T2_T3_T4_SL_T5_.has_indirect_call, 0
	.section	.AMDGPU.csdata,"",@progbits
; Kernel info:
; codeLenInByte = 724
; TotalNumSgprs: 26
; NumVgprs: 10
; ScratchSize: 0
; MemoryBound: 0
; FloatMode: 240
; IeeeMode: 1
; LDSByteSize: 0 bytes/workgroup (compile time only)
; SGPRBlocks: 3
; VGPRBlocks: 2
; NumSGPRsForWavesPerEU: 26
; NumVGPRsForWavesPerEU: 10
; Occupancy: 10
; WaveLimiterHint : 0
; COMPUTE_PGM_RSRC2:SCRATCH_EN: 0
; COMPUTE_PGM_RSRC2:USER_SGPR: 6
; COMPUTE_PGM_RSRC2:TRAP_HANDLER: 0
; COMPUTE_PGM_RSRC2:TGID_X_EN: 1
; COMPUTE_PGM_RSRC2:TGID_Y_EN: 0
; COMPUTE_PGM_RSRC2:TGID_Z_EN: 0
; COMPUTE_PGM_RSRC2:TIDIG_COMP_CNT: 0
	.section	.text._ZN7rocprim17ROCPRIM_304000_NS6detail45device_block_merge_mergepath_partition_kernelINS1_37wrapped_merge_sort_block_merge_configINS0_14default_configEbN2at4cuda3cub6detail10OpaqueTypeILi8EEEEEPbjNS1_19radix_merge_compareILb0ELb1EbNS0_19identity_decomposerEEEEEvT0_T1_jPSH_T2_SH_,"axG",@progbits,_ZN7rocprim17ROCPRIM_304000_NS6detail45device_block_merge_mergepath_partition_kernelINS1_37wrapped_merge_sort_block_merge_configINS0_14default_configEbN2at4cuda3cub6detail10OpaqueTypeILi8EEEEEPbjNS1_19radix_merge_compareILb0ELb1EbNS0_19identity_decomposerEEEEEvT0_T1_jPSH_T2_SH_,comdat
	.protected	_ZN7rocprim17ROCPRIM_304000_NS6detail45device_block_merge_mergepath_partition_kernelINS1_37wrapped_merge_sort_block_merge_configINS0_14default_configEbN2at4cuda3cub6detail10OpaqueTypeILi8EEEEEPbjNS1_19radix_merge_compareILb0ELb1EbNS0_19identity_decomposerEEEEEvT0_T1_jPSH_T2_SH_ ; -- Begin function _ZN7rocprim17ROCPRIM_304000_NS6detail45device_block_merge_mergepath_partition_kernelINS1_37wrapped_merge_sort_block_merge_configINS0_14default_configEbN2at4cuda3cub6detail10OpaqueTypeILi8EEEEEPbjNS1_19radix_merge_compareILb0ELb1EbNS0_19identity_decomposerEEEEEvT0_T1_jPSH_T2_SH_
	.globl	_ZN7rocprim17ROCPRIM_304000_NS6detail45device_block_merge_mergepath_partition_kernelINS1_37wrapped_merge_sort_block_merge_configINS0_14default_configEbN2at4cuda3cub6detail10OpaqueTypeILi8EEEEEPbjNS1_19radix_merge_compareILb0ELb1EbNS0_19identity_decomposerEEEEEvT0_T1_jPSH_T2_SH_
	.p2align	8
	.type	_ZN7rocprim17ROCPRIM_304000_NS6detail45device_block_merge_mergepath_partition_kernelINS1_37wrapped_merge_sort_block_merge_configINS0_14default_configEbN2at4cuda3cub6detail10OpaqueTypeILi8EEEEEPbjNS1_19radix_merge_compareILb0ELb1EbNS0_19identity_decomposerEEEEEvT0_T1_jPSH_T2_SH_,@function
_ZN7rocprim17ROCPRIM_304000_NS6detail45device_block_merge_mergepath_partition_kernelINS1_37wrapped_merge_sort_block_merge_configINS0_14default_configEbN2at4cuda3cub6detail10OpaqueTypeILi8EEEEEPbjNS1_19radix_merge_compareILb0ELb1EbNS0_19identity_decomposerEEEEEvT0_T1_jPSH_T2_SH_: ; @_ZN7rocprim17ROCPRIM_304000_NS6detail45device_block_merge_mergepath_partition_kernelINS1_37wrapped_merge_sort_block_merge_configINS0_14default_configEbN2at4cuda3cub6detail10OpaqueTypeILi8EEEEEPbjNS1_19radix_merge_compareILb0ELb1EbNS0_19identity_decomposerEEEEEvT0_T1_jPSH_T2_SH_
; %bb.0:
	s_load_dwordx2 s[10:11], s[4:5], 0x4
	s_load_dwordx2 s[0:1], s[6:7], 0x8
	;; [unrolled: 1-line block ×3, first 2 shown]
	s_waitcnt lgkmcnt(0)
	s_lshr_b32 s4, s10, 16
	s_mul_i32 s4, s4, s11
	v_mul_u32_u24_e32 v3, s4, v0
	v_mul_u32_u24_e32 v1, s11, v1
	s_and_b32 s2, s2, 1
	v_lshl_or_b32 v0, s8, 7, v0
	v_add3_u32 v5, v3, v1, v2
	v_mov_b32_e32 v1, s2
	v_cmp_gt_u32_e32 vcc, s1, v0
	ds_write_b8 v5, v1
	s_and_saveexec_b64 s[4:5], vcc
	s_cbranch_execz .LBB176_6
; %bb.1:
	s_lshr_b32 s1, s3, 9
	s_and_b32 s1, s1, 0x7ffffe
	s_add_i32 s2, s1, -1
	s_sub_i32 s1, 0, s1
	v_and_b32_e32 v1, s1, v0
	v_lshlrev_b32_e32 v3, 10, v1
	v_min_u32_e32 v1, s0, v3
	v_add_u32_e32 v3, s3, v3
	ds_read_u8 v6, v5
	v_min_u32_e32 v8, s0, v3
	v_add_u32_e32 v3, s3, v8
	v_and_b32_e32 v2, s2, v0
	v_min_u32_e32 v4, s0, v3
	v_sub_u32_e32 v3, v4, v1
	v_lshlrev_b32_e32 v2, 10, v2
	v_min_u32_e32 v3, v3, v2
	v_sub_u32_e32 v7, v8, v1
	v_sub_u32_e32 v2, v4, v8
	s_waitcnt lgkmcnt(0)
	v_and_b32_e32 v4, 1, v6
	ds_write_b8 v5, v4 offset:128
	v_sub_u32_e64 v2, v3, v2 clamp
	v_min_u32_e32 v4, v3, v7
	v_cmp_lt_u32_e32 vcc, v2, v4
	s_and_saveexec_b64 s[0:1], vcc
	s_cbranch_execz .LBB176_5
; %bb.2:
	s_load_dwordx2 s[2:3], s[6:7], 0x0
	ds_read_u8 v5, v5 offset:128
	s_waitcnt lgkmcnt(0)
	v_mov_b32_e32 v9, s3
	v_add_co_u32_e32 v6, vcc, s2, v1
	v_addc_co_u32_e32 v7, vcc, 0, v9, vcc
	v_add_co_u32_e32 v8, vcc, s2, v8
	v_addc_co_u32_e32 v9, vcc, 0, v9, vcc
	s_mov_b64 s[2:3], 0
.LBB176_3:                              ; =>This Inner Loop Header: Depth=1
	v_add_u32_e32 v10, v4, v2
	v_lshrrev_b32_e32 v14, 1, v10
	v_add_co_u32_e32 v10, vcc, v6, v14
	v_xad_u32 v12, v14, -1, v3
	v_addc_co_u32_e32 v11, vcc, 0, v7, vcc
	v_add_co_u32_e32 v12, vcc, v8, v12
	v_addc_co_u32_e32 v13, vcc, 0, v9, vcc
	global_load_ubyte v15, v[10:11], off
	global_load_ubyte v16, v[12:13], off
	v_add_u32_e32 v10, 1, v14
	s_waitcnt vmcnt(1)
	v_and_b32_e32 v11, v15, v5
	s_waitcnt vmcnt(0)
	v_and_b32_e32 v12, v16, v5
	v_and_b32_e32 v11, 1, v11
	;; [unrolled: 1-line block ×3, first 2 shown]
	v_cmp_gt_u16_e32 vcc, v11, v12
	v_cndmask_b32_e32 v4, v4, v14, vcc
	v_cndmask_b32_e32 v2, v10, v2, vcc
	v_cmp_ge_u32_e32 vcc, v2, v4
	s_or_b64 s[2:3], vcc, s[2:3]
	s_andn2_b64 exec, exec, s[2:3]
	s_cbranch_execnz .LBB176_3
; %bb.4:
	s_or_b64 exec, exec, s[2:3]
.LBB176_5:
	s_or_b64 exec, exec, s[0:1]
	s_load_dwordx2 s[0:1], s[6:7], 0x10
	v_add_u32_e32 v2, v2, v1
	v_mov_b32_e32 v1, 0
	v_lshlrev_b64 v[0:1], 2, v[0:1]
	s_waitcnt lgkmcnt(0)
	v_mov_b32_e32 v3, s1
	v_add_co_u32_e32 v0, vcc, s0, v0
	v_addc_co_u32_e32 v1, vcc, v3, v1, vcc
	global_store_dword v[0:1], v2, off
.LBB176_6:
	s_endpgm
	.section	.rodata,"a",@progbits
	.p2align	6, 0x0
	.amdhsa_kernel _ZN7rocprim17ROCPRIM_304000_NS6detail45device_block_merge_mergepath_partition_kernelINS1_37wrapped_merge_sort_block_merge_configINS0_14default_configEbN2at4cuda3cub6detail10OpaqueTypeILi8EEEEEPbjNS1_19radix_merge_compareILb0ELb1EbNS0_19identity_decomposerEEEEEvT0_T1_jPSH_T2_SH_
		.amdhsa_group_segment_fixed_size 256
		.amdhsa_private_segment_fixed_size 0
		.amdhsa_kernarg_size 32
		.amdhsa_user_sgpr_count 8
		.amdhsa_user_sgpr_private_segment_buffer 1
		.amdhsa_user_sgpr_dispatch_ptr 1
		.amdhsa_user_sgpr_queue_ptr 0
		.amdhsa_user_sgpr_kernarg_segment_ptr 1
		.amdhsa_user_sgpr_dispatch_id 0
		.amdhsa_user_sgpr_flat_scratch_init 0
		.amdhsa_user_sgpr_private_segment_size 0
		.amdhsa_uses_dynamic_stack 0
		.amdhsa_system_sgpr_private_segment_wavefront_offset 0
		.amdhsa_system_sgpr_workgroup_id_x 1
		.amdhsa_system_sgpr_workgroup_id_y 0
		.amdhsa_system_sgpr_workgroup_id_z 0
		.amdhsa_system_sgpr_workgroup_info 0
		.amdhsa_system_vgpr_workitem_id 2
		.amdhsa_next_free_vgpr 17
		.amdhsa_next_free_sgpr 12
		.amdhsa_reserve_vcc 1
		.amdhsa_reserve_flat_scratch 0
		.amdhsa_float_round_mode_32 0
		.amdhsa_float_round_mode_16_64 0
		.amdhsa_float_denorm_mode_32 3
		.amdhsa_float_denorm_mode_16_64 3
		.amdhsa_dx10_clamp 1
		.amdhsa_ieee_mode 1
		.amdhsa_fp16_overflow 0
		.amdhsa_exception_fp_ieee_invalid_op 0
		.amdhsa_exception_fp_denorm_src 0
		.amdhsa_exception_fp_ieee_div_zero 0
		.amdhsa_exception_fp_ieee_overflow 0
		.amdhsa_exception_fp_ieee_underflow 0
		.amdhsa_exception_fp_ieee_inexact 0
		.amdhsa_exception_int_div_zero 0
	.end_amdhsa_kernel
	.section	.text._ZN7rocprim17ROCPRIM_304000_NS6detail45device_block_merge_mergepath_partition_kernelINS1_37wrapped_merge_sort_block_merge_configINS0_14default_configEbN2at4cuda3cub6detail10OpaqueTypeILi8EEEEEPbjNS1_19radix_merge_compareILb0ELb1EbNS0_19identity_decomposerEEEEEvT0_T1_jPSH_T2_SH_,"axG",@progbits,_ZN7rocprim17ROCPRIM_304000_NS6detail45device_block_merge_mergepath_partition_kernelINS1_37wrapped_merge_sort_block_merge_configINS0_14default_configEbN2at4cuda3cub6detail10OpaqueTypeILi8EEEEEPbjNS1_19radix_merge_compareILb0ELb1EbNS0_19identity_decomposerEEEEEvT0_T1_jPSH_T2_SH_,comdat
.Lfunc_end176:
	.size	_ZN7rocprim17ROCPRIM_304000_NS6detail45device_block_merge_mergepath_partition_kernelINS1_37wrapped_merge_sort_block_merge_configINS0_14default_configEbN2at4cuda3cub6detail10OpaqueTypeILi8EEEEEPbjNS1_19radix_merge_compareILb0ELb1EbNS0_19identity_decomposerEEEEEvT0_T1_jPSH_T2_SH_, .Lfunc_end176-_ZN7rocprim17ROCPRIM_304000_NS6detail45device_block_merge_mergepath_partition_kernelINS1_37wrapped_merge_sort_block_merge_configINS0_14default_configEbN2at4cuda3cub6detail10OpaqueTypeILi8EEEEEPbjNS1_19radix_merge_compareILb0ELb1EbNS0_19identity_decomposerEEEEEvT0_T1_jPSH_T2_SH_
                                        ; -- End function
	.set _ZN7rocprim17ROCPRIM_304000_NS6detail45device_block_merge_mergepath_partition_kernelINS1_37wrapped_merge_sort_block_merge_configINS0_14default_configEbN2at4cuda3cub6detail10OpaqueTypeILi8EEEEEPbjNS1_19radix_merge_compareILb0ELb1EbNS0_19identity_decomposerEEEEEvT0_T1_jPSH_T2_SH_.num_vgpr, 17
	.set _ZN7rocprim17ROCPRIM_304000_NS6detail45device_block_merge_mergepath_partition_kernelINS1_37wrapped_merge_sort_block_merge_configINS0_14default_configEbN2at4cuda3cub6detail10OpaqueTypeILi8EEEEEPbjNS1_19radix_merge_compareILb0ELb1EbNS0_19identity_decomposerEEEEEvT0_T1_jPSH_T2_SH_.num_agpr, 0
	.set _ZN7rocprim17ROCPRIM_304000_NS6detail45device_block_merge_mergepath_partition_kernelINS1_37wrapped_merge_sort_block_merge_configINS0_14default_configEbN2at4cuda3cub6detail10OpaqueTypeILi8EEEEEPbjNS1_19radix_merge_compareILb0ELb1EbNS0_19identity_decomposerEEEEEvT0_T1_jPSH_T2_SH_.numbered_sgpr, 12
	.set _ZN7rocprim17ROCPRIM_304000_NS6detail45device_block_merge_mergepath_partition_kernelINS1_37wrapped_merge_sort_block_merge_configINS0_14default_configEbN2at4cuda3cub6detail10OpaqueTypeILi8EEEEEPbjNS1_19radix_merge_compareILb0ELb1EbNS0_19identity_decomposerEEEEEvT0_T1_jPSH_T2_SH_.num_named_barrier, 0
	.set _ZN7rocprim17ROCPRIM_304000_NS6detail45device_block_merge_mergepath_partition_kernelINS1_37wrapped_merge_sort_block_merge_configINS0_14default_configEbN2at4cuda3cub6detail10OpaqueTypeILi8EEEEEPbjNS1_19radix_merge_compareILb0ELb1EbNS0_19identity_decomposerEEEEEvT0_T1_jPSH_T2_SH_.private_seg_size, 0
	.set _ZN7rocprim17ROCPRIM_304000_NS6detail45device_block_merge_mergepath_partition_kernelINS1_37wrapped_merge_sort_block_merge_configINS0_14default_configEbN2at4cuda3cub6detail10OpaqueTypeILi8EEEEEPbjNS1_19radix_merge_compareILb0ELb1EbNS0_19identity_decomposerEEEEEvT0_T1_jPSH_T2_SH_.uses_vcc, 1
	.set _ZN7rocprim17ROCPRIM_304000_NS6detail45device_block_merge_mergepath_partition_kernelINS1_37wrapped_merge_sort_block_merge_configINS0_14default_configEbN2at4cuda3cub6detail10OpaqueTypeILi8EEEEEPbjNS1_19radix_merge_compareILb0ELb1EbNS0_19identity_decomposerEEEEEvT0_T1_jPSH_T2_SH_.uses_flat_scratch, 0
	.set _ZN7rocprim17ROCPRIM_304000_NS6detail45device_block_merge_mergepath_partition_kernelINS1_37wrapped_merge_sort_block_merge_configINS0_14default_configEbN2at4cuda3cub6detail10OpaqueTypeILi8EEEEEPbjNS1_19radix_merge_compareILb0ELb1EbNS0_19identity_decomposerEEEEEvT0_T1_jPSH_T2_SH_.has_dyn_sized_stack, 0
	.set _ZN7rocprim17ROCPRIM_304000_NS6detail45device_block_merge_mergepath_partition_kernelINS1_37wrapped_merge_sort_block_merge_configINS0_14default_configEbN2at4cuda3cub6detail10OpaqueTypeILi8EEEEEPbjNS1_19radix_merge_compareILb0ELb1EbNS0_19identity_decomposerEEEEEvT0_T1_jPSH_T2_SH_.has_recursion, 0
	.set _ZN7rocprim17ROCPRIM_304000_NS6detail45device_block_merge_mergepath_partition_kernelINS1_37wrapped_merge_sort_block_merge_configINS0_14default_configEbN2at4cuda3cub6detail10OpaqueTypeILi8EEEEEPbjNS1_19radix_merge_compareILb0ELb1EbNS0_19identity_decomposerEEEEEvT0_T1_jPSH_T2_SH_.has_indirect_call, 0
	.section	.AMDGPU.csdata,"",@progbits
; Kernel info:
; codeLenInByte = 416
; TotalNumSgprs: 16
; NumVgprs: 17
; ScratchSize: 0
; MemoryBound: 0
; FloatMode: 240
; IeeeMode: 1
; LDSByteSize: 256 bytes/workgroup (compile time only)
; SGPRBlocks: 1
; VGPRBlocks: 4
; NumSGPRsForWavesPerEU: 16
; NumVGPRsForWavesPerEU: 17
; Occupancy: 10
; WaveLimiterHint : 0
; COMPUTE_PGM_RSRC2:SCRATCH_EN: 0
; COMPUTE_PGM_RSRC2:USER_SGPR: 8
; COMPUTE_PGM_RSRC2:TRAP_HANDLER: 0
; COMPUTE_PGM_RSRC2:TGID_X_EN: 1
; COMPUTE_PGM_RSRC2:TGID_Y_EN: 0
; COMPUTE_PGM_RSRC2:TGID_Z_EN: 0
; COMPUTE_PGM_RSRC2:TIDIG_COMP_CNT: 2
	.section	.text._ZN7rocprim17ROCPRIM_304000_NS6detail35device_block_merge_mergepath_kernelINS1_37wrapped_merge_sort_block_merge_configINS0_14default_configEbN2at4cuda3cub6detail10OpaqueTypeILi8EEEEEPbSC_PSA_SD_jNS1_19radix_merge_compareILb0ELb1EbNS0_19identity_decomposerEEEEEvT0_T1_T2_T3_T4_SL_jT5_PKSL_NS1_7vsmem_tE,"axG",@progbits,_ZN7rocprim17ROCPRIM_304000_NS6detail35device_block_merge_mergepath_kernelINS1_37wrapped_merge_sort_block_merge_configINS0_14default_configEbN2at4cuda3cub6detail10OpaqueTypeILi8EEEEEPbSC_PSA_SD_jNS1_19radix_merge_compareILb0ELb1EbNS0_19identity_decomposerEEEEEvT0_T1_T2_T3_T4_SL_jT5_PKSL_NS1_7vsmem_tE,comdat
	.protected	_ZN7rocprim17ROCPRIM_304000_NS6detail35device_block_merge_mergepath_kernelINS1_37wrapped_merge_sort_block_merge_configINS0_14default_configEbN2at4cuda3cub6detail10OpaqueTypeILi8EEEEEPbSC_PSA_SD_jNS1_19radix_merge_compareILb0ELb1EbNS0_19identity_decomposerEEEEEvT0_T1_T2_T3_T4_SL_jT5_PKSL_NS1_7vsmem_tE ; -- Begin function _ZN7rocprim17ROCPRIM_304000_NS6detail35device_block_merge_mergepath_kernelINS1_37wrapped_merge_sort_block_merge_configINS0_14default_configEbN2at4cuda3cub6detail10OpaqueTypeILi8EEEEEPbSC_PSA_SD_jNS1_19radix_merge_compareILb0ELb1EbNS0_19identity_decomposerEEEEEvT0_T1_T2_T3_T4_SL_jT5_PKSL_NS1_7vsmem_tE
	.globl	_ZN7rocprim17ROCPRIM_304000_NS6detail35device_block_merge_mergepath_kernelINS1_37wrapped_merge_sort_block_merge_configINS0_14default_configEbN2at4cuda3cub6detail10OpaqueTypeILi8EEEEEPbSC_PSA_SD_jNS1_19radix_merge_compareILb0ELb1EbNS0_19identity_decomposerEEEEEvT0_T1_T2_T3_T4_SL_jT5_PKSL_NS1_7vsmem_tE
	.p2align	8
	.type	_ZN7rocprim17ROCPRIM_304000_NS6detail35device_block_merge_mergepath_kernelINS1_37wrapped_merge_sort_block_merge_configINS0_14default_configEbN2at4cuda3cub6detail10OpaqueTypeILi8EEEEEPbSC_PSA_SD_jNS1_19radix_merge_compareILb0ELb1EbNS0_19identity_decomposerEEEEEvT0_T1_T2_T3_T4_SL_jT5_PKSL_NS1_7vsmem_tE,@function
_ZN7rocprim17ROCPRIM_304000_NS6detail35device_block_merge_mergepath_kernelINS1_37wrapped_merge_sort_block_merge_configINS0_14default_configEbN2at4cuda3cub6detail10OpaqueTypeILi8EEEEEPbSC_PSA_SD_jNS1_19radix_merge_compareILb0ELb1EbNS0_19identity_decomposerEEEEEvT0_T1_T2_T3_T4_SL_jT5_PKSL_NS1_7vsmem_tE: ; @_ZN7rocprim17ROCPRIM_304000_NS6detail35device_block_merge_mergepath_kernelINS1_37wrapped_merge_sort_block_merge_configINS0_14default_configEbN2at4cuda3cub6detail10OpaqueTypeILi8EEEEEPbSC_PSA_SD_jNS1_19radix_merge_compareILb0ELb1EbNS0_19identity_decomposerEEEEEvT0_T1_T2_T3_T4_SL_jT5_PKSL_NS1_7vsmem_tE
; %bb.0:
	s_load_dwordx4 s[16:19], s[4:5], 0x20
	s_load_dwordx2 s[24:25], s[4:5], 0x40
	s_add_u32 s0, s0, s9
	s_addc_u32 s1, s1, 0
	s_waitcnt lgkmcnt(0)
	s_and_b32 s9, s19, 1
	v_mov_b32_e32 v1, s9
	buffer_store_byte v1, off, s[0:3], 0 offset:4
	buffer_load_ubyte v1, off, s[0:3], 0 offset:4
	s_mul_i32 s8, s25, s8
	s_add_u32 s28, s4, 64
	s_addc_u32 s29, s5, 0
	s_add_i32 s7, s8, s7
	s_mul_i32 s7, s7, s24
	s_add_i32 s26, s7, s6
	s_cmp_ge_u32 s26, s18
	s_waitcnt vmcnt(0)
	v_and_b32_e32 v1, 1, v1
	buffer_store_byte v1, off, s[0:3], 0 offset:3
	s_cbranch_scc1 .LBB177_111
; %bb.1:
	s_load_dwordx8 s[8:15], s[4:5], 0x0
	s_load_dwordx2 s[20:21], s[4:5], 0x30
	s_lshr_b32 s7, s16, 10
	s_cmp_lg_u32 s26, s7
	s_mov_b32 s27, 0
	s_cselect_b64 s[18:19], -1, 0
	s_lshl_b64 s[4:5], s[26:27], 2
	s_waitcnt lgkmcnt(0)
	s_add_u32 s4, s20, s4
	s_addc_u32 s5, s21, s5
	s_load_dwordx2 s[20:21], s[4:5], 0x0
	s_lshr_b32 s4, s17, 9
	s_and_b32 s4, s4, 0x7ffffe
	s_sub_i32 s4, 0, s4
	s_and_b32 s5, s26, s4
	s_lshl_b32 s23, s5, 10
	s_lshl_b32 s30, s26, 10
	s_lshl_b32 s5, s5, 11
	s_sub_i32 s22, s30, s23
	s_add_i32 s5, s5, s17
	s_add_i32 s25, s5, s22
	s_waitcnt lgkmcnt(0)
	s_sub_i32 s22, s25, s20
	s_sub_i32 s25, s25, s21
	;; [unrolled: 1-line block ×3, first 2 shown]
	s_min_u32 s22, s16, s22
	s_addk_i32 s25, 0x400
	s_or_b32 s4, s26, s4
	s_min_u32 s23, s16, s5
	s_add_i32 s5, s5, s17
	s_cmp_eq_u32 s4, -1
	s_cselect_b32 s4, s5, s25
	s_cselect_b32 s5, s23, s21
	s_min_u32 s4, s4, s16
	s_sub_i32 s17, s5, s20
	s_sub_i32 s31, s4, s22
	s_add_u32 s25, s8, s20
	s_addc_u32 s33, s9, 0
	s_add_u32 s8, s8, s22
	v_mov_b32_e32 v1, 0
	global_load_dword v2, v1, s[28:29] offset:14
	s_addc_u32 s9, s9, 0
	s_cmp_lt_u32 s6, s24
	s_cselect_b32 s4, 12, 18
	s_add_u32 s4, s28, s4
	s_addc_u32 s5, s29, 0
	global_load_ushort v1, v1, s[4:5]
	s_mov_b32 s21, s27
	s_mov_b32 s23, s27
	s_cmp_eq_u32 s26, s7
	v_cmp_gt_u32_e32 vcc, s17, v0
	s_waitcnt vmcnt(1)
	v_lshrrev_b32_e32 v3, 16, v2
	v_and_b32_e32 v2, 0xffff, v2
	v_mul_lo_u32 v2, v2, v3
	s_waitcnt vmcnt(0)
	v_mul_lo_u32 v3, v2, v1
	v_add_u32_e32 v4, v3, v0
	s_cbranch_scc1 .LBB177_3
; %bb.2:
	v_subrev_u32_e32 v1, s17, v0
	v_mov_b32_e32 v17, s8
	v_mov_b32_e32 v18, s25
	v_min_u32_e32 v1, v0, v1
	v_mov_b32_e32 v15, s9
	v_mov_b32_e32 v16, s33
	v_cndmask_b32_e32 v5, v17, v18, vcc
	v_cndmask_b32_e32 v2, v15, v16, vcc
	v_add_co_u32_e32 v1, vcc, v5, v1
	v_addc_co_u32_e32 v2, vcc, 0, v2, vcc
	v_subrev_u32_e32 v5, s17, v4
	v_cmp_gt_u32_e32 vcc, s17, v4
	v_min_u32_e32 v5, v4, v5
	v_cndmask_b32_e32 v7, v17, v18, vcc
	v_cndmask_b32_e32 v6, v15, v16, vcc
	v_add_co_u32_e32 v5, vcc, v7, v5
	v_addc_co_u32_e32 v6, vcc, 0, v6, vcc
	v_add_u32_e32 v9, v4, v3
	v_subrev_u32_e32 v7, s17, v9
	v_cmp_gt_u32_e32 vcc, s17, v9
	v_min_u32_e32 v7, v9, v7
	v_cndmask_b32_e32 v10, v17, v18, vcc
	v_cndmask_b32_e32 v8, v15, v16, vcc
	v_add_co_u32_e32 v7, vcc, v10, v7
	v_addc_co_u32_e32 v8, vcc, 0, v8, vcc
	v_add_u32_e32 v11, v9, v3
	;; [unrolled: 8-line block ×5, first 2 shown]
	v_subrev_u32_e32 v20, s17, v19
	v_cmp_gt_u32_e32 vcc, s17, v19
	v_min_u32_e32 v20, v19, v20
	v_cndmask_b32_e32 v16, v15, v16, vcc
	v_cndmask_b32_e32 v15, v17, v18, vcc
	v_add_co_u32_e32 v15, vcc, v15, v20
	v_addc_co_u32_e32 v16, vcc, 0, v16, vcc
	global_load_ubyte v17, v[7:8], off
	global_load_ubyte v18, v[5:6], off
	;; [unrolled: 1-line block ×7, first 2 shown]
	s_mov_b32 s24, 0xc0c0004
	s_add_i32 s26, s31, s17
	s_mov_b64 s[4:5], -1
	v_add_u32_e32 v5, v19, v3
	v_mov_b32_e32 v7, s26
	s_waitcnt vmcnt(4)
	v_perm_b32 v1, v20, v18, s24
	s_waitcnt vmcnt(3)
	v_perm_b32 v2, v17, v21, s24
	v_lshl_or_b32 v1, v2, 16, v1
	s_waitcnt vmcnt(1)
	v_perm_b32 v2, v22, v23, s24
	s_waitcnt vmcnt(0)
	v_lshl_or_b32 v2, v24, 16, v2
	s_cbranch_execz .LBB177_4
	s_branch .LBB177_19
.LBB177_3:
	s_mov_b64 s[4:5], 0
                                        ; implicit-def: $vgpr5
                                        ; implicit-def: $vgpr1_vgpr2
                                        ; implicit-def: $vgpr7
.LBB177_4:
	s_add_i32 s6, s31, s17
	v_mov_b32_e32 v1, 0
	v_cmp_gt_u32_e32 vcc, s6, v0
	s_mov_b32 s7, 0
	v_mov_b32_e32 v2, v1
	s_and_saveexec_b64 s[4:5], vcc
	s_cbranch_execz .LBB177_6
; %bb.5:
	v_mov_b32_e32 v1, s9
	v_mov_b32_e32 v2, s33
	v_cmp_gt_u32_e32 vcc, s17, v0
	v_cndmask_b32_e32 v2, v1, v2, vcc
	v_mov_b32_e32 v1, s8
	v_mov_b32_e32 v5, s25
	v_cndmask_b32_e32 v1, v1, v5, vcc
	v_subrev_u32_e32 v5, s17, v0
	v_min_u32_e32 v5, v0, v5
	v_add_co_u32_e32 v1, vcc, v1, v5
	v_addc_co_u32_e32 v2, vcc, 0, v2, vcc
	global_load_ubyte v1, v[1:2], off
	v_mov_b32_e32 v2, s7
	s_waitcnt vmcnt(0)
	v_and_b32_e32 v1, 0xffff, v1
.LBB177_6:
	s_or_b64 exec, exec, s[4:5]
	v_cmp_gt_u32_e32 vcc, s6, v4
	s_and_saveexec_b64 s[4:5], vcc
	s_cbranch_execz .LBB177_8
; %bb.7:
	v_mov_b32_e32 v5, s9
	v_mov_b32_e32 v6, s33
	v_cmp_gt_u32_e32 vcc, s17, v4
	v_cndmask_b32_e32 v6, v5, v6, vcc
	v_mov_b32_e32 v5, s8
	v_mov_b32_e32 v7, s25
	v_cndmask_b32_e32 v5, v5, v7, vcc
	v_subrev_u32_e32 v7, s17, v4
	v_min_u32_e32 v7, v4, v7
	v_add_co_u32_e32 v5, vcc, v5, v7
	v_addc_co_u32_e32 v6, vcc, 0, v6, vcc
	global_load_ubyte v5, v[5:6], off
	s_mov_b32 s7, 0x7060004
	s_waitcnt vmcnt(0)
	v_perm_b32 v1, v1, v5, s7
.LBB177_8:
	s_or_b64 exec, exec, s[4:5]
	v_add_u32_e32 v4, v4, v3
	v_cmp_gt_u32_e32 vcc, s6, v4
	s_and_saveexec_b64 s[4:5], vcc
	s_cbranch_execz .LBB177_10
; %bb.9:
	v_mov_b32_e32 v5, s9
	v_mov_b32_e32 v6, s33
	v_cmp_gt_u32_e32 vcc, s17, v4
	v_cndmask_b32_e32 v6, v5, v6, vcc
	v_mov_b32_e32 v5, s8
	v_mov_b32_e32 v7, s25
	v_cndmask_b32_e32 v5, v5, v7, vcc
	v_subrev_u32_e32 v7, s17, v4
	v_min_u32_e32 v7, v4, v7
	v_add_co_u32_e32 v5, vcc, v5, v7
	v_addc_co_u32_e32 v6, vcc, 0, v6, vcc
	global_load_ubyte v5, v[5:6], off
	s_mov_b32 s7, 0xc0c0304
	s_waitcnt vmcnt(0)
	v_perm_b32 v5, v5, v1, s7
	v_lshlrev_b32_e32 v5, 16, v5
	s_mov_b32 s7, 0xffff
	v_and_or_b32 v1, v1, s7, v5
.LBB177_10:
	s_or_b64 exec, exec, s[4:5]
	v_add_u32_e32 v4, v4, v3
	v_cmp_gt_u32_e32 vcc, s6, v4
	s_and_saveexec_b64 s[4:5], vcc
	s_cbranch_execz .LBB177_12
; %bb.11:
	v_mov_b32_e32 v5, s9
	v_mov_b32_e32 v6, s33
	v_cmp_gt_u32_e32 vcc, s17, v4
	v_cndmask_b32_e32 v6, v5, v6, vcc
	v_mov_b32_e32 v5, s8
	v_mov_b32_e32 v7, s25
	v_cndmask_b32_e32 v5, v5, v7, vcc
	v_subrev_u32_e32 v7, s17, v4
	v_min_u32_e32 v7, v4, v7
	v_add_co_u32_e32 v5, vcc, v5, v7
	v_addc_co_u32_e32 v6, vcc, 0, v6, vcc
	global_load_ubyte v5, v[5:6], off
	s_mov_b32 s7, 0xc0c0006
	s_waitcnt vmcnt(0)
	v_perm_b32 v5, v1, v5, s7
	v_lshlrev_b32_e32 v5, 16, v5
	s_mov_b32 s7, 0xffff
	v_and_or_b32 v1, v1, s7, v5
.LBB177_12:
	s_or_b64 exec, exec, s[4:5]
	v_add_u32_e32 v4, v4, v3
	v_cmp_gt_u32_e32 vcc, s6, v4
	s_and_saveexec_b64 s[4:5], vcc
	s_cbranch_execz .LBB177_14
; %bb.13:
	v_mov_b32_e32 v5, s9
	v_mov_b32_e32 v6, s33
	v_cmp_gt_u32_e32 vcc, s17, v4
	v_cndmask_b32_e32 v6, v5, v6, vcc
	v_mov_b32_e32 v5, s8
	v_mov_b32_e32 v7, s25
	v_cndmask_b32_e32 v5, v5, v7, vcc
	v_subrev_u32_e32 v7, s17, v4
	v_min_u32_e32 v7, v4, v7
	v_add_co_u32_e32 v5, vcc, v5, v7
	v_addc_co_u32_e32 v6, vcc, 0, v6, vcc
	global_load_ubyte v5, v[5:6], off
	s_mov_b32 s7, 0x3020104
	s_waitcnt vmcnt(0)
	v_perm_b32 v2, v5, v2, s7
.LBB177_14:
	s_or_b64 exec, exec, s[4:5]
	v_add_u32_e32 v4, v4, v3
	v_cmp_gt_u32_e32 vcc, s6, v4
	s_and_saveexec_b64 s[4:5], vcc
	s_cbranch_execz .LBB177_16
; %bb.15:
	v_mov_b32_e32 v5, s9
	v_mov_b32_e32 v6, s33
	v_cmp_gt_u32_e32 vcc, s17, v4
	v_cndmask_b32_e32 v6, v5, v6, vcc
	v_mov_b32_e32 v5, s8
	v_mov_b32_e32 v7, s25
	v_cndmask_b32_e32 v5, v5, v7, vcc
	v_subrev_u32_e32 v7, s17, v4
	v_min_u32_e32 v7, v4, v7
	v_add_co_u32_e32 v5, vcc, v5, v7
	v_addc_co_u32_e32 v6, vcc, 0, v6, vcc
	global_load_ubyte v5, v[5:6], off
	s_mov_b32 s7, 0x7060004
	s_waitcnt vmcnt(0)
	v_perm_b32 v2, v2, v5, s7
.LBB177_16:
	;; [unrolled: 22-line block ×3, first 2 shown]
	s_or_b64 exec, exec, s[4:5]
	v_add_u32_e32 v5, v4, v3
	v_cmp_gt_u32_e64 s[4:5], s6, v5
	v_mov_b32_e32 v7, s6
.LBB177_19:
	s_and_saveexec_b64 s[6:7], s[4:5]
	s_cbranch_execz .LBB177_21
; %bb.20:
	v_subrev_u32_e32 v3, s17, v5
	v_mov_b32_e32 v4, s9
	v_mov_b32_e32 v6, s33
	v_cmp_gt_u32_e32 vcc, s17, v5
	v_min_u32_e32 v3, v5, v3
	v_cndmask_b32_e32 v4, v4, v6, vcc
	v_mov_b32_e32 v5, s8
	v_mov_b32_e32 v6, s25
	v_cndmask_b32_e32 v5, v5, v6, vcc
	v_add_co_u32_e32 v3, vcc, v5, v3
	v_addc_co_u32_e32 v4, vcc, 0, v4, vcc
	global_load_ubyte v3, v[3:4], off
	s_mov_b32 s4, 0x60504
	s_waitcnt vmcnt(0)
	v_perm_b32 v2, v2, v3, s4
.LBB177_21:
	s_or_b64 exec, exec, s[6:7]
	v_lshrrev_b32_e32 v3, 8, v1
	ds_write_b8 v0, v1
	ds_write_b8 v0, v3 offset:128
	ds_write_b8_d16_hi v0, v1 offset:256
	v_lshrrev_b32_e32 v3, 24, v1
	ds_write_b8 v0, v3 offset:384
	ds_write_b8 v0, v2 offset:512
	v_lshrrev_b32_e32 v3, 8, v2
	ds_write_b8 v0, v3 offset:640
	ds_write_b8_d16_hi v0, v2 offset:768
	v_lshrrev_b32_e32 v3, 24, v2
	ds_write_b8 v0, v3 offset:896
	s_waitcnt lgkmcnt(0)
	s_barrier
	buffer_load_ubyte v6, off, s[0:3], 0 offset:3
	v_lshlrev_b32_e32 v8, 3, v0
	v_min_u32_e32 v4, v7, v8
	v_sub_u32_e64 v3, v4, s31 clamp
	v_min_u32_e32 v5, s17, v4
	v_cmp_lt_u32_e64 s[4:5], v3, v5
	s_waitcnt vmcnt(0)
	v_and_b32_e32 v6, 1, v6
	v_cmp_eq_u32_e32 vcc, 1, v6
	buffer_store_byte v6, off, s[0:3], 0 offset:2
	s_and_saveexec_b64 s[6:7], s[4:5]
	s_cbranch_execz .LBB177_25
; %bb.22:
	buffer_load_ubyte v6, off, s[0:3], 0 offset:2
	v_add_u32_e32 v9, s17, v4
	s_mov_b64 s[8:9], 0
.LBB177_23:                             ; =>This Inner Loop Header: Depth=1
	v_add_u32_e32 v10, v5, v3
	v_lshrrev_b32_e32 v10, 1, v10
	v_xad_u32 v11, v10, -1, v9
	ds_read_u8 v12, v10
	ds_read_u8 v11, v11
	v_add_u32_e32 v13, 1, v10
	s_waitcnt vmcnt(0) lgkmcnt(1)
	v_and_b32_e32 v12, v12, v6
	s_waitcnt lgkmcnt(0)
	v_and_b32_e32 v11, v11, v6
	v_and_b32_e32 v12, 1, v12
	;; [unrolled: 1-line block ×3, first 2 shown]
	v_cmp_gt_u16_e64 s[4:5], v12, v11
	v_cndmask_b32_e64 v5, v5, v10, s[4:5]
	v_cndmask_b32_e64 v3, v13, v3, s[4:5]
	v_cmp_ge_u32_e64 s[4:5], v3, v5
	s_or_b64 s[8:9], s[4:5], s[8:9]
	s_andn2_b64 exec, exec, s[8:9]
	s_cbranch_execnz .LBB177_23
; %bb.24:
	s_or_b64 exec, exec, s[8:9]
.LBB177_25:
	s_or_b64 exec, exec, s[6:7]
	v_cndmask_b32_e64 v5, 0, 1, vcc
	buffer_store_byte v5, off, s[0:3], 0 offset:1
	buffer_load_ubyte v5, off, s[0:3], 0 offset:1
	v_sub_u32_e32 v4, v4, v3
	v_add_u32_e32 v4, s17, v4
	v_cmp_ge_u32_e32 vcc, s17, v3
	v_cmp_le_u32_e64 s[4:5], v4, v7
	v_mov_b32_e32 v11, 0
	v_mov_b32_e32 v12, 0
	;; [unrolled: 1-line block ×7, first 2 shown]
	s_or_b64 s[4:5], vcc, s[4:5]
	v_mov_b32_e32 v10, 0
	s_waitcnt vmcnt(0)
	v_and_b32_e32 v5, 1, v5
	buffer_store_byte v5, off, s[0:3], 0
	s_and_saveexec_b64 s[8:9], s[4:5]
	s_cbranch_execz .LBB177_31
; %bb.26:
	v_cmp_le_u32_e32 vcc, s17, v3
	v_cmp_gt_u32_e64 s[4:5], s17, v3
                                        ; implicit-def: $vgpr1
	s_and_saveexec_b64 s[6:7], s[4:5]
; %bb.27:
	ds_read_u8 v1, v3
; %bb.28:
	s_or_b64 exec, exec, s[6:7]
	v_cmp_ge_u32_e64 s[4:5], v4, v7
	v_cmp_lt_u32_e64 s[6:7], v4, v7
                                        ; implicit-def: $vgpr2
	s_and_saveexec_b64 s[24:25], s[6:7]
; %bb.29:
	ds_read_u8 v2, v4
; %bb.30:
	s_or_b64 exec, exec, s[24:25]
	buffer_load_ubyte v5, off, s[0:3], 0
	v_cndmask_b32_e64 v6, 0, 1, s[4:5]
	s_or_b64 vcc, vcc, s[4:5]
	v_mov_b32_e32 v11, s17
	s_waitcnt vmcnt(0) lgkmcnt(0)
	v_and_b32_e32 v9, v5, v2
	v_and_b32_e32 v10, v5, v1
	;; [unrolled: 1-line block ×4, first 2 shown]
	v_cmp_le_u16_e64 s[6:7], v10, v9
	v_cndmask_b32_e64 v9, 0, 1, s[6:7]
	v_cndmask_b32_e32 v6, v9, v6, vcc
	v_and_b32_e32 v6, 1, v6
	v_cmp_eq_u32_e32 vcc, 1, v6
	v_cndmask_b32_e32 v10, v4, v3, vcc
	v_cndmask_b32_e32 v6, v7, v11, vcc
	v_add_u32_e32 v9, 1, v10
	v_add_u32_e32 v6, -1, v6
	v_min_u32_e32 v6, v9, v6
	ds_read_u8 v6, v6
	v_cndmask_b32_e32 v12, v2, v1, vcc
	v_cndmask_b32_e32 v4, v9, v4, vcc
	v_cndmask_b32_e32 v3, v3, v9, vcc
	v_cmp_gt_u32_e64 s[6:7], s17, v3
	s_waitcnt lgkmcnt(0)
	v_cndmask_b32_e32 v2, v6, v2, vcc
	v_cndmask_b32_e32 v1, v1, v6, vcc
	v_and_b32_e32 v6, v2, v5
	v_and_b32_e32 v9, v1, v5
	v_cmp_le_u16_sdwa s[24:25], v9, v6 src0_sel:BYTE_0 src1_sel:BYTE_0
	v_cmp_ge_u32_e64 s[4:5], v4, v7
	s_and_b64 s[6:7], s[6:7], s[24:25]
	s_or_b64 vcc, s[4:5], s[6:7]
	v_cndmask_b32_e32 v9, v4, v3, vcc
	v_cndmask_b32_e32 v6, v7, v11, vcc
	v_add_u32_e32 v14, 1, v9
	v_add_u32_e32 v6, -1, v6
	v_min_u32_e32 v6, v14, v6
	ds_read_u8 v6, v6
	v_cndmask_b32_e32 v13, v2, v1, vcc
	v_lshlrev_b16_e32 v13, 8, v13
	v_cndmask_b32_e32 v3, v3, v14, vcc
	v_or_b32_sdwa v17, v12, v13 dst_sel:DWORD dst_unused:UNUSED_PAD src0_sel:BYTE_0 src1_sel:DWORD
	s_waitcnt lgkmcnt(0)
	v_cndmask_b32_e32 v2, v6, v2, vcc
	v_cndmask_b32_e32 v1, v1, v6, vcc
	v_and_b32_e32 v6, v2, v5
	v_and_b32_e32 v12, v1, v5
	v_cndmask_b32_e32 v4, v14, v4, vcc
	v_cmp_gt_u32_e64 s[6:7], s17, v3
	v_cmp_le_u16_sdwa s[24:25], v12, v6 src0_sel:BYTE_0 src1_sel:BYTE_0
	v_cmp_ge_u32_e64 s[4:5], v4, v7
	s_and_b64 s[6:7], s[6:7], s[24:25]
	s_or_b64 vcc, s[4:5], s[6:7]
	v_cndmask_b32_e32 v16, v4, v3, vcc
	v_cndmask_b32_e32 v6, v7, v11, vcc
	v_add_u32_e32 v13, 1, v16
	v_add_u32_e32 v6, -1, v6
	v_min_u32_e32 v6, v13, v6
	ds_read_u8 v6, v6
	v_cndmask_b32_e32 v12, v2, v1, vcc
	v_cndmask_b32_e32 v4, v13, v4, vcc
	v_cndmask_b32_e32 v3, v3, v13, vcc
	v_cmp_gt_u32_e64 s[6:7], s17, v3
	s_waitcnt lgkmcnt(0)
	v_cndmask_b32_e32 v2, v6, v2, vcc
	v_cndmask_b32_e32 v1, v1, v6, vcc
	v_and_b32_e32 v6, v2, v5
	v_and_b32_e32 v13, v1, v5
	v_cmp_le_u16_sdwa s[24:25], v13, v6 src0_sel:BYTE_0 src1_sel:BYTE_0
	v_cmp_ge_u32_e64 s[4:5], v4, v7
	s_and_b64 s[6:7], s[6:7], s[24:25]
	s_or_b64 vcc, s[4:5], s[6:7]
	v_cndmask_b32_e32 v15, v4, v3, vcc
	v_cndmask_b32_e32 v6, v7, v11, vcc
	v_add_u32_e32 v14, 1, v15
	v_add_u32_e32 v6, -1, v6
	v_min_u32_e32 v6, v14, v6
	ds_read_u8 v6, v6
	v_cndmask_b32_e32 v13, v2, v1, vcc
	v_lshlrev_b16_e32 v13, 8, v13
	v_cndmask_b32_e32 v3, v3, v14, vcc
	v_or_b32_sdwa v18, v12, v13 dst_sel:WORD_1 dst_unused:UNUSED_PAD src0_sel:BYTE_0 src1_sel:DWORD
	s_waitcnt lgkmcnt(0)
	v_cndmask_b32_e32 v2, v6, v2, vcc
	v_cndmask_b32_e32 v1, v1, v6, vcc
	v_and_b32_e32 v6, v2, v5
	v_and_b32_e32 v12, v1, v5
	v_cndmask_b32_e32 v4, v14, v4, vcc
	v_cmp_gt_u32_e64 s[6:7], s17, v3
	v_cmp_le_u16_sdwa s[24:25], v12, v6 src0_sel:BYTE_0 src1_sel:BYTE_0
	v_cmp_ge_u32_e64 s[4:5], v4, v7
	s_and_b64 s[6:7], s[6:7], s[24:25]
	s_or_b64 vcc, s[4:5], s[6:7]
	v_cndmask_b32_e32 v14, v4, v3, vcc
	v_cndmask_b32_e32 v6, v7, v11, vcc
	v_add_u32_e32 v13, 1, v14
	v_add_u32_e32 v6, -1, v6
	v_min_u32_e32 v6, v13, v6
	ds_read_u8 v6, v6
	v_cndmask_b32_e32 v12, v2, v1, vcc
	v_cndmask_b32_e32 v4, v13, v4, vcc
	;; [unrolled: 1-line block ×3, first 2 shown]
	v_cmp_gt_u32_e64 s[6:7], s17, v3
	s_waitcnt lgkmcnt(0)
	v_cndmask_b32_e32 v2, v6, v2, vcc
	v_cndmask_b32_e32 v1, v1, v6, vcc
	v_and_b32_e32 v6, v2, v5
	v_and_b32_e32 v13, v1, v5
	v_cmp_le_u16_sdwa s[24:25], v13, v6 src0_sel:BYTE_0 src1_sel:BYTE_0
	v_cmp_ge_u32_e64 s[4:5], v4, v7
	s_and_b64 s[6:7], s[6:7], s[24:25]
	s_or_b64 vcc, s[4:5], s[6:7]
	v_cndmask_b32_e32 v13, v4, v3, vcc
	v_cndmask_b32_e32 v6, v7, v11, vcc
	v_add_u32_e32 v20, 1, v13
	v_add_u32_e32 v6, -1, v6
	v_min_u32_e32 v6, v20, v6
	ds_read_u8 v6, v6
	v_cndmask_b32_e32 v19, v2, v1, vcc
	v_lshlrev_b16_e32 v19, 8, v19
	v_cndmask_b32_e32 v3, v3, v20, vcc
	v_or_b32_sdwa v19, v12, v19 dst_sel:DWORD dst_unused:UNUSED_PAD src0_sel:BYTE_0 src1_sel:DWORD
	s_waitcnt lgkmcnt(0)
	v_cndmask_b32_e32 v2, v6, v2, vcc
	v_cndmask_b32_e32 v1, v1, v6, vcc
	v_and_b32_e32 v6, v2, v5
	v_and_b32_e32 v12, v1, v5
	v_cndmask_b32_e32 v4, v20, v4, vcc
	v_cmp_gt_u32_e64 s[6:7], s17, v3
	v_cmp_le_u16_sdwa s[24:25], v12, v6 src0_sel:BYTE_0 src1_sel:BYTE_0
	v_cmp_ge_u32_e64 s[4:5], v4, v7
	s_and_b64 s[6:7], s[6:7], s[24:25]
	s_or_b64 vcc, s[4:5], s[6:7]
	v_cndmask_b32_e32 v12, v4, v3, vcc
	v_cndmask_b32_e32 v6, v7, v11, vcc
	v_add_u32_e32 v11, 1, v12
	v_add_u32_e32 v6, -1, v6
	v_min_u32_e32 v6, v11, v6
	ds_read_u8 v6, v6
	v_cndmask_b32_e32 v20, v2, v1, vcc
	v_cndmask_b32_e32 v3, v3, v11, vcc
	;; [unrolled: 1-line block ×3, first 2 shown]
	v_cmp_gt_u32_e64 s[6:7], s17, v3
	s_waitcnt lgkmcnt(0)
	v_cndmask_b32_e32 v2, v6, v2, vcc
	v_cndmask_b32_e32 v1, v1, v6, vcc
	v_and_b32_e32 v6, v2, v5
	v_and_b32_e32 v5, v1, v5
	v_cmp_le_u16_sdwa s[24:25], v5, v6 src0_sel:BYTE_0 src1_sel:BYTE_0
	v_cmp_ge_u32_e64 s[4:5], v4, v7
	s_and_b64 s[6:7], s[6:7], s[24:25]
	s_or_b64 vcc, s[4:5], s[6:7]
	v_cndmask_b32_e32 v1, v2, v1, vcc
	v_lshlrev_b16_e32 v1, 8, v1
	v_or_b32_sdwa v1, v20, v1 dst_sel:WORD_1 dst_unused:UNUSED_PAD src0_sel:BYTE_0 src1_sel:DWORD
	v_cndmask_b32_e32 v11, v4, v3, vcc
	v_or_b32_sdwa v2, v19, v1 dst_sel:DWORD dst_unused:UNUSED_PAD src0_sel:WORD_0 src1_sel:DWORD
	v_or_b32_sdwa v1, v17, v18 dst_sel:DWORD dst_unused:UNUSED_PAD src0_sel:WORD_0 src1_sel:DWORD
.LBB177_31:
	s_or_b64 exec, exec, s[8:9]
	s_lshl_b64 s[4:5], s[20:21], 3
	s_add_u32 s26, s12, s4
	s_addc_u32 s27, s13, s5
	s_lshl_b64 s[4:5], s[22:23], 3
	s_add_u32 s24, s12, s4
	v_cndmask_b32_e64 v3, 0, 1, s[18:19]
	s_addc_u32 s25, s13, s5
	v_cmp_gt_u32_e64 s[8:9], s17, v0
	v_cmp_ne_u32_e64 s[4:5], 1, v3
	s_andn2_b64 vcc, exec, s[18:19]
	v_cmp_le_u32_e64 s[6:7], s17, v0
	s_waitcnt vmcnt(0)
	s_barrier
	s_cbranch_vccnz .LBB177_33
; %bb.32:
	v_mov_b32_e32 v3, s27
	v_add_co_u32_e32 v5, vcc, s26, v8
	v_subrev_u32_e32 v4, s17, v0
	v_addc_co_u32_e32 v3, vcc, 0, v3, vcc
	v_lshlrev_b32_e32 v4, 3, v4
	v_mov_b32_e32 v6, s25
	v_add_co_u32_e32 v17, vcc, s24, v4
	v_addc_co_u32_e32 v4, vcc, 0, v6, vcc
	v_cndmask_b32_e64 v4, v4, v3, s[8:9]
	v_cndmask_b32_e64 v3, v17, v5, s[8:9]
	v_or_b32_e32 v5, 0x80, v0
	v_subrev_u32_e32 v6, s17, v5
	v_min_u32_e32 v6, v5, v6
	v_cmp_gt_u32_e32 vcc, s17, v5
	v_mov_b32_e32 v29, s24
	v_mov_b32_e32 v30, s26
	;; [unrolled: 1-line block ×4, first 2 shown]
	v_cndmask_b32_e32 v5, v29, v30, vcc
	v_lshlrev_b32_e32 v6, 3, v6
	v_cndmask_b32_e32 v17, v27, v28, vcc
	v_add_co_u32_e32 v5, vcc, v5, v6
	v_addc_co_u32_e32 v6, vcc, 0, v17, vcc
	v_or_b32_e32 v17, 0x100, v0
	v_subrev_u32_e32 v18, s17, v17
	v_min_u32_e32 v18, v17, v18
	v_cmp_gt_u32_e32 vcc, s17, v17
	v_cndmask_b32_e32 v17, v29, v30, vcc
	v_lshlrev_b32_e32 v18, 3, v18
	v_cndmask_b32_e32 v19, v27, v28, vcc
	v_add_co_u32_e32 v17, vcc, v17, v18
	v_addc_co_u32_e32 v18, vcc, 0, v19, vcc
	v_or_b32_e32 v19, 0x180, v0
	v_subrev_u32_e32 v20, s17, v19
	v_min_u32_e32 v20, v19, v20
	v_cmp_gt_u32_e32 vcc, s17, v19
	;; [unrolled: 9-line block ×5, first 2 shown]
	global_load_dwordx2 v[3:4], v[3:4], off
	v_cndmask_b32_e32 v25, v29, v30, vcc
	global_load_dwordx2 v[5:6], v[5:6], off
	v_lshlrev_b32_e32 v26, 3, v26
	global_load_dwordx2 v[17:18], v[17:18], off
	v_cndmask_b32_e32 v31, v27, v28, vcc
	global_load_dwordx2 v[19:20], v[19:20], off
	v_add_co_u32_e32 v25, vcc, v25, v26
	global_load_dwordx2 v[21:22], v[21:22], off
	v_addc_co_u32_e32 v26, vcc, 0, v31, vcc
	global_load_dwordx2 v[23:24], v[23:24], off
	s_nop 0
	global_load_dwordx2 v[25:26], v[25:26], off
	s_mov_b64 s[8:9], -1
	s_waitcnt vmcnt(5)
	ds_write2st64_b64 v8, v[3:4], v[5:6] offset1:2
	s_waitcnt vmcnt(3)
	ds_write2st64_b64 v8, v[17:18], v[19:20] offset0:4 offset1:6
	s_waitcnt vmcnt(1)
	ds_write2st64_b64 v8, v[21:22], v[23:24] offset0:8 offset1:10
	s_waitcnt vmcnt(0)
	ds_write_b64 v8, v[25:26] offset:6144
	v_or_b32_e32 v17, 0x380, v0
	v_subrev_u32_e32 v3, s17, v17
	v_cmp_gt_u32_e32 vcc, s17, v17
	v_min_u32_e32 v5, v17, v3
	v_cndmask_b32_e32 v4, v27, v28, vcc
	v_cndmask_b32_e32 v3, v29, v30, vcc
	s_cbranch_execz .LBB177_34
	s_branch .LBB177_67
.LBB177_33:
	s_mov_b64 s[8:9], 0
                                        ; implicit-def: $vgpr17
                                        ; implicit-def: $vgpr3_vgpr4
                                        ; implicit-def: $vgpr5
.LBB177_34:
	s_and_saveexec_b64 s[8:9], s[6:7]
	s_xor_b64 s[6:7], exec, s[8:9]
	s_cbranch_execz .LBB177_38
; %bb.35:
	v_subrev_u32_e32 v3, s17, v0
	v_cmp_gt_u32_e32 vcc, s31, v3
	s_and_saveexec_b64 s[8:9], vcc
	s_cbranch_execz .LBB177_37
; %bb.36:
	v_lshlrev_b32_e32 v3, 3, v3
	global_load_dwordx2 v[3:4], v3, s[24:25]
	s_waitcnt vmcnt(0)
	ds_write_b64 v8, v[3:4]
.LBB177_37:
	s_or_b64 exec, exec, s[8:9]
.LBB177_38:
	s_or_saveexec_b64 s[6:7], s[6:7]
	v_mad_u32_u24 v5, v0, 7, v0
	s_xor_b64 exec, exec, s[6:7]
	s_cbranch_execz .LBB177_40
; %bb.39:
	global_load_dwordx2 v[3:4], v8, s[26:27]
	s_waitcnt vmcnt(0)
	ds_write_b64 v5, v[3:4]
.LBB177_40:
	s_or_b64 exec, exec, s[6:7]
	v_or_b32_e32 v6, 0x80, v0
	v_mov_b32_e32 v3, s20
	v_cmp_le_u32_e32 vcc, s17, v6
	s_mov_b64 s[6:7], -1
	v_mov_b32_e32 v4, s21
	s_and_saveexec_b64 s[8:9], vcc
; %bb.41:
	v_subrev_u32_e32 v6, s17, v6
	v_cmp_gt_u32_e32 vcc, s31, v6
	v_mov_b32_e32 v3, s22
	v_mov_b32_e32 v4, s23
	s_orn2_b64 s[6:7], vcc, exec
; %bb.42:
	s_or_b64 exec, exec, s[8:9]
	s_and_saveexec_b64 s[8:9], s[6:7]
	s_cbranch_execz .LBB177_44
; %bb.43:
	v_lshlrev_b64 v[3:4], 3, v[3:4]
	v_mov_b32_e32 v17, s13
	v_add_co_u32_e32 v3, vcc, s12, v3
	v_addc_co_u32_e32 v4, vcc, v17, v4, vcc
	v_lshlrev_b32_e32 v6, 3, v6
	v_add_co_u32_e32 v3, vcc, v3, v6
	v_addc_co_u32_e32 v4, vcc, 0, v4, vcc
	global_load_dwordx2 v[3:4], v[3:4], off
	s_waitcnt vmcnt(0)
	ds_write_b64 v5, v[3:4] offset:1024
.LBB177_44:
	s_or_b64 exec, exec, s[8:9]
	v_or_b32_e32 v6, 0x100, v0
	v_mov_b32_e32 v3, s20
	v_cmp_le_u32_e32 vcc, s17, v6
	s_mov_b64 s[6:7], -1
	v_mov_b32_e32 v4, s21
	s_and_saveexec_b64 s[8:9], vcc
; %bb.45:
	v_subrev_u32_e32 v6, s17, v6
	v_cmp_gt_u32_e32 vcc, s31, v6
	v_mov_b32_e32 v3, s22
	v_mov_b32_e32 v4, s23
	s_orn2_b64 s[6:7], vcc, exec
; %bb.46:
	s_or_b64 exec, exec, s[8:9]
	s_and_saveexec_b64 s[8:9], s[6:7]
	s_cbranch_execz .LBB177_48
; %bb.47:
	v_lshlrev_b64 v[3:4], 3, v[3:4]
	v_mov_b32_e32 v17, s13
	v_add_co_u32_e32 v3, vcc, s12, v3
	v_addc_co_u32_e32 v4, vcc, v17, v4, vcc
	v_lshlrev_b32_e32 v6, 3, v6
	v_add_co_u32_e32 v3, vcc, v3, v6
	v_addc_co_u32_e32 v4, vcc, 0, v4, vcc
	global_load_dwordx2 v[3:4], v[3:4], off
	s_waitcnt vmcnt(0)
	ds_write_b64 v5, v[3:4] offset:2048
.LBB177_48:
	;; [unrolled: 29-line block ×6, first 2 shown]
	s_or_b64 exec, exec, s[8:9]
	v_or_b32_e32 v17, 0x380, v0
	v_mov_b32_e32 v3, s26
	v_cmp_le_u32_e32 vcc, s17, v17
	s_mov_b64 s[8:9], -1
	v_mov_b32_e32 v4, s27
	v_mov_b32_e32 v5, v17
	s_and_saveexec_b64 s[6:7], vcc
; %bb.65:
	v_subrev_u32_e32 v5, s17, v17
	v_cmp_gt_u32_e32 vcc, s31, v5
	v_mov_b32_e32 v3, s24
	v_mov_b32_e32 v4, s25
	s_orn2_b64 s[8:9], vcc, exec
; %bb.66:
	s_or_b64 exec, exec, s[6:7]
.LBB177_67:
	s_and_saveexec_b64 s[6:7], s[8:9]
	s_cbranch_execz .LBB177_69
; %bb.68:
	v_mov_b32_e32 v6, 0
	v_lshlrev_b64 v[5:6], 3, v[5:6]
	v_add_co_u32_e32 v3, vcc, v3, v5
	v_addc_co_u32_e32 v4, vcc, v4, v6, vcc
	global_load_dwordx2 v[3:4], v[3:4], off
	v_lshlrev_b32_e32 v5, 3, v17
	s_waitcnt vmcnt(0)
	ds_write_b64 v5, v[3:4]
.LBB177_69:
	s_or_b64 exec, exec, s[6:7]
	s_and_b64 vcc, exec, s[4:5]
	v_add_u32_e32 v3, s30, v8
	s_waitcnt lgkmcnt(0)
	s_barrier
	s_cbranch_vccnz .LBB177_71
; %bb.70:
	v_lshlrev_b32_e32 v17, 3, v10
	v_lshlrev_b32_e32 v19, 3, v9
	;; [unrolled: 1-line block ×7, first 2 shown]
	v_mov_b32_e32 v4, 0
	ds_read_b64 v[17:18], v17
	ds_read_b64 v[19:20], v19
	;; [unrolled: 1-line block ×7, first 2 shown]
	v_lshlrev_b64 v[5:6], 3, v[3:4]
	v_mov_b32_e32 v31, s15
	v_add_co_u32_e32 v5, vcc, s14, v5
	v_addc_co_u32_e32 v6, vcc, v31, v6, vcc
	s_mov_b64 s[4:5], -1
	s_waitcnt lgkmcnt(5)
	global_store_dwordx4 v[5:6], v[17:20], off
	s_waitcnt lgkmcnt(3)
	global_store_dwordx4 v[5:6], v[21:24], off offset:16
	s_waitcnt lgkmcnt(1)
	global_store_dwordx4 v[5:6], v[25:28], off offset:32
	s_waitcnt lgkmcnt(0)
	global_store_dwordx2 v[5:6], v[29:30], off offset:48
	s_cbranch_execz .LBB177_72
	s_branch .LBB177_89
.LBB177_71:
	s_mov_b64 s[4:5], 0
.LBB177_72:
	v_cmp_lt_u32_e32 vcc, v8, v7
	s_and_saveexec_b64 s[6:7], vcc
	s_cbranch_execz .LBB177_74
; %bb.73:
	v_lshlrev_b32_e32 v6, 3, v10
	v_mov_b32_e32 v4, 0
	ds_read_b64 v[17:18], v6
	v_lshlrev_b64 v[4:5], 3, v[3:4]
	v_mov_b32_e32 v10, s15
	v_add_co_u32_e32 v4, vcc, s14, v4
	v_addc_co_u32_e32 v5, vcc, v10, v5, vcc
	s_waitcnt lgkmcnt(0)
	global_store_dwordx2 v[4:5], v[17:18], off
.LBB177_74:
	s_or_b64 exec, exec, s[6:7]
	v_or_b32_e32 v4, 1, v8
	v_cmp_lt_u32_e32 vcc, v4, v7
	s_and_saveexec_b64 s[6:7], vcc
	s_cbranch_execz .LBB177_76
; %bb.75:
	v_lshlrev_b32_e32 v6, 3, v9
	v_mov_b32_e32 v4, 0
	ds_read_b64 v[9:10], v6
	v_lshlrev_b64 v[4:5], 3, v[3:4]
	v_mov_b32_e32 v17, s15
	v_add_co_u32_e32 v4, vcc, s14, v4
	v_addc_co_u32_e32 v5, vcc, v17, v5, vcc
	s_waitcnt lgkmcnt(0)
	global_store_dwordx2 v[4:5], v[9:10], off offset:8
.LBB177_76:
	s_or_b64 exec, exec, s[6:7]
	v_or_b32_e32 v4, 2, v8
	v_cmp_lt_u32_e32 vcc, v4, v7
	s_and_saveexec_b64 s[6:7], vcc
	s_cbranch_execz .LBB177_78
; %bb.77:
	v_lshlrev_b32_e32 v6, 3, v16
	v_mov_b32_e32 v4, 0
	ds_read_b64 v[9:10], v6
	v_lshlrev_b64 v[4:5], 3, v[3:4]
	v_mov_b32_e32 v16, s15
	v_add_co_u32_e32 v4, vcc, s14, v4
	v_addc_co_u32_e32 v5, vcc, v16, v5, vcc
	s_waitcnt lgkmcnt(0)
	global_store_dwordx2 v[4:5], v[9:10], off offset:16
.LBB177_78:
	;; [unrolled: 16-line block ×6, first 2 shown]
	s_or_b64 exec, exec, s[6:7]
	v_or_b32_e32 v4, 7, v8
	v_cmp_lt_u32_e32 vcc, v4, v7
	s_and_saveexec_b64 s[6:7], vcc
; %bb.87:
	v_mov_b32_e32 v4, 0
	s_or_b64 s[4:5], s[4:5], exec
; %bb.88:
	s_or_b64 exec, exec, s[6:7]
.LBB177_89:
	s_and_saveexec_b64 s[6:7], s[4:5]
	s_cbranch_execz .LBB177_91
; %bb.90:
	v_lshlrev_b32_e32 v5, 3, v11
	ds_read_b64 v[5:6], v5
	v_lshlrev_b64 v[3:4], 3, v[3:4]
	v_mov_b32_e32 v7, s15
	v_add_co_u32_e32 v3, vcc, s14, v3
	v_addc_co_u32_e32 v4, vcc, v7, v4, vcc
	s_waitcnt lgkmcnt(0)
	global_store_dwordx2 v[3:4], v[5:6], off offset:56
.LBB177_91:
	s_or_b64 exec, exec, s[6:7]
	v_lshrrev_b32_e32 v3, 2, v0
	s_add_u32 s4, s10, s30
	v_and_b32_e32 v3, 28, v3
	s_addc_u32 s5, s11, 0
	v_add_u32_e32 v3, v3, v8
	s_waitcnt vmcnt(0)
	s_barrier
	s_barrier
	ds_write2_b32 v3, v1, v2 offset1:1
	v_mov_b32_e32 v2, s5
	v_add_co_u32_e32 v1, vcc, s4, v0
	v_addc_co_u32_e32 v2, vcc, 0, v2, vcc
	s_and_b64 vcc, exec, s[18:19]
	v_add_u32_e32 v4, 4, v0
	v_add_u32_e32 v5, 8, v0
	;; [unrolled: 1-line block ×7, first 2 shown]
	s_waitcnt lgkmcnt(0)
	s_cbranch_vccz .LBB177_93
; %bb.92:
	s_barrier
	ds_read_u8 v11, v0
	ds_read_u8 v12, v4 offset:128
	ds_read_u8 v13, v5 offset:256
	;; [unrolled: 1-line block ×7, first 2 shown]
	s_waitcnt lgkmcnt(7)
	global_store_byte v[1:2], v11, off
	s_waitcnt lgkmcnt(6)
	global_store_byte v[1:2], v12, off offset:128
	s_waitcnt lgkmcnt(5)
	global_store_byte v[1:2], v13, off offset:256
	;; [unrolled: 2-line block ×6, first 2 shown]
	s_mov_b64 s[4:5], -1
	s_cbranch_execz .LBB177_94
	s_branch .LBB177_109
.LBB177_93:
	s_mov_b64 s[4:5], 0
                                        ; implicit-def: $vgpr3
.LBB177_94:
	s_waitcnt vmcnt(0) lgkmcnt(0)
	s_barrier
	ds_read_u8 v13, v4 offset:128
	ds_read_u8 v12, v5 offset:256
	;; [unrolled: 1-line block ×7, first 2 shown]
	s_sub_i32 s6, s16, s30
	v_or_b32_e32 v7, 0x80, v0
	v_cmp_gt_u32_e32 vcc, s6, v0
	s_and_saveexec_b64 s[4:5], vcc
	s_cbranch_execz .LBB177_96
; %bb.95:
	ds_read_u8 v8, v0
	s_waitcnt lgkmcnt(0)
	global_store_byte v[1:2], v8, off
.LBB177_96:
	s_or_b64 exec, exec, s[4:5]
	v_or_b32_e32 v8, 0x100, v0
	v_cmp_gt_u32_e32 vcc, s6, v7
	s_and_saveexec_b64 s[4:5], vcc
	s_cbranch_execz .LBB177_98
; %bb.97:
	s_waitcnt lgkmcnt(6)
	global_store_byte v[1:2], v13, off offset:128
.LBB177_98:
	s_or_b64 exec, exec, s[4:5]
	v_or_b32_e32 v7, 0x180, v0
	v_cmp_gt_u32_e32 vcc, s6, v8
	s_and_saveexec_b64 s[4:5], vcc
	s_cbranch_execz .LBB177_100
; %bb.99:
	s_waitcnt lgkmcnt(5)
	global_store_byte v[1:2], v12, off offset:256
.LBB177_100:
	;; [unrolled: 9-line block ×4, first 2 shown]
	s_or_b64 exec, exec, s[4:5]
	s_waitcnt lgkmcnt(3)
	v_or_b32_e32 v6, 0x300, v0
	v_cmp_gt_u32_e32 vcc, s6, v7
	s_and_saveexec_b64 s[4:5], vcc
	s_cbranch_execz .LBB177_106
; %bb.105:
	s_waitcnt lgkmcnt(2)
	global_store_byte v[1:2], v5, off offset:640
.LBB177_106:
	s_or_b64 exec, exec, s[4:5]
	v_or_b32_e32 v0, 0x380, v0
	v_cmp_gt_u32_e32 vcc, s6, v6
	s_and_saveexec_b64 s[4:5], vcc
	s_cbranch_execz .LBB177_108
; %bb.107:
	s_waitcnt lgkmcnt(1)
	global_store_byte v[1:2], v4, off offset:768
.LBB177_108:
	s_or_b64 exec, exec, s[4:5]
	v_cmp_gt_u32_e64 s[4:5], s6, v0
.LBB177_109:
	s_and_saveexec_b64 s[6:7], s[4:5]
	s_cbranch_execz .LBB177_111
; %bb.110:
	s_waitcnt lgkmcnt(0)
	global_store_byte v[1:2], v3, off offset:896
.LBB177_111:
	s_endpgm
	.section	.rodata,"a",@progbits
	.p2align	6, 0x0
	.amdhsa_kernel _ZN7rocprim17ROCPRIM_304000_NS6detail35device_block_merge_mergepath_kernelINS1_37wrapped_merge_sort_block_merge_configINS0_14default_configEbN2at4cuda3cub6detail10OpaqueTypeILi8EEEEEPbSC_PSA_SD_jNS1_19radix_merge_compareILb0ELb1EbNS0_19identity_decomposerEEEEEvT0_T1_T2_T3_T4_SL_jT5_PKSL_NS1_7vsmem_tE
		.amdhsa_group_segment_fixed_size 8208
		.amdhsa_private_segment_fixed_size 12
		.amdhsa_kernarg_size 320
		.amdhsa_user_sgpr_count 6
		.amdhsa_user_sgpr_private_segment_buffer 1
		.amdhsa_user_sgpr_dispatch_ptr 0
		.amdhsa_user_sgpr_queue_ptr 0
		.amdhsa_user_sgpr_kernarg_segment_ptr 1
		.amdhsa_user_sgpr_dispatch_id 0
		.amdhsa_user_sgpr_flat_scratch_init 0
		.amdhsa_user_sgpr_private_segment_size 0
		.amdhsa_uses_dynamic_stack 0
		.amdhsa_system_sgpr_private_segment_wavefront_offset 1
		.amdhsa_system_sgpr_workgroup_id_x 1
		.amdhsa_system_sgpr_workgroup_id_y 1
		.amdhsa_system_sgpr_workgroup_id_z 1
		.amdhsa_system_sgpr_workgroup_info 0
		.amdhsa_system_vgpr_workitem_id 0
		.amdhsa_next_free_vgpr 49
		.amdhsa_next_free_sgpr 98
		.amdhsa_reserve_vcc 1
		.amdhsa_reserve_flat_scratch 0
		.amdhsa_float_round_mode_32 0
		.amdhsa_float_round_mode_16_64 0
		.amdhsa_float_denorm_mode_32 3
		.amdhsa_float_denorm_mode_16_64 3
		.amdhsa_dx10_clamp 1
		.amdhsa_ieee_mode 1
		.amdhsa_fp16_overflow 0
		.amdhsa_exception_fp_ieee_invalid_op 0
		.amdhsa_exception_fp_denorm_src 0
		.amdhsa_exception_fp_ieee_div_zero 0
		.amdhsa_exception_fp_ieee_overflow 0
		.amdhsa_exception_fp_ieee_underflow 0
		.amdhsa_exception_fp_ieee_inexact 0
		.amdhsa_exception_int_div_zero 0
	.end_amdhsa_kernel
	.section	.text._ZN7rocprim17ROCPRIM_304000_NS6detail35device_block_merge_mergepath_kernelINS1_37wrapped_merge_sort_block_merge_configINS0_14default_configEbN2at4cuda3cub6detail10OpaqueTypeILi8EEEEEPbSC_PSA_SD_jNS1_19radix_merge_compareILb0ELb1EbNS0_19identity_decomposerEEEEEvT0_T1_T2_T3_T4_SL_jT5_PKSL_NS1_7vsmem_tE,"axG",@progbits,_ZN7rocprim17ROCPRIM_304000_NS6detail35device_block_merge_mergepath_kernelINS1_37wrapped_merge_sort_block_merge_configINS0_14default_configEbN2at4cuda3cub6detail10OpaqueTypeILi8EEEEEPbSC_PSA_SD_jNS1_19radix_merge_compareILb0ELb1EbNS0_19identity_decomposerEEEEEvT0_T1_T2_T3_T4_SL_jT5_PKSL_NS1_7vsmem_tE,comdat
.Lfunc_end177:
	.size	_ZN7rocprim17ROCPRIM_304000_NS6detail35device_block_merge_mergepath_kernelINS1_37wrapped_merge_sort_block_merge_configINS0_14default_configEbN2at4cuda3cub6detail10OpaqueTypeILi8EEEEEPbSC_PSA_SD_jNS1_19radix_merge_compareILb0ELb1EbNS0_19identity_decomposerEEEEEvT0_T1_T2_T3_T4_SL_jT5_PKSL_NS1_7vsmem_tE, .Lfunc_end177-_ZN7rocprim17ROCPRIM_304000_NS6detail35device_block_merge_mergepath_kernelINS1_37wrapped_merge_sort_block_merge_configINS0_14default_configEbN2at4cuda3cub6detail10OpaqueTypeILi8EEEEEPbSC_PSA_SD_jNS1_19radix_merge_compareILb0ELb1EbNS0_19identity_decomposerEEEEEvT0_T1_T2_T3_T4_SL_jT5_PKSL_NS1_7vsmem_tE
                                        ; -- End function
	.set _ZN7rocprim17ROCPRIM_304000_NS6detail35device_block_merge_mergepath_kernelINS1_37wrapped_merge_sort_block_merge_configINS0_14default_configEbN2at4cuda3cub6detail10OpaqueTypeILi8EEEEEPbSC_PSA_SD_jNS1_19radix_merge_compareILb0ELb1EbNS0_19identity_decomposerEEEEEvT0_T1_T2_T3_T4_SL_jT5_PKSL_NS1_7vsmem_tE.num_vgpr, 32
	.set _ZN7rocprim17ROCPRIM_304000_NS6detail35device_block_merge_mergepath_kernelINS1_37wrapped_merge_sort_block_merge_configINS0_14default_configEbN2at4cuda3cub6detail10OpaqueTypeILi8EEEEEPbSC_PSA_SD_jNS1_19radix_merge_compareILb0ELb1EbNS0_19identity_decomposerEEEEEvT0_T1_T2_T3_T4_SL_jT5_PKSL_NS1_7vsmem_tE.num_agpr, 0
	.set _ZN7rocprim17ROCPRIM_304000_NS6detail35device_block_merge_mergepath_kernelINS1_37wrapped_merge_sort_block_merge_configINS0_14default_configEbN2at4cuda3cub6detail10OpaqueTypeILi8EEEEEPbSC_PSA_SD_jNS1_19radix_merge_compareILb0ELb1EbNS0_19identity_decomposerEEEEEvT0_T1_T2_T3_T4_SL_jT5_PKSL_NS1_7vsmem_tE.numbered_sgpr, 34
	.set _ZN7rocprim17ROCPRIM_304000_NS6detail35device_block_merge_mergepath_kernelINS1_37wrapped_merge_sort_block_merge_configINS0_14default_configEbN2at4cuda3cub6detail10OpaqueTypeILi8EEEEEPbSC_PSA_SD_jNS1_19radix_merge_compareILb0ELb1EbNS0_19identity_decomposerEEEEEvT0_T1_T2_T3_T4_SL_jT5_PKSL_NS1_7vsmem_tE.num_named_barrier, 0
	.set _ZN7rocprim17ROCPRIM_304000_NS6detail35device_block_merge_mergepath_kernelINS1_37wrapped_merge_sort_block_merge_configINS0_14default_configEbN2at4cuda3cub6detail10OpaqueTypeILi8EEEEEPbSC_PSA_SD_jNS1_19radix_merge_compareILb0ELb1EbNS0_19identity_decomposerEEEEEvT0_T1_T2_T3_T4_SL_jT5_PKSL_NS1_7vsmem_tE.private_seg_size, 12
	.set _ZN7rocprim17ROCPRIM_304000_NS6detail35device_block_merge_mergepath_kernelINS1_37wrapped_merge_sort_block_merge_configINS0_14default_configEbN2at4cuda3cub6detail10OpaqueTypeILi8EEEEEPbSC_PSA_SD_jNS1_19radix_merge_compareILb0ELb1EbNS0_19identity_decomposerEEEEEvT0_T1_T2_T3_T4_SL_jT5_PKSL_NS1_7vsmem_tE.uses_vcc, 1
	.set _ZN7rocprim17ROCPRIM_304000_NS6detail35device_block_merge_mergepath_kernelINS1_37wrapped_merge_sort_block_merge_configINS0_14default_configEbN2at4cuda3cub6detail10OpaqueTypeILi8EEEEEPbSC_PSA_SD_jNS1_19radix_merge_compareILb0ELb1EbNS0_19identity_decomposerEEEEEvT0_T1_T2_T3_T4_SL_jT5_PKSL_NS1_7vsmem_tE.uses_flat_scratch, 0
	.set _ZN7rocprim17ROCPRIM_304000_NS6detail35device_block_merge_mergepath_kernelINS1_37wrapped_merge_sort_block_merge_configINS0_14default_configEbN2at4cuda3cub6detail10OpaqueTypeILi8EEEEEPbSC_PSA_SD_jNS1_19radix_merge_compareILb0ELb1EbNS0_19identity_decomposerEEEEEvT0_T1_T2_T3_T4_SL_jT5_PKSL_NS1_7vsmem_tE.has_dyn_sized_stack, 0
	.set _ZN7rocprim17ROCPRIM_304000_NS6detail35device_block_merge_mergepath_kernelINS1_37wrapped_merge_sort_block_merge_configINS0_14default_configEbN2at4cuda3cub6detail10OpaqueTypeILi8EEEEEPbSC_PSA_SD_jNS1_19radix_merge_compareILb0ELb1EbNS0_19identity_decomposerEEEEEvT0_T1_T2_T3_T4_SL_jT5_PKSL_NS1_7vsmem_tE.has_recursion, 0
	.set _ZN7rocprim17ROCPRIM_304000_NS6detail35device_block_merge_mergepath_kernelINS1_37wrapped_merge_sort_block_merge_configINS0_14default_configEbN2at4cuda3cub6detail10OpaqueTypeILi8EEEEEPbSC_PSA_SD_jNS1_19radix_merge_compareILb0ELb1EbNS0_19identity_decomposerEEEEEvT0_T1_T2_T3_T4_SL_jT5_PKSL_NS1_7vsmem_tE.has_indirect_call, 0
	.section	.AMDGPU.csdata,"",@progbits
; Kernel info:
; codeLenInByte = 5576
; TotalNumSgprs: 38
; NumVgprs: 32
; ScratchSize: 12
; MemoryBound: 0
; FloatMode: 240
; IeeeMode: 1
; LDSByteSize: 8208 bytes/workgroup (compile time only)
; SGPRBlocks: 12
; VGPRBlocks: 12
; NumSGPRsForWavesPerEU: 102
; NumVGPRsForWavesPerEU: 49
; Occupancy: 4
; WaveLimiterHint : 1
; COMPUTE_PGM_RSRC2:SCRATCH_EN: 1
; COMPUTE_PGM_RSRC2:USER_SGPR: 6
; COMPUTE_PGM_RSRC2:TRAP_HANDLER: 0
; COMPUTE_PGM_RSRC2:TGID_X_EN: 1
; COMPUTE_PGM_RSRC2:TGID_Y_EN: 1
; COMPUTE_PGM_RSRC2:TGID_Z_EN: 1
; COMPUTE_PGM_RSRC2:TIDIG_COMP_CNT: 0
	.section	.text._ZN7rocprim17ROCPRIM_304000_NS6detail33device_block_merge_oddeven_kernelINS1_37wrapped_merge_sort_block_merge_configINS0_14default_configEbN2at4cuda3cub6detail10OpaqueTypeILi8EEEEEPbSC_PSA_SD_jNS1_19radix_merge_compareILb0ELb1EbNS0_19identity_decomposerEEEEEvT0_T1_T2_T3_T4_SL_T5_,"axG",@progbits,_ZN7rocprim17ROCPRIM_304000_NS6detail33device_block_merge_oddeven_kernelINS1_37wrapped_merge_sort_block_merge_configINS0_14default_configEbN2at4cuda3cub6detail10OpaqueTypeILi8EEEEEPbSC_PSA_SD_jNS1_19radix_merge_compareILb0ELb1EbNS0_19identity_decomposerEEEEEvT0_T1_T2_T3_T4_SL_T5_,comdat
	.protected	_ZN7rocprim17ROCPRIM_304000_NS6detail33device_block_merge_oddeven_kernelINS1_37wrapped_merge_sort_block_merge_configINS0_14default_configEbN2at4cuda3cub6detail10OpaqueTypeILi8EEEEEPbSC_PSA_SD_jNS1_19radix_merge_compareILb0ELb1EbNS0_19identity_decomposerEEEEEvT0_T1_T2_T3_T4_SL_T5_ ; -- Begin function _ZN7rocprim17ROCPRIM_304000_NS6detail33device_block_merge_oddeven_kernelINS1_37wrapped_merge_sort_block_merge_configINS0_14default_configEbN2at4cuda3cub6detail10OpaqueTypeILi8EEEEEPbSC_PSA_SD_jNS1_19radix_merge_compareILb0ELb1EbNS0_19identity_decomposerEEEEEvT0_T1_T2_T3_T4_SL_T5_
	.globl	_ZN7rocprim17ROCPRIM_304000_NS6detail33device_block_merge_oddeven_kernelINS1_37wrapped_merge_sort_block_merge_configINS0_14default_configEbN2at4cuda3cub6detail10OpaqueTypeILi8EEEEEPbSC_PSA_SD_jNS1_19radix_merge_compareILb0ELb1EbNS0_19identity_decomposerEEEEEvT0_T1_T2_T3_T4_SL_T5_
	.p2align	8
	.type	_ZN7rocprim17ROCPRIM_304000_NS6detail33device_block_merge_oddeven_kernelINS1_37wrapped_merge_sort_block_merge_configINS0_14default_configEbN2at4cuda3cub6detail10OpaqueTypeILi8EEEEEPbSC_PSA_SD_jNS1_19radix_merge_compareILb0ELb1EbNS0_19identity_decomposerEEEEEvT0_T1_T2_T3_T4_SL_T5_,@function
_ZN7rocprim17ROCPRIM_304000_NS6detail33device_block_merge_oddeven_kernelINS1_37wrapped_merge_sort_block_merge_configINS0_14default_configEbN2at4cuda3cub6detail10OpaqueTypeILi8EEEEEPbSC_PSA_SD_jNS1_19radix_merge_compareILb0ELb1EbNS0_19identity_decomposerEEEEEvT0_T1_T2_T3_T4_SL_T5_: ; @_ZN7rocprim17ROCPRIM_304000_NS6detail33device_block_merge_oddeven_kernelINS1_37wrapped_merge_sort_block_merge_configINS0_14default_configEbN2at4cuda3cub6detail10OpaqueTypeILi8EEEEEPbSC_PSA_SD_jNS1_19radix_merge_compareILb0ELb1EbNS0_19identity_decomposerEEEEEvT0_T1_T2_T3_T4_SL_T5_
; %bb.0:
	s_load_dwordx2 s[0:1], s[4:5], 0x4
	s_load_dwordx4 s[20:23], s[6:7], 0x20
	s_waitcnt lgkmcnt(0)
	s_lshr_b32 s0, s0, 16
	s_mul_i32 s0, s0, s1
	v_mul_lo_u32 v3, s0, v0
	v_mul_u32_u24_e32 v1, s1, v1
	s_and_b32 s0, s22, 1
	v_add3_u32 v6, v3, v1, v2
	v_mov_b32_e32 v1, s0
	ds_write_b8 v6, v1
	s_lshr_b32 s0, s20, 8
	ds_read_u8 v1, v6
	s_cmp_eq_u32 s8, s0
	s_cselect_b64 s[4:5], -1, 0
	s_cmp_lg_u32 s8, s0
	s_cselect_b64 s[0:1], -1, 0
	s_lshl_b32 s10, s8, 8
	s_sub_i32 s2, s20, s10
	v_cmp_gt_u32_e64 s[2:3], s2, v0
	s_waitcnt lgkmcnt(0)
	v_and_b32_e32 v1, 1, v1
	s_or_b64 s[0:1], s[0:1], s[2:3]
	ds_write_b8 v6, v1 offset:256
	s_and_saveexec_b64 s[12:13], s[0:1]
	s_cbranch_execz .LBB178_24
; %bb.1:
	s_load_dwordx8 s[12:19], s[6:7], 0x0
	s_mov_b32 s11, 0
	v_lshlrev_b32_e32 v3, 3, v0
	s_waitcnt lgkmcnt(0)
	s_add_u32 s0, s12, s10
	s_addc_u32 s1, s13, 0
	s_lshl_b64 s[6:7], s[10:11], 3
	s_add_u32 s6, s16, s6
	s_addc_u32 s7, s17, s7
	global_load_dwordx2 v[1:2], v3, s[6:7]
	global_load_ubyte v5, v0, s[0:1]
	s_lshr_b32 s0, s21, 8
	s_sub_i32 s1, 0, s0
	s_and_b32 s1, s8, s1
	s_and_b32 s0, s1, s0
	s_lshl_b32 s11, s1, 8
	s_sub_i32 s8, 0, s21
	s_cmp_eq_u32 s0, 0
	s_cselect_b64 s[0:1], -1, 0
	s_and_b64 s[6:7], s[0:1], exec
	s_cselect_b32 s8, s21, s8
	s_add_i32 s8, s8, s11
	s_mov_b64 s[6:7], -1
	s_cmp_gt_u32 s20, s8
	v_add_u32_e32 v3, s10, v0
	s_cbranch_scc1 .LBB178_9
; %bb.2:
	s_and_b64 vcc, exec, s[4:5]
	s_cbranch_vccz .LBB178_6
; %bb.3:
	v_cmp_gt_u32_e32 vcc, s20, v3
	s_and_saveexec_b64 s[6:7], vcc
	s_cbranch_execz .LBB178_5
; %bb.4:
	v_mov_b32_e32 v4, 0
	v_lshlrev_b64 v[7:8], 3, v[3:4]
	v_mov_b32_e32 v0, s19
	v_add_co_u32_e32 v7, vcc, s18, v7
	v_addc_co_u32_e32 v8, vcc, v0, v8, vcc
	s_waitcnt vmcnt(0)
	global_store_byte v3, v5, s[14:15]
	global_store_dwordx2 v[7:8], v[1:2], off
.LBB178_5:
	s_or_b64 exec, exec, s[6:7]
	s_mov_b64 s[6:7], 0
.LBB178_6:
	s_andn2_b64 vcc, exec, s[6:7]
	s_cbranch_vccnz .LBB178_8
; %bb.7:
	v_mov_b32_e32 v4, 0
	v_lshlrev_b64 v[7:8], 3, v[3:4]
	v_mov_b32_e32 v0, s19
	v_add_co_u32_e32 v7, vcc, s18, v7
	v_addc_co_u32_e32 v8, vcc, v0, v8, vcc
	s_waitcnt vmcnt(0)
	global_store_byte v3, v5, s[14:15]
	global_store_dwordx2 v[7:8], v[1:2], off
.LBB178_8:
	s_mov_b64 s[6:7], 0
.LBB178_9:
	s_andn2_b64 vcc, exec, s[6:7]
	s_cbranch_vccnz .LBB178_24
; %bb.10:
	ds_read_u8 v4, v6 offset:256
	s_min_u32 s9, s8, s20
	s_add_i32 s6, s9, s21
	s_min_u32 s10, s6, s20
	s_min_u32 s6, s11, s9
	s_add_i32 s11, s11, s9
	v_subrev_u32_e32 v0, s11, v3
	v_add_u32_e32 v0, s6, v0
	s_waitcnt vmcnt(0) lgkmcnt(0)
	v_and_b32_e32 v3, v4, v5
	s_mov_b64 s[6:7], -1
	s_and_b64 vcc, exec, s[4:5]
	s_cbranch_vccz .LBB178_18
; %bb.11:
	s_and_saveexec_b64 s[4:5], s[2:3]
	s_cbranch_execz .LBB178_17
; %bb.12:
	s_cmp_ge_u32 s8, s10
	v_mov_b32_e32 v6, s9
	s_cbranch_scc1 .LBB178_16
; %bb.13:
	s_mov_b64 s[2:3], 0
	v_mov_b32_e32 v7, s10
	v_mov_b32_e32 v6, s9
.LBB178_14:                             ; =>This Inner Loop Header: Depth=1
	v_add_u32_e32 v8, v6, v7
	v_lshrrev_b32_e32 v8, 1, v8
	global_load_ubyte v9, v8, s[12:13]
	v_add_u32_e32 v10, 1, v8
	s_waitcnt vmcnt(0)
	v_and_b32_e32 v9, v4, v9
	v_cmp_gt_u16_sdwa s[6:7], v3, v9 src0_sel:BYTE_0 src1_sel:DWORD
	v_cndmask_b32_e64 v11, 0, 1, s[6:7]
	v_cmp_le_u16_sdwa s[6:7], v9, v3 src0_sel:DWORD src1_sel:BYTE_0
	v_cndmask_b32_e64 v9, 0, 1, s[6:7]
	v_cndmask_b32_e64 v9, v9, v11, s[0:1]
	v_and_b32_e32 v9, 1, v9
	v_cmp_eq_u32_e32 vcc, 1, v9
	v_cndmask_b32_e32 v7, v8, v7, vcc
	v_cndmask_b32_e32 v6, v6, v10, vcc
	v_cmp_ge_u32_e32 vcc, v6, v7
	s_or_b64 s[2:3], vcc, s[2:3]
	s_andn2_b64 exec, exec, s[2:3]
	s_cbranch_execnz .LBB178_14
; %bb.15:
	s_or_b64 exec, exec, s[2:3]
.LBB178_16:
	v_add_u32_e32 v6, v6, v0
	v_mov_b32_e32 v7, 0
	global_store_byte v6, v5, s[14:15]
	v_lshlrev_b64 v[6:7], 3, v[6:7]
	v_mov_b32_e32 v8, s19
	v_add_co_u32_e32 v6, vcc, s18, v6
	v_addc_co_u32_e32 v7, vcc, v8, v7, vcc
	global_store_dwordx2 v[6:7], v[1:2], off
.LBB178_17:
	s_or_b64 exec, exec, s[4:5]
	s_mov_b64 s[6:7], 0
.LBB178_18:
	s_andn2_b64 vcc, exec, s[6:7]
	s_cbranch_vccnz .LBB178_24
; %bb.19:
	s_cmp_ge_u32 s8, s10
	v_mov_b32_e32 v6, s9
	s_cbranch_scc1 .LBB178_23
; %bb.20:
	s_mov_b64 s[2:3], 0
	v_mov_b32_e32 v7, s10
	v_mov_b32_e32 v6, s9
.LBB178_21:                             ; =>This Inner Loop Header: Depth=1
	v_add_u32_e32 v8, v6, v7
	v_lshrrev_b32_e32 v8, 1, v8
	global_load_ubyte v9, v8, s[12:13]
	v_add_u32_e32 v10, 1, v8
	s_waitcnt vmcnt(0)
	v_and_b32_e32 v9, v4, v9
	v_cmp_gt_u16_sdwa s[4:5], v3, v9 src0_sel:BYTE_0 src1_sel:DWORD
	v_cndmask_b32_e64 v11, 0, 1, s[4:5]
	v_cmp_le_u16_sdwa s[4:5], v9, v3 src0_sel:DWORD src1_sel:BYTE_0
	v_cndmask_b32_e64 v9, 0, 1, s[4:5]
	v_cndmask_b32_e64 v9, v9, v11, s[0:1]
	v_and_b32_e32 v9, 1, v9
	v_cmp_eq_u32_e32 vcc, 1, v9
	v_cndmask_b32_e32 v7, v8, v7, vcc
	v_cndmask_b32_e32 v6, v6, v10, vcc
	v_cmp_ge_u32_e32 vcc, v6, v7
	s_or_b64 s[2:3], vcc, s[2:3]
	s_andn2_b64 exec, exec, s[2:3]
	s_cbranch_execnz .LBB178_21
; %bb.22:
	s_or_b64 exec, exec, s[2:3]
.LBB178_23:
	v_add_u32_e32 v3, v6, v0
	v_mov_b32_e32 v4, 0
	global_store_byte v3, v5, s[14:15]
	v_lshlrev_b64 v[3:4], 3, v[3:4]
	v_mov_b32_e32 v0, s19
	v_add_co_u32_e32 v3, vcc, s18, v3
	v_addc_co_u32_e32 v4, vcc, v0, v4, vcc
	global_store_dwordx2 v[3:4], v[1:2], off
.LBB178_24:
	s_endpgm
	.section	.rodata,"a",@progbits
	.p2align	6, 0x0
	.amdhsa_kernel _ZN7rocprim17ROCPRIM_304000_NS6detail33device_block_merge_oddeven_kernelINS1_37wrapped_merge_sort_block_merge_configINS0_14default_configEbN2at4cuda3cub6detail10OpaqueTypeILi8EEEEEPbSC_PSA_SD_jNS1_19radix_merge_compareILb0ELb1EbNS0_19identity_decomposerEEEEEvT0_T1_T2_T3_T4_SL_T5_
		.amdhsa_group_segment_fixed_size 512
		.amdhsa_private_segment_fixed_size 0
		.amdhsa_kernarg_size 44
		.amdhsa_user_sgpr_count 8
		.amdhsa_user_sgpr_private_segment_buffer 1
		.amdhsa_user_sgpr_dispatch_ptr 1
		.amdhsa_user_sgpr_queue_ptr 0
		.amdhsa_user_sgpr_kernarg_segment_ptr 1
		.amdhsa_user_sgpr_dispatch_id 0
		.amdhsa_user_sgpr_flat_scratch_init 0
		.amdhsa_user_sgpr_private_segment_size 0
		.amdhsa_uses_dynamic_stack 0
		.amdhsa_system_sgpr_private_segment_wavefront_offset 0
		.amdhsa_system_sgpr_workgroup_id_x 1
		.amdhsa_system_sgpr_workgroup_id_y 0
		.amdhsa_system_sgpr_workgroup_id_z 0
		.amdhsa_system_sgpr_workgroup_info 0
		.amdhsa_system_vgpr_workitem_id 2
		.amdhsa_next_free_vgpr 12
		.amdhsa_next_free_sgpr 24
		.amdhsa_reserve_vcc 1
		.amdhsa_reserve_flat_scratch 0
		.amdhsa_float_round_mode_32 0
		.amdhsa_float_round_mode_16_64 0
		.amdhsa_float_denorm_mode_32 3
		.amdhsa_float_denorm_mode_16_64 3
		.amdhsa_dx10_clamp 1
		.amdhsa_ieee_mode 1
		.amdhsa_fp16_overflow 0
		.amdhsa_exception_fp_ieee_invalid_op 0
		.amdhsa_exception_fp_denorm_src 0
		.amdhsa_exception_fp_ieee_div_zero 0
		.amdhsa_exception_fp_ieee_overflow 0
		.amdhsa_exception_fp_ieee_underflow 0
		.amdhsa_exception_fp_ieee_inexact 0
		.amdhsa_exception_int_div_zero 0
	.end_amdhsa_kernel
	.section	.text._ZN7rocprim17ROCPRIM_304000_NS6detail33device_block_merge_oddeven_kernelINS1_37wrapped_merge_sort_block_merge_configINS0_14default_configEbN2at4cuda3cub6detail10OpaqueTypeILi8EEEEEPbSC_PSA_SD_jNS1_19radix_merge_compareILb0ELb1EbNS0_19identity_decomposerEEEEEvT0_T1_T2_T3_T4_SL_T5_,"axG",@progbits,_ZN7rocprim17ROCPRIM_304000_NS6detail33device_block_merge_oddeven_kernelINS1_37wrapped_merge_sort_block_merge_configINS0_14default_configEbN2at4cuda3cub6detail10OpaqueTypeILi8EEEEEPbSC_PSA_SD_jNS1_19radix_merge_compareILb0ELb1EbNS0_19identity_decomposerEEEEEvT0_T1_T2_T3_T4_SL_T5_,comdat
.Lfunc_end178:
	.size	_ZN7rocprim17ROCPRIM_304000_NS6detail33device_block_merge_oddeven_kernelINS1_37wrapped_merge_sort_block_merge_configINS0_14default_configEbN2at4cuda3cub6detail10OpaqueTypeILi8EEEEEPbSC_PSA_SD_jNS1_19radix_merge_compareILb0ELb1EbNS0_19identity_decomposerEEEEEvT0_T1_T2_T3_T4_SL_T5_, .Lfunc_end178-_ZN7rocprim17ROCPRIM_304000_NS6detail33device_block_merge_oddeven_kernelINS1_37wrapped_merge_sort_block_merge_configINS0_14default_configEbN2at4cuda3cub6detail10OpaqueTypeILi8EEEEEPbSC_PSA_SD_jNS1_19radix_merge_compareILb0ELb1EbNS0_19identity_decomposerEEEEEvT0_T1_T2_T3_T4_SL_T5_
                                        ; -- End function
	.set _ZN7rocprim17ROCPRIM_304000_NS6detail33device_block_merge_oddeven_kernelINS1_37wrapped_merge_sort_block_merge_configINS0_14default_configEbN2at4cuda3cub6detail10OpaqueTypeILi8EEEEEPbSC_PSA_SD_jNS1_19radix_merge_compareILb0ELb1EbNS0_19identity_decomposerEEEEEvT0_T1_T2_T3_T4_SL_T5_.num_vgpr, 12
	.set _ZN7rocprim17ROCPRIM_304000_NS6detail33device_block_merge_oddeven_kernelINS1_37wrapped_merge_sort_block_merge_configINS0_14default_configEbN2at4cuda3cub6detail10OpaqueTypeILi8EEEEEPbSC_PSA_SD_jNS1_19radix_merge_compareILb0ELb1EbNS0_19identity_decomposerEEEEEvT0_T1_T2_T3_T4_SL_T5_.num_agpr, 0
	.set _ZN7rocprim17ROCPRIM_304000_NS6detail33device_block_merge_oddeven_kernelINS1_37wrapped_merge_sort_block_merge_configINS0_14default_configEbN2at4cuda3cub6detail10OpaqueTypeILi8EEEEEPbSC_PSA_SD_jNS1_19radix_merge_compareILb0ELb1EbNS0_19identity_decomposerEEEEEvT0_T1_T2_T3_T4_SL_T5_.numbered_sgpr, 24
	.set _ZN7rocprim17ROCPRIM_304000_NS6detail33device_block_merge_oddeven_kernelINS1_37wrapped_merge_sort_block_merge_configINS0_14default_configEbN2at4cuda3cub6detail10OpaqueTypeILi8EEEEEPbSC_PSA_SD_jNS1_19radix_merge_compareILb0ELb1EbNS0_19identity_decomposerEEEEEvT0_T1_T2_T3_T4_SL_T5_.num_named_barrier, 0
	.set _ZN7rocprim17ROCPRIM_304000_NS6detail33device_block_merge_oddeven_kernelINS1_37wrapped_merge_sort_block_merge_configINS0_14default_configEbN2at4cuda3cub6detail10OpaqueTypeILi8EEEEEPbSC_PSA_SD_jNS1_19radix_merge_compareILb0ELb1EbNS0_19identity_decomposerEEEEEvT0_T1_T2_T3_T4_SL_T5_.private_seg_size, 0
	.set _ZN7rocprim17ROCPRIM_304000_NS6detail33device_block_merge_oddeven_kernelINS1_37wrapped_merge_sort_block_merge_configINS0_14default_configEbN2at4cuda3cub6detail10OpaqueTypeILi8EEEEEPbSC_PSA_SD_jNS1_19radix_merge_compareILb0ELb1EbNS0_19identity_decomposerEEEEEvT0_T1_T2_T3_T4_SL_T5_.uses_vcc, 1
	.set _ZN7rocprim17ROCPRIM_304000_NS6detail33device_block_merge_oddeven_kernelINS1_37wrapped_merge_sort_block_merge_configINS0_14default_configEbN2at4cuda3cub6detail10OpaqueTypeILi8EEEEEPbSC_PSA_SD_jNS1_19radix_merge_compareILb0ELb1EbNS0_19identity_decomposerEEEEEvT0_T1_T2_T3_T4_SL_T5_.uses_flat_scratch, 0
	.set _ZN7rocprim17ROCPRIM_304000_NS6detail33device_block_merge_oddeven_kernelINS1_37wrapped_merge_sort_block_merge_configINS0_14default_configEbN2at4cuda3cub6detail10OpaqueTypeILi8EEEEEPbSC_PSA_SD_jNS1_19radix_merge_compareILb0ELb1EbNS0_19identity_decomposerEEEEEvT0_T1_T2_T3_T4_SL_T5_.has_dyn_sized_stack, 0
	.set _ZN7rocprim17ROCPRIM_304000_NS6detail33device_block_merge_oddeven_kernelINS1_37wrapped_merge_sort_block_merge_configINS0_14default_configEbN2at4cuda3cub6detail10OpaqueTypeILi8EEEEEPbSC_PSA_SD_jNS1_19radix_merge_compareILb0ELb1EbNS0_19identity_decomposerEEEEEvT0_T1_T2_T3_T4_SL_T5_.has_recursion, 0
	.set _ZN7rocprim17ROCPRIM_304000_NS6detail33device_block_merge_oddeven_kernelINS1_37wrapped_merge_sort_block_merge_configINS0_14default_configEbN2at4cuda3cub6detail10OpaqueTypeILi8EEEEEPbSC_PSA_SD_jNS1_19radix_merge_compareILb0ELb1EbNS0_19identity_decomposerEEEEEvT0_T1_T2_T3_T4_SL_T5_.has_indirect_call, 0
	.section	.AMDGPU.csdata,"",@progbits
; Kernel info:
; codeLenInByte = 816
; TotalNumSgprs: 28
; NumVgprs: 12
; ScratchSize: 0
; MemoryBound: 0
; FloatMode: 240
; IeeeMode: 1
; LDSByteSize: 512 bytes/workgroup (compile time only)
; SGPRBlocks: 3
; VGPRBlocks: 2
; NumSGPRsForWavesPerEU: 28
; NumVGPRsForWavesPerEU: 12
; Occupancy: 10
; WaveLimiterHint : 0
; COMPUTE_PGM_RSRC2:SCRATCH_EN: 0
; COMPUTE_PGM_RSRC2:USER_SGPR: 8
; COMPUTE_PGM_RSRC2:TRAP_HANDLER: 0
; COMPUTE_PGM_RSRC2:TGID_X_EN: 1
; COMPUTE_PGM_RSRC2:TGID_Y_EN: 0
; COMPUTE_PGM_RSRC2:TGID_Z_EN: 0
; COMPUTE_PGM_RSRC2:TIDIG_COMP_CNT: 2
	.section	.text._ZN7rocprim17ROCPRIM_304000_NS6detail26onesweep_histograms_kernelINS1_34wrapped_radix_sort_onesweep_configINS0_14default_configEbN2at4cuda3cub6detail10OpaqueTypeILi8EEEEELb0EPKbmNS0_19identity_decomposerEEEvT1_PT2_SG_SG_T3_jj,"axG",@progbits,_ZN7rocprim17ROCPRIM_304000_NS6detail26onesweep_histograms_kernelINS1_34wrapped_radix_sort_onesweep_configINS0_14default_configEbN2at4cuda3cub6detail10OpaqueTypeILi8EEEEELb0EPKbmNS0_19identity_decomposerEEEvT1_PT2_SG_SG_T3_jj,comdat
	.protected	_ZN7rocprim17ROCPRIM_304000_NS6detail26onesweep_histograms_kernelINS1_34wrapped_radix_sort_onesweep_configINS0_14default_configEbN2at4cuda3cub6detail10OpaqueTypeILi8EEEEELb0EPKbmNS0_19identity_decomposerEEEvT1_PT2_SG_SG_T3_jj ; -- Begin function _ZN7rocprim17ROCPRIM_304000_NS6detail26onesweep_histograms_kernelINS1_34wrapped_radix_sort_onesweep_configINS0_14default_configEbN2at4cuda3cub6detail10OpaqueTypeILi8EEEEELb0EPKbmNS0_19identity_decomposerEEEvT1_PT2_SG_SG_T3_jj
	.globl	_ZN7rocprim17ROCPRIM_304000_NS6detail26onesweep_histograms_kernelINS1_34wrapped_radix_sort_onesweep_configINS0_14default_configEbN2at4cuda3cub6detail10OpaqueTypeILi8EEEEELb0EPKbmNS0_19identity_decomposerEEEvT1_PT2_SG_SG_T3_jj
	.p2align	8
	.type	_ZN7rocprim17ROCPRIM_304000_NS6detail26onesweep_histograms_kernelINS1_34wrapped_radix_sort_onesweep_configINS0_14default_configEbN2at4cuda3cub6detail10OpaqueTypeILi8EEEEELb0EPKbmNS0_19identity_decomposerEEEvT1_PT2_SG_SG_T3_jj,@function
_ZN7rocprim17ROCPRIM_304000_NS6detail26onesweep_histograms_kernelINS1_34wrapped_radix_sort_onesweep_configINS0_14default_configEbN2at4cuda3cub6detail10OpaqueTypeILi8EEEEELb0EPKbmNS0_19identity_decomposerEEEvT1_PT2_SG_SG_T3_jj: ; @_ZN7rocprim17ROCPRIM_304000_NS6detail26onesweep_histograms_kernelINS1_34wrapped_radix_sort_onesweep_configINS0_14default_configEbN2at4cuda3cub6detail10OpaqueTypeILi8EEEEELb0EPKbmNS0_19identity_decomposerEEEvT1_PT2_SG_SG_T3_jj
; %bb.0:
	s_load_dwordx8 s[12:19], s[4:5], 0x0
	s_load_dwordx2 s[20:21], s[4:5], 0x24
	v_mov_b32_e32 v1, s6
	v_mov_b32_e32 v2, 0
	s_mul_hi_u32 s0, s6, 0xc00
	s_mulk_i32 s6, 0xc00
	s_waitcnt lgkmcnt(0)
	v_cmp_le_u64_e32 vcc, s[18:19], v[1:2]
	s_add_u32 s12, s12, s6
	s_addc_u32 s13, s13, s0
	s_mov_b64 s[0:1], -1
	s_cbranch_vccz .LBB179_46
; %bb.1:
	s_mul_i32 s0, s18, 0xfffff400
	s_add_i32 s16, s0, s16
	v_mov_b32_e32 v1, s13
	v_add_co_u32_e32 v3, vcc, s12, v0
	v_addc_co_u32_e32 v4, vcc, 0, v1, vcc
	v_cmp_gt_u32_e64 s[10:11], s16, v0
	v_mov_b32_e32 v8, 0
	s_and_saveexec_b64 s[0:1], s[10:11]
	s_cbranch_execz .LBB179_3
; %bb.2:
	global_load_ubyte v8, v[3:4], off
.LBB179_3:
	s_or_b64 exec, exec, s[0:1]
	v_or_b32_e32 v1, 0x200, v0
	v_cmp_gt_u32_e64 s[8:9], s16, v1
	s_and_saveexec_b64 s[0:1], s[8:9]
	s_cbranch_execz .LBB179_5
; %bb.4:
	global_load_ubyte v2, v[3:4], off offset:512
.LBB179_5:
	s_or_b64 exec, exec, s[0:1]
	v_or_b32_e32 v1, 0x400, v0
	v_cmp_gt_u32_e64 s[6:7], s16, v1
	v_mov_b32_e32 v6, 0
	v_mov_b32_e32 v7, 0
	s_and_saveexec_b64 s[0:1], s[6:7]
	s_cbranch_execz .LBB179_7
; %bb.6:
	global_load_ubyte v7, v[3:4], off offset:1024
.LBB179_7:
	s_or_b64 exec, exec, s[0:1]
	v_or_b32_e32 v1, 0x600, v0
	v_cmp_gt_u32_e64 s[4:5], s16, v1
	s_and_saveexec_b64 s[0:1], s[4:5]
	s_cbranch_execz .LBB179_9
; %bb.8:
	global_load_ubyte v6, v[3:4], off offset:1536
.LBB179_9:
	s_or_b64 exec, exec, s[0:1]
	v_or_b32_e32 v1, 0x800, v0
	v_cmp_gt_u32_e64 s[2:3], s16, v1
	v_mov_b32_e32 v1, 0
	v_mov_b32_e32 v5, 0
	s_and_saveexec_b64 s[0:1], s[2:3]
	s_cbranch_execz .LBB179_11
; %bb.10:
	global_load_ubyte v5, v[3:4], off offset:2048
.LBB179_11:
	s_or_b64 exec, exec, s[0:1]
	v_or_b32_e32 v9, 0xa00, v0
	v_cmp_gt_u32_e64 s[0:1], s16, v9
	s_and_saveexec_b64 s[16:17], s[0:1]
	s_cbranch_execz .LBB179_13
; %bb.12:
	global_load_ubyte v1, v[3:4], off offset:2560
.LBB179_13:
	s_or_b64 exec, exec, s[16:17]
	v_or_b32_e32 v3, 0xfffffe00, v0
	v_lshlrev_b32_e32 v4, 2, v0
	s_mov_b64 s[16:17], 0
	v_mov_b32_e32 v9, 0
.LBB179_14:                             ; =>This Inner Loop Header: Depth=1
	v_add_co_u32_e32 v3, vcc, 0x200, v3
	s_xor_b64 s[18:19], vcc, -1
	s_and_b64 s[18:19], exec, s[18:19]
	ds_write_b32 v4, v9
	s_or_b64 s[16:17], s[18:19], s[16:17]
	v_add_u32_e32 v4, 0x800, v4
	s_andn2_b64 exec, exec, s[16:17]
	s_cbranch_execnz .LBB179_14
; %bb.15:
	s_or_b64 exec, exec, s[16:17]
	s_cmp_gt_u32 s21, s20
	s_cselect_b64 s[16:17], -1, 0
	s_cmp_le_u32 s21, s20
	s_waitcnt vmcnt(0) lgkmcnt(0)
	s_barrier
	s_cbranch_scc1 .LBB179_40
; %bb.16:
	v_and_b32_e32 v3, 3, v0
	v_lshlrev_b32_e32 v3, 2, v3
	s_sub_i32 s22, s21, s20
	v_mov_b32_e32 v4, 1
	s_mov_b32 s23, s22
	v_mov_b32_e32 v9, v3
	s_mov_b32 s24, s20
	s_branch .LBB179_18
.LBB179_17:                             ;   in Loop: Header=BB179_18 Depth=1
	s_or_b64 exec, exec, s[18:19]
	s_add_i32 s24, s24, 8
	s_add_i32 s23, s23, -8
	s_cmp_lt_u32 s24, s21
	v_add_u32_e32 v9, 0x1000, v9
	s_cbranch_scc0 .LBB179_20
.LBB179_18:                             ; =>This Inner Loop Header: Depth=1
	s_and_saveexec_b64 s[18:19], s[10:11]
	s_cbranch_execz .LBB179_17
; %bb.19:                               ;   in Loop: Header=BB179_18 Depth=1
	s_min_u32 s25, s23, 8
	v_lshrrev_b32_e32 v10, s24, v8
	v_bfe_u32 v10, v10, 0, s25
	v_lshl_add_u32 v10, v10, 4, v9
	ds_add_u32 v10, v4
	s_branch .LBB179_17
.LBB179_20:
	v_mov_b32_e32 v4, 1
	s_mov_b32 s18, s22
	v_mov_b32_e32 v8, v3
	s_mov_b32 s19, s20
	s_branch .LBB179_22
.LBB179_21:                             ;   in Loop: Header=BB179_22 Depth=1
	s_or_b64 exec, exec, s[10:11]
	s_add_i32 s19, s19, 8
	s_add_i32 s18, s18, -8
	s_cmp_lt_u32 s19, s21
	v_add_u32_e32 v8, 0x1000, v8
	s_cbranch_scc0 .LBB179_24
.LBB179_22:                             ; =>This Inner Loop Header: Depth=1
	s_and_saveexec_b64 s[10:11], s[8:9]
	s_cbranch_execz .LBB179_21
; %bb.23:                               ;   in Loop: Header=BB179_22 Depth=1
	s_min_u32 s23, s18, 8
	v_lshrrev_b32_e32 v9, s19, v2
	v_bfe_u32 v9, v9, 0, s23
	v_lshl_add_u32 v9, v9, 4, v8
	ds_add_u32 v9, v4
	s_branch .LBB179_21
.LBB179_24:
	;; [unrolled: 23-line block ×5, first 2 shown]
	v_mov_b32_e32 v2, 1
	s_mov_b32 s4, s20
	s_branch .LBB179_38
.LBB179_37:                             ;   in Loop: Header=BB179_38 Depth=1
	s_or_b64 exec, exec, s[2:3]
	s_add_i32 s4, s4, 8
	s_add_i32 s22, s22, -8
	s_cmp_lt_u32 s4, s21
	v_add_u32_e32 v3, 0x1000, v3
	s_cbranch_scc0 .LBB179_40
.LBB179_38:                             ; =>This Inner Loop Header: Depth=1
	s_and_saveexec_b64 s[2:3], s[0:1]
	s_cbranch_execz .LBB179_37
; %bb.39:                               ;   in Loop: Header=BB179_38 Depth=1
	s_min_u32 s5, s22, 8
	v_lshrrev_b32_e32 v4, s4, v1
	v_bfe_u32 v4, v4, 0, s5
	v_lshl_add_u32 v4, v4, 4, v3
	ds_add_u32 v4, v2
	s_branch .LBB179_37
.LBB179_40:
	s_and_b64 vcc, exec, s[16:17]
	s_waitcnt lgkmcnt(0)
	s_barrier
	s_cbranch_vccz .LBB179_45
; %bb.41:
	s_movk_i32 s0, 0x100
	v_cmp_gt_u32_e32 vcc, s0, v0
	v_lshlrev_b32_e32 v3, 4, v0
	v_mov_b32_e32 v2, 0
	v_mov_b32_e32 v1, v0
	s_mov_b32 s4, s20
	s_branch .LBB179_43
.LBB179_42:                             ;   in Loop: Header=BB179_43 Depth=1
	s_or_b64 exec, exec, s[2:3]
	s_add_i32 s4, s4, 8
	v_add_u32_e32 v1, 0x100, v1
	s_cmp_lt_u32 s4, s21
	v_add_u32_e32 v3, 0x1000, v3
	s_cbranch_scc0 .LBB179_45
.LBB179_43:                             ; =>This Inner Loop Header: Depth=1
	s_and_saveexec_b64 s[2:3], vcc
	s_cbranch_execz .LBB179_42
; %bb.44:                               ;   in Loop: Header=BB179_43 Depth=1
	ds_read2_b32 v[4:5], v3 offset1:1
	ds_read2_b32 v[6:7], v3 offset0:2 offset1:3
	v_lshlrev_b64 v[8:9], 3, v[1:2]
	v_mov_b32_e32 v10, s15
	s_waitcnt lgkmcnt(1)
	v_add_u32_e32 v4, v5, v4
	s_waitcnt lgkmcnt(0)
	v_add3_u32 v4, v4, v6, v7
	v_add_co_u32_e64 v6, s[0:1], s14, v8
	v_addc_co_u32_e64 v7, s[0:1], v10, v9, s[0:1]
	v_mov_b32_e32 v5, v2
	global_atomic_add_x2 v[6:7], v[4:5], off
	s_branch .LBB179_42
.LBB179_45:
	s_mov_b64 s[0:1], 0
.LBB179_46:
	s_and_b64 vcc, exec, s[0:1]
	s_cbranch_vccz .LBB179_74
; %bb.47:
	global_load_ubyte v3, v0, s[12:13]
	global_load_ubyte v4, v0, s[12:13] offset:512
	global_load_ubyte v5, v0, s[12:13] offset:1024
	global_load_ubyte v6, v0, s[12:13] offset:1536
	global_load_ubyte v7, v0, s[12:13] offset:2048
	global_load_ubyte v8, v0, s[12:13] offset:2560
	s_cmp_eq_u32 s20, 0
	s_cselect_b64 s[0:1], -1, 0
	s_cmp_eq_u32 s21, 8
	s_cselect_b64 s[2:3], -1, 0
	s_and_b64 s[2:3], s[0:1], s[2:3]
	v_mov_b32_e32 v1, 0
	s_mov_b64 s[0:1], -1
	s_and_b64 vcc, exec, s[2:3]
	v_lshlrev_b32_e32 v9, 2, v0
	s_cbranch_vccnz .LBB179_69
; %bb.48:
	v_or_b32_e32 v2, 0xfffffe00, v0
	v_lshlrev_b32_e32 v10, 2, v0
	s_mov_b64 s[0:1], 0
.LBB179_49:                             ; =>This Inner Loop Header: Depth=1
	v_add_co_u32_e32 v2, vcc, 0x200, v2
	s_xor_b64 s[2:3], vcc, -1
	s_and_b64 s[2:3], exec, s[2:3]
	ds_write_b32 v10, v1
	s_or_b64 s[0:1], s[2:3], s[0:1]
	v_add_u32_e32 v10, 0x800, v10
	s_andn2_b64 exec, exec, s[0:1]
	s_cbranch_execnz .LBB179_49
; %bb.50:
	s_or_b64 exec, exec, s[0:1]
	s_cmp_gt_u32 s21, s20
	s_cselect_b64 s[0:1], -1, 0
	s_cmp_le_u32 s21, s20
	s_waitcnt vmcnt(0) lgkmcnt(0)
	s_barrier
	s_cbranch_scc1 .LBB179_63
; %bb.51:
	v_and_b32_e32 v1, 3, v0
	v_lshlrev_b32_e32 v1, 2, v1
	s_sub_i32 s2, s21, s20
	v_mov_b32_e32 v2, 1
	s_mov_b32 s3, s2
	v_mov_b32_e32 v10, v1
	s_mov_b32 s4, s20
.LBB179_52:                             ; =>This Inner Loop Header: Depth=1
	s_min_u32 s5, s3, 8
	v_lshrrev_b32_sdwa v11, s4, v3 dst_sel:DWORD dst_unused:UNUSED_PAD src0_sel:DWORD src1_sel:BYTE_0
	v_bfe_u32 v11, v11, 0, s5
	v_lshl_add_u32 v11, v11, 4, v10
	ds_add_u32 v11, v2
	s_add_i32 s4, s4, 8
	s_add_i32 s3, s3, -8
	s_cmp_ge_u32 s4, s21
	v_add_u32_e32 v10, 0x1000, v10
	s_cbranch_scc0 .LBB179_52
; %bb.53:
	v_mov_b32_e32 v2, 1
	s_mov_b32 s3, s2
	v_mov_b32_e32 v10, v1
	s_mov_b32 s4, s20
.LBB179_54:                             ; =>This Inner Loop Header: Depth=1
	s_min_u32 s5, s3, 8
	v_lshrrev_b32_sdwa v11, s4, v4 dst_sel:DWORD dst_unused:UNUSED_PAD src0_sel:DWORD src1_sel:BYTE_0
	v_bfe_u32 v11, v11, 0, s5
	v_lshl_add_u32 v11, v11, 4, v10
	ds_add_u32 v11, v2
	s_add_i32 s4, s4, 8
	s_add_i32 s3, s3, -8
	s_cmp_lt_u32 s4, s21
	v_add_u32_e32 v10, 0x1000, v10
	s_cbranch_scc1 .LBB179_54
; %bb.55:
	v_mov_b32_e32 v2, 1
	s_mov_b32 s3, s2
	v_mov_b32_e32 v10, v1
	s_mov_b32 s4, s20
.LBB179_56:                             ; =>This Inner Loop Header: Depth=1
	s_min_u32 s5, s3, 8
	v_lshrrev_b32_sdwa v11, s4, v5 dst_sel:DWORD dst_unused:UNUSED_PAD src0_sel:DWORD src1_sel:BYTE_0
	v_bfe_u32 v11, v11, 0, s5
	v_lshl_add_u32 v11, v11, 4, v10
	ds_add_u32 v11, v2
	s_add_i32 s4, s4, 8
	s_add_i32 s3, s3, -8
	s_cmp_lt_u32 s4, s21
	v_add_u32_e32 v10, 0x1000, v10
	s_cbranch_scc1 .LBB179_56
	;; [unrolled: 16-line block ×4, first 2 shown]
; %bb.61:
	v_mov_b32_e32 v2, 1
	s_mov_b32 s3, s20
.LBB179_62:                             ; =>This Inner Loop Header: Depth=1
	s_min_u32 s4, s2, 8
	v_lshrrev_b32_sdwa v10, s3, v8 dst_sel:DWORD dst_unused:UNUSED_PAD src0_sel:DWORD src1_sel:BYTE_0
	v_bfe_u32 v10, v10, 0, s4
	v_lshl_add_u32 v10, v10, 4, v1
	ds_add_u32 v10, v2
	s_add_i32 s3, s3, 8
	s_add_i32 s2, s2, -8
	s_cmp_lt_u32 s3, s21
	v_add_u32_e32 v1, 0x1000, v1
	s_cbranch_scc1 .LBB179_62
.LBB179_63:
	s_and_b64 vcc, exec, s[0:1]
	s_waitcnt lgkmcnt(0)
	s_barrier
	s_cbranch_vccz .LBB179_68
; %bb.64:
	s_movk_i32 s0, 0x100
	v_cmp_gt_u32_e32 vcc, s0, v0
	v_lshlrev_b32_e32 v10, 4, v0
	v_mov_b32_e32 v2, 0
	v_mov_b32_e32 v1, v0
	s_branch .LBB179_66
.LBB179_65:                             ;   in Loop: Header=BB179_66 Depth=1
	s_or_b64 exec, exec, s[2:3]
	s_add_i32 s20, s20, 8
	v_add_u32_e32 v1, 0x100, v1
	s_cmp_ge_u32 s20, s21
	v_add_u32_e32 v10, 0x1000, v10
	s_cbranch_scc1 .LBB179_68
.LBB179_66:                             ; =>This Inner Loop Header: Depth=1
	s_and_saveexec_b64 s[2:3], vcc
	s_cbranch_execz .LBB179_65
; %bb.67:                               ;   in Loop: Header=BB179_66 Depth=1
	ds_read2_b32 v[11:12], v10 offset1:1
	ds_read2_b32 v[13:14], v10 offset0:2 offset1:3
	v_lshlrev_b64 v[15:16], 3, v[1:2]
	v_mov_b32_e32 v17, s15
	s_waitcnt lgkmcnt(1)
	v_add_u32_e32 v11, v12, v11
	s_waitcnt lgkmcnt(0)
	v_add3_u32 v11, v11, v13, v14
	v_add_co_u32_e64 v13, s[0:1], s14, v15
	v_addc_co_u32_e64 v14, s[0:1], v17, v16, s[0:1]
	v_mov_b32_e32 v12, v2
	global_atomic_add_x2 v[13:14], v[11:12], off
	s_branch .LBB179_65
.LBB179_68:
	s_mov_b64 s[0:1], 0
.LBB179_69:
	s_and_b64 vcc, exec, s[0:1]
	s_cbranch_vccz .LBB179_74
; %bb.70:
	v_or_b32_e32 v1, 0xfffffe00, v0
	s_mov_b64 s[0:1], 0
	v_mov_b32_e32 v2, 0
.LBB179_71:                             ; =>This Inner Loop Header: Depth=1
	v_add_co_u32_e32 v1, vcc, 0x200, v1
	s_xor_b64 s[2:3], vcc, -1
	s_and_b64 s[2:3], exec, s[2:3]
	ds_write_b32 v9, v2
	s_or_b64 s[0:1], s[2:3], s[0:1]
	v_add_u32_e32 v9, 0x800, v9
	s_andn2_b64 exec, exec, s[0:1]
	s_cbranch_execnz .LBB179_71
; %bb.72:
	s_or_b64 exec, exec, s[0:1]
	s_waitcnt vmcnt(5)
	v_and_b32_e32 v1, 0xff, v3
	s_waitcnt vmcnt(3)
	v_and_b32_e32 v3, 0xff, v5
	;; [unrolled: 2-line block ×3, first 2 shown]
	v_and_b32_e32 v7, 3, v0
	v_lshlrev_b32_e32 v7, 2, v7
	v_and_b32_e32 v2, 0xff, v4
	v_and_b32_e32 v4, 0xff, v6
	s_waitcnt vmcnt(0)
	v_and_b32_e32 v6, 0xff, v8
	v_lshl_or_b32 v1, v1, 4, v7
	v_mov_b32_e32 v8, 1
	s_waitcnt lgkmcnt(0)
	s_barrier
	ds_add_u32 v1, v8
	v_lshl_or_b32 v1, v2, 4, v7
	ds_add_u32 v1, v8
	v_lshl_or_b32 v1, v3, 4, v7
	;; [unrolled: 2-line block ×5, first 2 shown]
	ds_add_u32 v1, v8
	s_movk_i32 s0, 0x100
	v_cmp_gt_u32_e32 vcc, s0, v0
	s_waitcnt lgkmcnt(0)
	s_barrier
	s_and_saveexec_b64 s[0:1], vcc
	s_cbranch_execz .LBB179_74
; %bb.73:
	v_lshlrev_b32_e32 v3, 4, v0
	ds_read2_b32 v[1:2], v3 offset1:1
	ds_read2_b32 v[3:4], v3 offset0:2 offset1:3
	v_lshlrev_b32_e32 v5, 3, v0
	s_waitcnt lgkmcnt(1)
	v_add_u32_e32 v0, v2, v1
	s_waitcnt lgkmcnt(0)
	v_add3_u32 v0, v0, v3, v4
	v_mov_b32_e32 v1, 0
	global_atomic_add_x2 v5, v[0:1], s[14:15]
.LBB179_74:
	s_endpgm
	.section	.rodata,"a",@progbits
	.p2align	6, 0x0
	.amdhsa_kernel _ZN7rocprim17ROCPRIM_304000_NS6detail26onesweep_histograms_kernelINS1_34wrapped_radix_sort_onesweep_configINS0_14default_configEbN2at4cuda3cub6detail10OpaqueTypeILi8EEEEELb0EPKbmNS0_19identity_decomposerEEEvT1_PT2_SG_SG_T3_jj
		.amdhsa_group_segment_fixed_size 4096
		.amdhsa_private_segment_fixed_size 0
		.amdhsa_kernarg_size 44
		.amdhsa_user_sgpr_count 6
		.amdhsa_user_sgpr_private_segment_buffer 1
		.amdhsa_user_sgpr_dispatch_ptr 0
		.amdhsa_user_sgpr_queue_ptr 0
		.amdhsa_user_sgpr_kernarg_segment_ptr 1
		.amdhsa_user_sgpr_dispatch_id 0
		.amdhsa_user_sgpr_flat_scratch_init 0
		.amdhsa_user_sgpr_private_segment_size 0
		.amdhsa_uses_dynamic_stack 0
		.amdhsa_system_sgpr_private_segment_wavefront_offset 0
		.amdhsa_system_sgpr_workgroup_id_x 1
		.amdhsa_system_sgpr_workgroup_id_y 0
		.amdhsa_system_sgpr_workgroup_id_z 0
		.amdhsa_system_sgpr_workgroup_info 0
		.amdhsa_system_vgpr_workitem_id 0
		.amdhsa_next_free_vgpr 18
		.amdhsa_next_free_sgpr 26
		.amdhsa_reserve_vcc 1
		.amdhsa_reserve_flat_scratch 0
		.amdhsa_float_round_mode_32 0
		.amdhsa_float_round_mode_16_64 0
		.amdhsa_float_denorm_mode_32 3
		.amdhsa_float_denorm_mode_16_64 3
		.amdhsa_dx10_clamp 1
		.amdhsa_ieee_mode 1
		.amdhsa_fp16_overflow 0
		.amdhsa_exception_fp_ieee_invalid_op 0
		.amdhsa_exception_fp_denorm_src 0
		.amdhsa_exception_fp_ieee_div_zero 0
		.amdhsa_exception_fp_ieee_overflow 0
		.amdhsa_exception_fp_ieee_underflow 0
		.amdhsa_exception_fp_ieee_inexact 0
		.amdhsa_exception_int_div_zero 0
	.end_amdhsa_kernel
	.section	.text._ZN7rocprim17ROCPRIM_304000_NS6detail26onesweep_histograms_kernelINS1_34wrapped_radix_sort_onesweep_configINS0_14default_configEbN2at4cuda3cub6detail10OpaqueTypeILi8EEEEELb0EPKbmNS0_19identity_decomposerEEEvT1_PT2_SG_SG_T3_jj,"axG",@progbits,_ZN7rocprim17ROCPRIM_304000_NS6detail26onesweep_histograms_kernelINS1_34wrapped_radix_sort_onesweep_configINS0_14default_configEbN2at4cuda3cub6detail10OpaqueTypeILi8EEEEELb0EPKbmNS0_19identity_decomposerEEEvT1_PT2_SG_SG_T3_jj,comdat
.Lfunc_end179:
	.size	_ZN7rocprim17ROCPRIM_304000_NS6detail26onesweep_histograms_kernelINS1_34wrapped_radix_sort_onesweep_configINS0_14default_configEbN2at4cuda3cub6detail10OpaqueTypeILi8EEEEELb0EPKbmNS0_19identity_decomposerEEEvT1_PT2_SG_SG_T3_jj, .Lfunc_end179-_ZN7rocprim17ROCPRIM_304000_NS6detail26onesweep_histograms_kernelINS1_34wrapped_radix_sort_onesweep_configINS0_14default_configEbN2at4cuda3cub6detail10OpaqueTypeILi8EEEEELb0EPKbmNS0_19identity_decomposerEEEvT1_PT2_SG_SG_T3_jj
                                        ; -- End function
	.set _ZN7rocprim17ROCPRIM_304000_NS6detail26onesweep_histograms_kernelINS1_34wrapped_radix_sort_onesweep_configINS0_14default_configEbN2at4cuda3cub6detail10OpaqueTypeILi8EEEEELb0EPKbmNS0_19identity_decomposerEEEvT1_PT2_SG_SG_T3_jj.num_vgpr, 18
	.set _ZN7rocprim17ROCPRIM_304000_NS6detail26onesweep_histograms_kernelINS1_34wrapped_radix_sort_onesweep_configINS0_14default_configEbN2at4cuda3cub6detail10OpaqueTypeILi8EEEEELb0EPKbmNS0_19identity_decomposerEEEvT1_PT2_SG_SG_T3_jj.num_agpr, 0
	.set _ZN7rocprim17ROCPRIM_304000_NS6detail26onesweep_histograms_kernelINS1_34wrapped_radix_sort_onesweep_configINS0_14default_configEbN2at4cuda3cub6detail10OpaqueTypeILi8EEEEELb0EPKbmNS0_19identity_decomposerEEEvT1_PT2_SG_SG_T3_jj.numbered_sgpr, 26
	.set _ZN7rocprim17ROCPRIM_304000_NS6detail26onesweep_histograms_kernelINS1_34wrapped_radix_sort_onesweep_configINS0_14default_configEbN2at4cuda3cub6detail10OpaqueTypeILi8EEEEELb0EPKbmNS0_19identity_decomposerEEEvT1_PT2_SG_SG_T3_jj.num_named_barrier, 0
	.set _ZN7rocprim17ROCPRIM_304000_NS6detail26onesweep_histograms_kernelINS1_34wrapped_radix_sort_onesweep_configINS0_14default_configEbN2at4cuda3cub6detail10OpaqueTypeILi8EEEEELb0EPKbmNS0_19identity_decomposerEEEvT1_PT2_SG_SG_T3_jj.private_seg_size, 0
	.set _ZN7rocprim17ROCPRIM_304000_NS6detail26onesweep_histograms_kernelINS1_34wrapped_radix_sort_onesweep_configINS0_14default_configEbN2at4cuda3cub6detail10OpaqueTypeILi8EEEEELb0EPKbmNS0_19identity_decomposerEEEvT1_PT2_SG_SG_T3_jj.uses_vcc, 1
	.set _ZN7rocprim17ROCPRIM_304000_NS6detail26onesweep_histograms_kernelINS1_34wrapped_radix_sort_onesweep_configINS0_14default_configEbN2at4cuda3cub6detail10OpaqueTypeILi8EEEEELb0EPKbmNS0_19identity_decomposerEEEvT1_PT2_SG_SG_T3_jj.uses_flat_scratch, 0
	.set _ZN7rocprim17ROCPRIM_304000_NS6detail26onesweep_histograms_kernelINS1_34wrapped_radix_sort_onesweep_configINS0_14default_configEbN2at4cuda3cub6detail10OpaqueTypeILi8EEEEELb0EPKbmNS0_19identity_decomposerEEEvT1_PT2_SG_SG_T3_jj.has_dyn_sized_stack, 0
	.set _ZN7rocprim17ROCPRIM_304000_NS6detail26onesweep_histograms_kernelINS1_34wrapped_radix_sort_onesweep_configINS0_14default_configEbN2at4cuda3cub6detail10OpaqueTypeILi8EEEEELb0EPKbmNS0_19identity_decomposerEEEvT1_PT2_SG_SG_T3_jj.has_recursion, 0
	.set _ZN7rocprim17ROCPRIM_304000_NS6detail26onesweep_histograms_kernelINS1_34wrapped_radix_sort_onesweep_configINS0_14default_configEbN2at4cuda3cub6detail10OpaqueTypeILi8EEEEELb0EPKbmNS0_19identity_decomposerEEEvT1_PT2_SG_SG_T3_jj.has_indirect_call, 0
	.section	.AMDGPU.csdata,"",@progbits
; Kernel info:
; codeLenInByte = 2272
; TotalNumSgprs: 30
; NumVgprs: 18
; ScratchSize: 0
; MemoryBound: 0
; FloatMode: 240
; IeeeMode: 1
; LDSByteSize: 4096 bytes/workgroup (compile time only)
; SGPRBlocks: 3
; VGPRBlocks: 4
; NumSGPRsForWavesPerEU: 30
; NumVGPRsForWavesPerEU: 18
; Occupancy: 10
; WaveLimiterHint : 1
; COMPUTE_PGM_RSRC2:SCRATCH_EN: 0
; COMPUTE_PGM_RSRC2:USER_SGPR: 6
; COMPUTE_PGM_RSRC2:TRAP_HANDLER: 0
; COMPUTE_PGM_RSRC2:TGID_X_EN: 1
; COMPUTE_PGM_RSRC2:TGID_Y_EN: 0
; COMPUTE_PGM_RSRC2:TGID_Z_EN: 0
; COMPUTE_PGM_RSRC2:TIDIG_COMP_CNT: 0
	.section	.text._ZN7rocprim17ROCPRIM_304000_NS6detail25onesweep_iteration_kernelINS1_34wrapped_radix_sort_onesweep_configINS0_14default_configEbN2at4cuda3cub6detail10OpaqueTypeILi8EEEEELb0EPKbPbPKSA_PSA_mNS0_19identity_decomposerEEEvT1_T2_T3_T4_jPT5_SO_PNS1_23onesweep_lookback_stateET6_jjj,"axG",@progbits,_ZN7rocprim17ROCPRIM_304000_NS6detail25onesweep_iteration_kernelINS1_34wrapped_radix_sort_onesweep_configINS0_14default_configEbN2at4cuda3cub6detail10OpaqueTypeILi8EEEEELb0EPKbPbPKSA_PSA_mNS0_19identity_decomposerEEEvT1_T2_T3_T4_jPT5_SO_PNS1_23onesweep_lookback_stateET6_jjj,comdat
	.protected	_ZN7rocprim17ROCPRIM_304000_NS6detail25onesweep_iteration_kernelINS1_34wrapped_radix_sort_onesweep_configINS0_14default_configEbN2at4cuda3cub6detail10OpaqueTypeILi8EEEEELb0EPKbPbPKSA_PSA_mNS0_19identity_decomposerEEEvT1_T2_T3_T4_jPT5_SO_PNS1_23onesweep_lookback_stateET6_jjj ; -- Begin function _ZN7rocprim17ROCPRIM_304000_NS6detail25onesweep_iteration_kernelINS1_34wrapped_radix_sort_onesweep_configINS0_14default_configEbN2at4cuda3cub6detail10OpaqueTypeILi8EEEEELb0EPKbPbPKSA_PSA_mNS0_19identity_decomposerEEEvT1_T2_T3_T4_jPT5_SO_PNS1_23onesweep_lookback_stateET6_jjj
	.globl	_ZN7rocprim17ROCPRIM_304000_NS6detail25onesweep_iteration_kernelINS1_34wrapped_radix_sort_onesweep_configINS0_14default_configEbN2at4cuda3cub6detail10OpaqueTypeILi8EEEEELb0EPKbPbPKSA_PSA_mNS0_19identity_decomposerEEEvT1_T2_T3_T4_jPT5_SO_PNS1_23onesweep_lookback_stateET6_jjj
	.p2align	8
	.type	_ZN7rocprim17ROCPRIM_304000_NS6detail25onesweep_iteration_kernelINS1_34wrapped_radix_sort_onesweep_configINS0_14default_configEbN2at4cuda3cub6detail10OpaqueTypeILi8EEEEELb0EPKbPbPKSA_PSA_mNS0_19identity_decomposerEEEvT1_T2_T3_T4_jPT5_SO_PNS1_23onesweep_lookback_stateET6_jjj,@function
_ZN7rocprim17ROCPRIM_304000_NS6detail25onesweep_iteration_kernelINS1_34wrapped_radix_sort_onesweep_configINS0_14default_configEbN2at4cuda3cub6detail10OpaqueTypeILi8EEEEELb0EPKbPbPKSA_PSA_mNS0_19identity_decomposerEEEvT1_T2_T3_T4_jPT5_SO_PNS1_23onesweep_lookback_stateET6_jjj: ; @_ZN7rocprim17ROCPRIM_304000_NS6detail25onesweep_iteration_kernelINS1_34wrapped_radix_sort_onesweep_configINS0_14default_configEbN2at4cuda3cub6detail10OpaqueTypeILi8EEEEELb0EPKbPbPKSA_PSA_mNS0_19identity_decomposerEEEvT1_T2_T3_T4_jPT5_SO_PNS1_23onesweep_lookback_stateET6_jjj
; %bb.0:
	s_load_dwordx4 s[48:51], s[4:5], 0x44
	s_load_dwordx8 s[36:43], s[4:5], 0x0
	s_load_dwordx4 s[44:47], s[4:5], 0x28
	s_load_dwordx2 s[34:35], s[4:5], 0x38
	s_mov_b64 s[0:1], -1
	s_waitcnt lgkmcnt(0)
	s_cmp_ge_u32 s6, s50
	s_mul_i32 s30, s6, 0xc00
	v_mbcnt_lo_u32_b32 v19, -1, 0
	s_cbranch_scc0 .LBB180_96
; %bb.1:
	s_load_dword s0, s[4:5], 0x20
	s_mulk_i32 s50, 0xf400
	v_mbcnt_hi_u32_b32 v12, -1, v19
	v_and_b32_e32 v15, 0x1c0, v0
	v_mul_u32_u24_e32 v11, 6, v15
	s_waitcnt lgkmcnt(0)
	s_add_i32 s50, s50, s0
	s_add_u32 s0, s36, s30
	s_addc_u32 s1, s37, 0
	v_mov_b32_e32 v3, s1
	v_add_co_u32_e32 v4, vcc, s0, v12
	v_addc_co_u32_e32 v5, vcc, 0, v3, vcc
	v_add_co_u32_e32 v3, vcc, v4, v11
	v_addc_co_u32_e32 v4, vcc, 0, v5, vcc
	v_or_b32_e32 v5, v12, v11
	s_mov_b32 s31, 0
	v_cmp_gt_u32_e32 vcc, s50, v5
	v_mov_b32_e32 v16, 1
	v_mov_b32_e32 v7, 1
	;; [unrolled: 1-line block ×3, first 2 shown]
	s_and_saveexec_b64 s[0:1], vcc
	s_cbranch_execz .LBB180_3
; %bb.2:
	global_load_ubyte v8, v[3:4], off
	s_waitcnt vmcnt(0)
	v_and_b32_e32 v16, 1, v8
.LBB180_3:
	s_or_b64 exec, exec, s[0:1]
	v_add_u32_e32 v6, 64, v5
	v_cmp_gt_u32_e64 s[0:1], s50, v6
	v_mov_b32_e32 v18, 1
	s_and_saveexec_b64 s[2:3], s[0:1]
	s_cbranch_execz .LBB180_5
; %bb.4:
	global_load_ubyte v7, v[3:4], off offset:64
	s_waitcnt vmcnt(0)
	v_and_b32_e32 v18, 1, v7
.LBB180_5:
	s_or_b64 exec, exec, s[2:3]
	v_add_u32_e32 v6, 0x80, v5
	v_cmp_gt_u32_e64 s[2:3], s50, v6
	v_mov_b32_e32 v22, 1
	v_mov_b32_e32 v9, 1
	;; [unrolled: 1-line block ×3, first 2 shown]
	s_and_saveexec_b64 s[8:9], s[2:3]
	s_cbranch_execz .LBB180_7
; %bb.6:
	global_load_ubyte v10, v[3:4], off offset:128
	s_waitcnt vmcnt(0)
	v_and_b32_e32 v22, 1, v10
.LBB180_7:
	s_or_b64 exec, exec, s[8:9]
	v_add_u32_e32 v6, 0xc0, v5
	v_cmp_gt_u32_e64 s[26:27], s50, v6
	v_mov_b32_e32 v26, 1
	s_and_saveexec_b64 s[8:9], s[26:27]
	s_cbranch_execz .LBB180_9
; %bb.8:
	global_load_ubyte v9, v[3:4], off offset:192
	s_waitcnt vmcnt(0)
	v_and_b32_e32 v26, 1, v9
.LBB180_9:
	s_or_b64 exec, exec, s[8:9]
	v_add_u32_e32 v6, 0x100, v5
	v_cmp_gt_u32_e64 s[8:9], s50, v6
	v_mov_b32_e32 v6, 1
	v_mov_b32_e32 v13, 1
	;; [unrolled: 1-line block ×3, first 2 shown]
	s_and_saveexec_b64 s[10:11], s[8:9]
	s_cbranch_execz .LBB180_11
; %bb.10:
	global_load_ubyte v14, v[3:4], off offset:256
	s_waitcnt vmcnt(0)
	v_and_b32_e32 v6, 1, v14
.LBB180_11:
	s_or_b64 exec, exec, s[10:11]
	v_add_u32_e32 v5, 0x140, v5
	v_cmp_gt_u32_e64 s[10:11], s50, v5
	v_mov_b32_e32 v5, 1
	s_and_saveexec_b64 s[12:13], s[10:11]
	s_cbranch_execz .LBB180_13
; %bb.12:
	global_load_ubyte v13, v[3:4], off offset:320
	s_waitcnt vmcnt(0)
	v_and_b32_e32 v5, 1, v13
.LBB180_13:
	s_or_b64 exec, exec, s[12:13]
	s_load_dword s12, s[4:5], 0x5c
	s_load_dword s7, s[4:5], 0x50
	s_add_u32 s13, s4, 0x50
	s_addc_u32 s14, s5, 0
	v_mov_b32_e32 v3, 0
	s_waitcnt lgkmcnt(0)
	s_lshr_b32 s15, s12, 16
	s_cmp_lt_u32 s6, s7
	s_cselect_b32 s12, 12, 18
	s_add_u32 s12, s13, s12
	s_addc_u32 s13, s14, 0
	global_load_ushort v20, v3, s[12:13]
	s_lshl_b32 s12, -1, s49
	v_mul_u32_u24_e32 v17, 20, v0
	v_lshrrev_b32_e32 v4, s48, v16
	s_not_b32 s33, s12
	ds_write2_b32 v17, v3, v3 offset0:8 offset1:9
	ds_write2_b32 v17, v3, v3 offset0:10 offset1:11
	ds_write_b32 v17, v3 offset:48
	v_and_b32_e32 v3, s33, v4
	v_mad_u32_u24 v16, v2, s15, v1
	v_mul_u32_u24_e32 v23, 36, v3
	v_cmp_ne_u32_e64 s[12:13], 0, v3
	v_add_co_u32_e64 v3, s[14:15], -1, v3
	v_addc_co_u32_e64 v4, s[14:15], 0, -1, s[14:15]
	v_xor_b32_e32 v4, s13, v4
	v_xor_b32_e32 v3, s12, v3
	v_and_b32_e32 v3, exec_lo, v3
	v_and_b32_e32 v4, exec_hi, v4
	v_mbcnt_lo_u32_b32 v24, v3, 0
	s_waitcnt vmcnt(0) lgkmcnt(0)
	s_barrier
	; wave barrier
	v_mad_u64_u32 v[20:21], s[12:13], v16, v20, v[0:1]
	v_cmp_ne_u64_e64 s[12:13], 0, v[3:4]
	v_mbcnt_hi_u32_b32 v16, v4, v24
	v_lshrrev_b32_e32 v20, 4, v20
	v_cmp_eq_u32_e64 s[14:15], 0, v16
	v_and_b32_e32 v27, 0xffffffc, v20
	s_and_b64 s[14:15], s[12:13], s[14:15]
	v_add_u32_e32 v20, v27, v23
	s_and_saveexec_b64 s[12:13], s[14:15]
; %bb.14:
	v_bcnt_u32_b32 v3, v3, 0
	v_bcnt_u32_b32 v3, v4, v3
	ds_write_b32 v20, v3 offset:32
; %bb.15:
	s_or_b64 exec, exec, s[12:13]
	v_lshrrev_b32_e32 v3, s48, v18
	v_and_b32_e32 v3, s33, v3
	v_mul_u32_u24_e32 v23, 36, v3
	v_mad_u32_u24 v4, v3, 36, v27
	v_cmp_ne_u32_e64 s[12:13], 0, v3
	v_add_co_u32_e64 v3, s[14:15], -1, v3
	; wave barrier
	ds_read_b32 v18, v4 offset:32
	v_addc_co_u32_e64 v4, s[14:15], 0, -1, s[14:15]
	v_xor_b32_e32 v3, s12, v3
	v_xor_b32_e32 v4, s13, v4
	v_and_b32_e32 v3, exec_lo, v3
	v_and_b32_e32 v4, exec_hi, v4
	v_mbcnt_lo_u32_b32 v21, v3, 0
	v_mbcnt_hi_u32_b32 v21, v4, v21
	v_cmp_ne_u64_e64 s[12:13], 0, v[3:4]
	v_cmp_eq_u32_e64 s[14:15], 0, v21
	s_and_b64 s[14:15], s[12:13], s[14:15]
	v_add_u32_e32 v24, v27, v23
	; wave barrier
	s_and_saveexec_b64 s[12:13], s[14:15]
	s_cbranch_execz .LBB180_17
; %bb.16:
	v_bcnt_u32_b32 v3, v3, 0
	v_bcnt_u32_b32 v3, v4, v3
	s_waitcnt lgkmcnt(0)
	v_add_u32_e32 v3, v18, v3
	ds_write_b32 v24, v3 offset:32
.LBB180_17:
	s_or_b64 exec, exec, s[12:13]
	v_lshrrev_b32_e32 v3, s48, v22
	v_and_b32_e32 v3, s33, v3
	v_mul_u32_u24_e32 v25, 36, v3
	v_mad_u32_u24 v4, v3, 36, v27
	v_cmp_ne_u32_e64 s[12:13], 0, v3
	v_add_co_u32_e64 v3, s[14:15], -1, v3
	; wave barrier
	ds_read_b32 v22, v4 offset:32
	v_addc_co_u32_e64 v4, s[14:15], 0, -1, s[14:15]
	v_xor_b32_e32 v3, s12, v3
	v_xor_b32_e32 v4, s13, v4
	v_and_b32_e32 v3, exec_lo, v3
	v_and_b32_e32 v4, exec_hi, v4
	v_mbcnt_lo_u32_b32 v23, v3, 0
	v_mbcnt_hi_u32_b32 v23, v4, v23
	v_cmp_ne_u64_e64 s[12:13], 0, v[3:4]
	v_cmp_eq_u32_e64 s[14:15], 0, v23
	s_and_b64 s[14:15], s[12:13], s[14:15]
	v_add_u32_e32 v25, v27, v25
	; wave barrier
	s_and_saveexec_b64 s[12:13], s[14:15]
	s_cbranch_execz .LBB180_19
; %bb.18:
	v_bcnt_u32_b32 v3, v3, 0
	v_bcnt_u32_b32 v3, v4, v3
	s_waitcnt lgkmcnt(0)
	v_add_u32_e32 v3, v22, v3
	ds_write_b32 v25, v3 offset:32
.LBB180_19:
	s_or_b64 exec, exec, s[12:13]
	v_lshrrev_b32_e32 v3, s48, v26
	v_and_b32_e32 v3, s33, v3
	v_mul_u32_u24_e32 v26, 36, v3
	v_mad_u32_u24 v4, v3, 36, v27
	v_cmp_ne_u32_e64 s[12:13], 0, v3
	v_add_co_u32_e64 v3, s[14:15], -1, v3
	; wave barrier
	ds_read_b32 v28, v4 offset:32
	v_addc_co_u32_e64 v4, s[14:15], 0, -1, s[14:15]
	v_xor_b32_e32 v3, s12, v3
	v_xor_b32_e32 v4, s13, v4
	v_and_b32_e32 v3, exec_lo, v3
	v_and_b32_e32 v4, exec_hi, v4
	v_mbcnt_lo_u32_b32 v29, v3, 0
	v_mbcnt_hi_u32_b32 v29, v4, v29
	v_cmp_ne_u64_e64 s[12:13], 0, v[3:4]
	v_cmp_eq_u32_e64 s[14:15], 0, v29
	s_and_b64 s[14:15], s[12:13], s[14:15]
	v_add_u32_e32 v26, v27, v26
	; wave barrier
	s_and_saveexec_b64 s[12:13], s[14:15]
	s_cbranch_execz .LBB180_21
; %bb.20:
	v_bcnt_u32_b32 v3, v3, 0
	v_bcnt_u32_b32 v3, v4, v3
	s_waitcnt lgkmcnt(0)
	v_add_u32_e32 v3, v28, v3
	ds_write_b32 v26, v3 offset:32
.LBB180_21:
	s_or_b64 exec, exec, s[12:13]
	v_lshrrev_b32_e32 v3, s48, v6
	v_and_b32_e32 v3, s33, v3
	v_mul_u32_u24_e32 v6, 36, v3
	v_mad_u32_u24 v4, v3, 36, v27
	v_cmp_ne_u32_e64 s[12:13], 0, v3
	v_add_co_u32_e64 v3, s[14:15], -1, v3
	; wave barrier
	ds_read_b32 v30, v4 offset:32
	v_addc_co_u32_e64 v4, s[14:15], 0, -1, s[14:15]
	v_xor_b32_e32 v3, s12, v3
	v_xor_b32_e32 v4, s13, v4
	v_and_b32_e32 v3, exec_lo, v3
	v_and_b32_e32 v4, exec_hi, v4
	v_mbcnt_lo_u32_b32 v31, v3, 0
	v_mbcnt_hi_u32_b32 v31, v4, v31
	v_cmp_ne_u64_e64 s[12:13], 0, v[3:4]
	v_cmp_eq_u32_e64 s[14:15], 0, v31
	s_and_b64 s[14:15], s[12:13], s[14:15]
	v_add_u32_e32 v34, v27, v6
	; wave barrier
	s_and_saveexec_b64 s[12:13], s[14:15]
	s_cbranch_execz .LBB180_23
; %bb.22:
	v_bcnt_u32_b32 v3, v3, 0
	v_bcnt_u32_b32 v3, v4, v3
	s_waitcnt lgkmcnt(0)
	v_add_u32_e32 v3, v30, v3
	ds_write_b32 v34, v3 offset:32
.LBB180_23:
	s_or_b64 exec, exec, s[12:13]
	v_lshrrev_b32_e32 v3, s48, v5
	v_and_b32_e32 v3, s33, v3
	v_mul_u32_u24_e32 v5, 36, v3
	v_mad_u32_u24 v4, v3, 36, v27
	v_cmp_ne_u32_e64 s[12:13], 0, v3
	v_add_co_u32_e64 v3, s[14:15], -1, v3
	; wave barrier
	ds_read_b32 v32, v4 offset:32
	v_addc_co_u32_e64 v4, s[14:15], 0, -1, s[14:15]
	v_xor_b32_e32 v3, s12, v3
	v_xor_b32_e32 v4, s13, v4
	v_and_b32_e32 v3, exec_lo, v3
	v_and_b32_e32 v4, exec_hi, v4
	v_mbcnt_lo_u32_b32 v6, v3, 0
	v_mbcnt_hi_u32_b32 v33, v4, v6
	v_cmp_ne_u64_e64 s[12:13], 0, v[3:4]
	v_cmp_eq_u32_e64 s[14:15], 0, v33
	s_and_b64 s[14:15], s[12:13], s[14:15]
	v_add_u32_e32 v27, v27, v5
	; wave barrier
	s_and_saveexec_b64 s[12:13], s[14:15]
	s_cbranch_execz .LBB180_25
; %bb.24:
	v_bcnt_u32_b32 v3, v3, 0
	v_bcnt_u32_b32 v3, v4, v3
	s_waitcnt lgkmcnt(0)
	v_add_u32_e32 v3, v32, v3
	ds_write_b32 v27, v3 offset:32
.LBB180_25:
	s_or_b64 exec, exec, s[12:13]
	; wave barrier
	s_waitcnt lgkmcnt(0)
	s_barrier
	ds_read2_b32 v[5:6], v17 offset0:8 offset1:9
	ds_read2_b32 v[3:4], v17 offset0:10 offset1:11
	ds_read_b32 v35, v17 offset:48
	v_min_u32_e32 v15, 0x1c0, v15
	v_or_b32_e32 v15, 63, v15
	s_waitcnt lgkmcnt(1)
	v_add3_u32 v36, v6, v5, v3
	s_waitcnt lgkmcnt(0)
	v_add3_u32 v35, v36, v4, v35
	v_and_b32_e32 v36, 15, v12
	v_cmp_ne_u32_e64 s[12:13], 0, v36
	v_mov_b32_dpp v37, v35 row_shr:1 row_mask:0xf bank_mask:0xf
	v_cndmask_b32_e64 v37, 0, v37, s[12:13]
	v_add_u32_e32 v35, v37, v35
	v_cmp_lt_u32_e64 s[12:13], 1, v36
	s_nop 0
	v_mov_b32_dpp v37, v35 row_shr:2 row_mask:0xf bank_mask:0xf
	v_cndmask_b32_e64 v37, 0, v37, s[12:13]
	v_add_u32_e32 v35, v35, v37
	v_cmp_lt_u32_e64 s[12:13], 3, v36
	s_nop 0
	;; [unrolled: 5-line block ×3, first 2 shown]
	v_mov_b32_dpp v37, v35 row_shr:8 row_mask:0xf bank_mask:0xf
	v_cndmask_b32_e64 v36, 0, v37, s[12:13]
	v_add_u32_e32 v35, v35, v36
	v_bfe_i32 v37, v12, 4, 1
	v_cmp_lt_u32_e64 s[12:13], 31, v12
	v_mov_b32_dpp v36, v35 row_bcast:15 row_mask:0xf bank_mask:0xf
	v_and_b32_e32 v36, v37, v36
	v_add_u32_e32 v35, v35, v36
	s_nop 1
	v_mov_b32_dpp v36, v35 row_bcast:31 row_mask:0xf bank_mask:0xf
	v_cndmask_b32_e64 v36, 0, v36, s[12:13]
	v_add_u32_e32 v35, v35, v36
	v_lshrrev_b32_e32 v36, 6, v0
	v_cmp_eq_u32_e64 s[12:13], v0, v15
	s_and_saveexec_b64 s[14:15], s[12:13]
; %bb.26:
	v_lshlrev_b32_e32 v15, 2, v36
	ds_write_b32 v15, v35
; %bb.27:
	s_or_b64 exec, exec, s[14:15]
	v_cmp_gt_u32_e64 s[12:13], 8, v0
	s_waitcnt lgkmcnt(0)
	s_barrier
	s_and_saveexec_b64 s[14:15], s[12:13]
	s_cbranch_execz .LBB180_29
; %bb.28:
	v_lshlrev_b32_e32 v15, 2, v0
	ds_read_b32 v37, v15
	v_and_b32_e32 v38, 7, v12
	v_cmp_ne_u32_e64 s[12:13], 0, v38
	s_waitcnt lgkmcnt(0)
	v_mov_b32_dpp v39, v37 row_shr:1 row_mask:0xf bank_mask:0xf
	v_cndmask_b32_e64 v39, 0, v39, s[12:13]
	v_add_u32_e32 v37, v39, v37
	v_cmp_lt_u32_e64 s[12:13], 1, v38
	s_nop 0
	v_mov_b32_dpp v39, v37 row_shr:2 row_mask:0xf bank_mask:0xf
	v_cndmask_b32_e64 v39, 0, v39, s[12:13]
	v_add_u32_e32 v37, v37, v39
	v_cmp_lt_u32_e64 s[12:13], 3, v38
	s_nop 0
	v_mov_b32_dpp v39, v37 row_shr:4 row_mask:0xf bank_mask:0xf
	v_cndmask_b32_e64 v38, 0, v39, s[12:13]
	v_add_u32_e32 v37, v37, v38
	ds_write_b32 v15, v37
.LBB180_29:
	s_or_b64 exec, exec, s[14:15]
	v_cmp_lt_u32_e64 s[12:13], 63, v0
	v_mov_b32_e32 v15, 0
	s_waitcnt lgkmcnt(0)
	s_barrier
	s_and_saveexec_b64 s[14:15], s[12:13]
; %bb.30:
	v_lshl_add_u32 v15, v36, 2, -4
	ds_read_b32 v15, v15
; %bb.31:
	s_or_b64 exec, exec, s[14:15]
	v_subrev_co_u32_e64 v36, s[12:13], 1, v12
	v_and_b32_e32 v37, 64, v12
	v_cmp_lt_i32_e64 s[14:15], v36, v37
	v_cndmask_b32_e64 v36, v36, v12, s[14:15]
	s_waitcnt lgkmcnt(0)
	v_add_u32_e32 v35, v15, v35
	v_lshlrev_b32_e32 v36, 2, v36
	ds_bpermute_b32 v35, v36, v35
	s_movk_i32 s16, 0x100
	v_cmp_gt_u32_e64 s[14:15], s16, v0
	s_waitcnt lgkmcnt(0)
	v_cndmask_b32_e64 v15, v35, v15, s[12:13]
	v_cmp_ne_u32_e64 s[12:13], 0, v0
	v_cndmask_b32_e64 v15, 0, v15, s[12:13]
	v_add_u32_e32 v5, v15, v5
	v_add_u32_e32 v6, v5, v6
	;; [unrolled: 1-line block ×4, first 2 shown]
	ds_write2_b32 v17, v15, v5 offset0:8 offset1:9
	ds_write2_b32 v17, v6, v3 offset0:10 offset1:11
	ds_write_b32 v17, v4 offset:48
	s_waitcnt lgkmcnt(0)
	s_barrier
	ds_read_b32 v5, v20 offset:32
	ds_read_b32 v6, v24 offset:32
	;; [unrolled: 1-line block ×6, first 2 shown]
	s_movk_i32 s12, 0xff
	v_mov_b32_e32 v3, 0
	v_cmp_lt_u32_e64 s[12:13], s12, v0
	v_mov_b32_e32 v4, 0
                                        ; implicit-def: $vgpr20
	s_and_saveexec_b64 s[18:19], s[14:15]
	s_cbranch_execz .LBB180_35
; %bb.32:
	v_mul_u32_u24_e32 v3, 36, v0
	ds_read_b32 v3, v3 offset:32
	v_add_u32_e32 v20, 1, v0
	v_cmp_ne_u32_e64 s[16:17], s16, v20
	v_mov_b32_e32 v4, 0xc00
	s_and_saveexec_b64 s[20:21], s[16:17]
; %bb.33:
	v_mul_u32_u24_e32 v4, 36, v20
	ds_read_b32 v4, v4 offset:32
; %bb.34:
	s_or_b64 exec, exec, s[20:21]
	s_waitcnt lgkmcnt(0)
	v_sub_u32_e32 v20, v4, v3
	v_mov_b32_e32 v4, 0
.LBB180_35:
	s_or_b64 exec, exec, s[18:19]
	s_waitcnt lgkmcnt(5)
	v_add_u32_e32 v27, v5, v16
	s_waitcnt lgkmcnt(4)
	v_add3_u32 v26, v21, v18, v6
	s_waitcnt lgkmcnt(3)
	v_add3_u32 v25, v23, v22, v15
	;; [unrolled: 2-line block ×5, first 2 shown]
	v_mov_b32_e32 v6, 0
	v_lshlrev_b32_e32 v21, 3, v0
	s_barrier
	ds_write_b8 v27, v8 offset:2048
	ds_write_b8 v26, v7 offset:2048
	;; [unrolled: 1-line block ×6, first 2 shown]
	s_waitcnt lgkmcnt(0)
	s_barrier
	s_and_saveexec_b64 s[16:17], s[14:15]
	s_cbranch_execz .LBB180_45
; %bb.36:
	v_lshl_add_u32 v5, s6, 8, v0
	v_lshlrev_b64 v[7:8], 2, v[5:6]
	v_mov_b32_e32 v13, s35
	v_add_co_u32_e64 v7, s[14:15], s34, v7
	v_addc_co_u32_e64 v8, s[14:15], v13, v8, s[14:15]
	v_or_b32_e32 v5, 2.0, v20
	s_mov_b64 s[18:19], 0
	s_brev_b32 s24, -4
	s_mov_b32 s25, s6
	v_mov_b32_e32 v14, 0
	global_store_dword v[7:8], v5, off
                                        ; implicit-def: $sgpr14_sgpr15
	s_branch .LBB180_39
.LBB180_37:                             ;   in Loop: Header=BB180_39 Depth=1
	s_or_b64 exec, exec, s[22:23]
.LBB180_38:                             ;   in Loop: Header=BB180_39 Depth=1
	s_or_b64 exec, exec, s[20:21]
	v_and_b32_e32 v9, 0x3fffffff, v5
	v_add_u32_e32 v14, v9, v14
	v_cmp_gt_i32_e64 s[14:15], -2.0, v5
	s_and_b64 s[20:21], exec, s[14:15]
	s_or_b64 s[18:19], s[20:21], s[18:19]
	s_andn2_b64 exec, exec, s[18:19]
	s_cbranch_execz .LBB180_44
.LBB180_39:                             ; =>This Loop Header: Depth=1
                                        ;     Child Loop BB180_42 Depth 2
	s_or_b64 s[14:15], s[14:15], exec
	s_cmp_eq_u32 s25, 0
	s_cbranch_scc1 .LBB180_43
; %bb.40:                               ;   in Loop: Header=BB180_39 Depth=1
	s_add_i32 s25, s25, -1
	v_lshl_or_b32 v5, s25, 8, v0
	v_lshlrev_b64 v[9:10], 2, v[5:6]
	v_add_co_u32_e64 v9, s[14:15], s34, v9
	v_addc_co_u32_e64 v10, s[14:15], v13, v10, s[14:15]
	global_load_dword v5, v[9:10], off glc
	s_waitcnt vmcnt(0)
	v_cmp_gt_u32_e64 s[14:15], 2.0, v5
	s_and_saveexec_b64 s[20:21], s[14:15]
	s_cbranch_execz .LBB180_38
; %bb.41:                               ;   in Loop: Header=BB180_39 Depth=1
	s_mov_b64 s[22:23], 0
.LBB180_42:                             ;   Parent Loop BB180_39 Depth=1
                                        ; =>  This Inner Loop Header: Depth=2
	global_load_dword v5, v[9:10], off glc
	s_waitcnt vmcnt(0)
	v_cmp_lt_u32_e64 s[14:15], s24, v5
	s_or_b64 s[22:23], s[14:15], s[22:23]
	s_andn2_b64 exec, exec, s[22:23]
	s_cbranch_execnz .LBB180_42
	s_branch .LBB180_37
.LBB180_43:                             ;   in Loop: Header=BB180_39 Depth=1
                                        ; implicit-def: $sgpr25
	s_and_b64 s[20:21], exec, s[14:15]
	s_or_b64 s[18:19], s[20:21], s[18:19]
	s_andn2_b64 exec, exec, s[18:19]
	s_cbranch_execnz .LBB180_39
.LBB180_44:
	s_or_b64 exec, exec, s[18:19]
	v_add_u32_e32 v5, v14, v20
	v_or_b32_e32 v5, 0x80000000, v5
	global_store_dword v[7:8], v5, off
	global_load_dwordx2 v[5:6], v21, s[44:45]
	v_sub_co_u32_e64 v7, s[14:15], v14, v3
	v_subb_co_u32_e64 v8, s[14:15], 0, v4, s[14:15]
	s_waitcnt vmcnt(0)
	v_add_co_u32_e64 v5, s[14:15], v7, v5
	v_addc_co_u32_e64 v6, s[14:15], v8, v6, s[14:15]
	ds_write_b64 v21, v[5:6]
.LBB180_45:
	s_or_b64 exec, exec, s[16:17]
	v_cmp_gt_u32_e64 s[14:15], s50, v0
	s_waitcnt lgkmcnt(0)
	s_barrier
	s_and_saveexec_b64 s[18:19], s[14:15]
	s_cbranch_execz .LBB180_47
; %bb.46:
	ds_read_u8 v7, v0 offset:2048
	v_mov_b32_e32 v8, s39
	s_waitcnt lgkmcnt(0)
	v_and_b32_e32 v5, 1, v7
	v_lshrrev_b32_e32 v5, s48, v5
	v_and_b32_e32 v5, s33, v5
	v_lshlrev_b32_e32 v5, 3, v5
	ds_read_b64 v[5:6], v5
	s_waitcnt lgkmcnt(0)
	v_add_co_u32_e64 v5, s[16:17], s38, v5
	v_addc_co_u32_e64 v6, s[16:17], v8, v6, s[16:17]
	v_add_co_u32_e64 v5, s[16:17], v5, v0
	v_addc_co_u32_e64 v6, s[16:17], 0, v6, s[16:17]
	global_store_byte v[5:6], v7, off
.LBB180_47:
	s_or_b64 exec, exec, s[18:19]
	v_or_b32_e32 v28, 0x200, v0
	v_cmp_gt_u32_e64 s[16:17], s50, v28
	s_and_saveexec_b64 s[20:21], s[16:17]
	s_cbranch_execz .LBB180_49
; %bb.48:
	ds_read_u8 v7, v0 offset:2560
	v_mov_b32_e32 v8, s39
	s_waitcnt lgkmcnt(0)
	v_and_b32_e32 v5, 1, v7
	v_lshrrev_b32_e32 v5, s48, v5
	v_and_b32_e32 v5, s33, v5
	v_lshlrev_b32_e32 v5, 3, v5
	ds_read_b64 v[5:6], v5
	s_waitcnt lgkmcnt(0)
	v_add_co_u32_e64 v5, s[18:19], s38, v5
	v_addc_co_u32_e64 v6, s[18:19], v8, v6, s[18:19]
	v_add_co_u32_e64 v5, s[18:19], v5, v0
	v_addc_co_u32_e64 v6, s[18:19], 0, v6, s[18:19]
	global_store_byte v[5:6], v7, off offset:512
.LBB180_49:
	s_or_b64 exec, exec, s[20:21]
	v_or_b32_e32 v29, 0x400, v0
	v_cmp_gt_u32_e64 s[18:19], s50, v29
	s_and_saveexec_b64 s[22:23], s[18:19]
	s_cbranch_execz .LBB180_51
; %bb.50:
	ds_read_u8 v7, v0 offset:3072
	v_mov_b32_e32 v8, s39
	s_waitcnt lgkmcnt(0)
	v_and_b32_e32 v5, 1, v7
	v_lshrrev_b32_e32 v5, s48, v5
	v_and_b32_e32 v5, s33, v5
	v_lshlrev_b32_e32 v5, 3, v5
	ds_read_b64 v[5:6], v5
	s_waitcnt lgkmcnt(0)
	v_add_co_u32_e64 v5, s[20:21], s38, v5
	v_addc_co_u32_e64 v6, s[20:21], v8, v6, s[20:21]
	v_add_co_u32_e64 v5, s[20:21], v5, v0
	v_addc_co_u32_e64 v6, s[20:21], 0, v6, s[20:21]
	global_store_byte v[5:6], v7, off offset:1024
.LBB180_51:
	;; [unrolled: 21-line block ×5, first 2 shown]
	s_or_b64 exec, exec, s[50:51]
	s_lshl_b64 s[28:29], s[30:31], 3
	s_add_u32 s28, s40, s28
	s_addc_u32 s29, s41, s29
	v_lshlrev_b32_e32 v5, 3, v12
	v_mov_b32_e32 v6, s29
	v_add_co_u32_e64 v5, s[28:29], s28, v5
	v_addc_co_u32_e64 v6, s[28:29], 0, v6, s[28:29]
	v_lshlrev_b32_e32 v7, 3, v11
	v_add_co_u32_e64 v17, s[28:29], v5, v7
	v_addc_co_u32_e64 v18, s[28:29], 0, v6, s[28:29]
                                        ; implicit-def: $vgpr5_vgpr6
	s_and_saveexec_b64 s[28:29], vcc
	s_xor_b64 s[28:29], exec, s[28:29]
	s_cbranch_execz .LBB180_63
; %bb.58:
	global_load_dwordx2 v[5:6], v[17:18], off
	s_or_b64 exec, exec, s[28:29]
                                        ; implicit-def: $vgpr7_vgpr8
	s_and_saveexec_b64 s[28:29], s[0:1]
	s_cbranch_execnz .LBB180_64
.LBB180_59:
	s_or_b64 exec, exec, s[28:29]
                                        ; implicit-def: $vgpr9_vgpr10
	s_and_saveexec_b64 s[0:1], s[2:3]
	s_cbranch_execz .LBB180_65
.LBB180_60:
	global_load_dwordx2 v[9:10], v[17:18], off offset:1024
	s_or_b64 exec, exec, s[0:1]
                                        ; implicit-def: $vgpr11_vgpr12
	s_and_saveexec_b64 s[0:1], s[26:27]
	s_cbranch_execnz .LBB180_66
.LBB180_61:
	s_or_b64 exec, exec, s[0:1]
                                        ; implicit-def: $vgpr13_vgpr14
	s_and_saveexec_b64 s[0:1], s[8:9]
	s_cbranch_execz .LBB180_67
.LBB180_62:
	global_load_dwordx2 v[13:14], v[17:18], off offset:2048
	s_or_b64 exec, exec, s[0:1]
                                        ; implicit-def: $vgpr15_vgpr16
	s_and_saveexec_b64 s[0:1], s[10:11]
	s_cbranch_execnz .LBB180_68
	s_branch .LBB180_69
.LBB180_63:
	s_or_b64 exec, exec, s[28:29]
                                        ; implicit-def: $vgpr7_vgpr8
	s_and_saveexec_b64 s[28:29], s[0:1]
	s_cbranch_execz .LBB180_59
.LBB180_64:
	global_load_dwordx2 v[7:8], v[17:18], off offset:512
	s_or_b64 exec, exec, s[28:29]
                                        ; implicit-def: $vgpr9_vgpr10
	s_and_saveexec_b64 s[0:1], s[2:3]
	s_cbranch_execnz .LBB180_60
.LBB180_65:
	s_or_b64 exec, exec, s[0:1]
                                        ; implicit-def: $vgpr11_vgpr12
	s_and_saveexec_b64 s[0:1], s[26:27]
	s_cbranch_execz .LBB180_61
.LBB180_66:
	global_load_dwordx2 v[11:12], v[17:18], off offset:1536
	s_or_b64 exec, exec, s[0:1]
                                        ; implicit-def: $vgpr13_vgpr14
	s_and_saveexec_b64 s[0:1], s[8:9]
	s_cbranch_execnz .LBB180_62
.LBB180_67:
	s_or_b64 exec, exec, s[0:1]
                                        ; implicit-def: $vgpr15_vgpr16
	s_and_saveexec_b64 s[0:1], s[10:11]
	s_cbranch_execz .LBB180_69
.LBB180_68:
	global_load_dwordx2 v[15:16], v[17:18], off offset:2560
.LBB180_69:
	s_or_b64 exec, exec, s[0:1]
	v_mov_b32_e32 v34, 0
	v_mov_b32_e32 v36, 0
	s_and_saveexec_b64 s[0:1], s[14:15]
	s_cbranch_execz .LBB180_71
; %bb.70:
	ds_read_u8 v17, v0 offset:2048
	s_waitcnt lgkmcnt(0)
	v_lshrrev_b32_e32 v17, s48, v17
	v_and_b32_e32 v36, s33, v17
.LBB180_71:
	s_or_b64 exec, exec, s[0:1]
	s_and_saveexec_b64 s[0:1], s[16:17]
	s_cbranch_execz .LBB180_73
; %bb.72:
	ds_read_u8 v17, v0 offset:2560
	s_waitcnt lgkmcnt(0)
	v_lshrrev_b32_e32 v17, s48, v17
	v_and_b32_e32 v34, s33, v17
.LBB180_73:
	s_or_b64 exec, exec, s[0:1]
	v_mov_b32_e32 v18, 0
	v_mov_b32_e32 v35, 0
	s_and_saveexec_b64 s[0:1], s[18:19]
	s_cbranch_execz .LBB180_75
; %bb.74:
	ds_read_u8 v17, v0 offset:3072
	s_waitcnt lgkmcnt(0)
	v_lshrrev_b32_e32 v17, s48, v17
	v_and_b32_e32 v35, s33, v17
.LBB180_75:
	s_or_b64 exec, exec, s[0:1]
	s_and_saveexec_b64 s[0:1], s[20:21]
	s_cbranch_execz .LBB180_77
; %bb.76:
	ds_read_u8 v17, v0 offset:3584
	s_waitcnt lgkmcnt(0)
	v_lshrrev_b32_e32 v17, s48, v17
	v_and_b32_e32 v18, s33, v17
.LBB180_77:
	;; [unrolled: 20-line block ×3, first 2 shown]
	s_or_b64 exec, exec, s[0:1]
	v_lshlrev_b32_e32 v27, 3, v27
	s_waitcnt vmcnt(0)
	s_barrier
	ds_write_b64 v27, v[5:6] offset:2048
	v_lshlrev_b32_e32 v5, 3, v26
	ds_write_b64 v5, v[7:8] offset:2048
	v_lshlrev_b32_e32 v5, 3, v25
	;; [unrolled: 2-line block ×5, first 2 shown]
	ds_write_b64 v5, v[15:16] offset:2048
	s_waitcnt lgkmcnt(0)
	s_barrier
	s_and_saveexec_b64 s[0:1], s[14:15]
	s_cbranch_execz .LBB180_87
; %bb.82:
	v_lshlrev_b32_e32 v5, 3, v36
	ds_read_b64 v[5:6], v5
	ds_read_b64 v[7:8], v21 offset:2048
	v_mov_b32_e32 v9, s43
	s_waitcnt lgkmcnt(1)
	v_lshlrev_b64 v[5:6], 3, v[5:6]
	v_add_co_u32_e32 v5, vcc, s42, v5
	v_addc_co_u32_e32 v6, vcc, v9, v6, vcc
	v_add_co_u32_e32 v5, vcc, v5, v21
	v_addc_co_u32_e32 v6, vcc, 0, v6, vcc
	s_waitcnt lgkmcnt(0)
	global_store_dwordx2 v[5:6], v[7:8], off
	s_or_b64 exec, exec, s[0:1]
	s_and_saveexec_b64 s[0:1], s[16:17]
	s_cbranch_execnz .LBB180_88
.LBB180_83:
	s_or_b64 exec, exec, s[0:1]
	s_and_saveexec_b64 s[0:1], s[18:19]
	s_cbranch_execz .LBB180_89
.LBB180_84:
	v_lshlrev_b32_e32 v5, 3, v35
	ds_read_b64 v[5:6], v5
	ds_read_b64 v[7:8], v21 offset:10240
	v_mov_b32_e32 v9, s43
	s_waitcnt lgkmcnt(1)
	v_lshlrev_b64 v[5:6], 3, v[5:6]
	v_add_co_u32_e32 v5, vcc, s42, v5
	v_addc_co_u32_e32 v6, vcc, v9, v6, vcc
	v_lshlrev_b32_e32 v9, 3, v29
	v_add_co_u32_e32 v5, vcc, v5, v9
	v_addc_co_u32_e32 v6, vcc, 0, v6, vcc
	s_waitcnt lgkmcnt(0)
	global_store_dwordx2 v[5:6], v[7:8], off
	s_or_b64 exec, exec, s[0:1]
	s_and_saveexec_b64 s[0:1], s[20:21]
	s_cbranch_execnz .LBB180_90
.LBB180_85:
	s_or_b64 exec, exec, s[0:1]
	s_and_saveexec_b64 s[0:1], s[22:23]
	s_cbranch_execz .LBB180_91
.LBB180_86:
	v_lshlrev_b32_e32 v5, 3, v33
	ds_read_b64 v[5:6], v5
	ds_read_b64 v[7:8], v21 offset:18432
	v_mov_b32_e32 v9, s43
	s_waitcnt lgkmcnt(1)
	v_lshlrev_b64 v[5:6], 3, v[5:6]
	v_add_co_u32_e32 v5, vcc, s42, v5
	v_addc_co_u32_e32 v6, vcc, v9, v6, vcc
	v_lshlrev_b32_e32 v9, 3, v31
	v_add_co_u32_e32 v5, vcc, v5, v9
	v_addc_co_u32_e32 v6, vcc, 0, v6, vcc
	s_waitcnt lgkmcnt(0)
	global_store_dwordx2 v[5:6], v[7:8], off
	s_or_b64 exec, exec, s[0:1]
	s_and_saveexec_b64 s[0:1], s[24:25]
	s_cbranch_execnz .LBB180_92
	s_branch .LBB180_93
.LBB180_87:
	s_or_b64 exec, exec, s[0:1]
	s_and_saveexec_b64 s[0:1], s[16:17]
	s_cbranch_execz .LBB180_83
.LBB180_88:
	v_lshlrev_b32_e32 v5, 3, v34
	ds_read_b64 v[5:6], v5
	ds_read_b64 v[7:8], v21 offset:6144
	v_mov_b32_e32 v9, s43
	s_waitcnt lgkmcnt(1)
	v_lshlrev_b64 v[5:6], 3, v[5:6]
	v_add_co_u32_e32 v5, vcc, s42, v5
	v_addc_co_u32_e32 v6, vcc, v9, v6, vcc
	v_lshlrev_b32_e32 v9, 3, v28
	v_add_co_u32_e32 v5, vcc, v5, v9
	v_addc_co_u32_e32 v6, vcc, 0, v6, vcc
	s_waitcnt lgkmcnt(0)
	global_store_dwordx2 v[5:6], v[7:8], off
	s_or_b64 exec, exec, s[0:1]
	s_and_saveexec_b64 s[0:1], s[18:19]
	s_cbranch_execnz .LBB180_84
.LBB180_89:
	s_or_b64 exec, exec, s[0:1]
	s_and_saveexec_b64 s[0:1], s[20:21]
	s_cbranch_execz .LBB180_85
.LBB180_90:
	v_lshlrev_b32_e32 v5, 3, v18
	ds_read_b64 v[5:6], v5
	ds_read_b64 v[7:8], v21 offset:14336
	v_mov_b32_e32 v9, s43
	s_waitcnt lgkmcnt(1)
	v_lshlrev_b64 v[5:6], 3, v[5:6]
	v_add_co_u32_e32 v5, vcc, s42, v5
	v_addc_co_u32_e32 v6, vcc, v9, v6, vcc
	v_lshlrev_b32_e32 v9, 3, v30
	v_add_co_u32_e32 v5, vcc, v5, v9
	v_addc_co_u32_e32 v6, vcc, 0, v6, vcc
	s_waitcnt lgkmcnt(0)
	global_store_dwordx2 v[5:6], v[7:8], off
	s_or_b64 exec, exec, s[0:1]
	s_and_saveexec_b64 s[0:1], s[22:23]
	s_cbranch_execnz .LBB180_86
.LBB180_91:
	s_or_b64 exec, exec, s[0:1]
	s_and_saveexec_b64 s[0:1], s[24:25]
	s_cbranch_execz .LBB180_93
.LBB180_92:
	v_lshlrev_b32_e32 v5, 3, v17
	ds_read_b64 v[5:6], v5
	ds_read_b64 v[7:8], v21 offset:22528
	v_mov_b32_e32 v9, s43
	s_waitcnt lgkmcnt(1)
	v_lshlrev_b64 v[5:6], 3, v[5:6]
	v_add_co_u32_e32 v5, vcc, s42, v5
	v_addc_co_u32_e32 v6, vcc, v9, v6, vcc
	v_lshlrev_b32_e32 v9, 3, v32
	v_add_co_u32_e32 v5, vcc, v5, v9
	v_addc_co_u32_e32 v6, vcc, 0, v6, vcc
	s_waitcnt lgkmcnt(0)
	global_store_dwordx2 v[5:6], v[7:8], off
.LBB180_93:
	s_or_b64 exec, exec, s[0:1]
	s_add_i32 s7, s7, -1
	s_cmp_eq_u32 s6, s7
	s_cselect_b64 s[0:1], -1, 0
	s_xor_b64 s[2:3], s[12:13], -1
	s_and_b64 s[2:3], s[2:3], s[0:1]
	s_and_saveexec_b64 s[0:1], s[2:3]
	s_cbranch_execz .LBB180_95
; %bb.94:
	ds_read_b64 v[5:6], v21
	v_add_co_u32_e32 v3, vcc, v3, v20
	v_addc_co_u32_e32 v4, vcc, 0, v4, vcc
	s_waitcnt lgkmcnt(0)
	v_add_co_u32_e32 v3, vcc, v3, v5
	v_addc_co_u32_e32 v4, vcc, v4, v6, vcc
	global_store_dwordx2 v21, v[3:4], s[46:47]
.LBB180_95:
	s_or_b64 exec, exec, s[0:1]
	s_mov_b64 s[0:1], 0
.LBB180_96:
	s_and_b64 vcc, exec, s[0:1]
	s_cbranch_vccz .LBB180_131
; %bb.97:
	s_add_u32 s0, s36, s30
	s_addc_u32 s1, s37, 0
	v_mbcnt_hi_u32_b32 v10, -1, v19
	v_and_b32_e32 v17, 0x1c0, v0
	v_mov_b32_e32 v3, s1
	v_add_co_u32_e32 v4, vcc, s0, v10
	v_mul_u32_u24_e32 v9, 6, v17
	v_addc_co_u32_e32 v5, vcc, 0, v3, vcc
	v_add_co_u32_e32 v3, vcc, v4, v9
	v_addc_co_u32_e32 v4, vcc, 0, v5, vcc
	global_load_ubyte v5, v[3:4], off
	s_load_dword s0, s[4:5], 0x5c
	s_load_dword s7, s[4:5], 0x50
	s_add_u32 s1, s4, 0x50
	s_addc_u32 s2, s5, 0
	v_mov_b32_e32 v14, 0
	s_waitcnt lgkmcnt(0)
	s_lshr_b32 s3, s0, 16
	s_cmp_lt_u32 s6, s7
	s_cselect_b32 s0, 12, 18
	s_add_u32 s0, s1, s0
	s_addc_u32 s1, s2, 0
	global_load_ushort v15, v14, s[0:1]
	global_load_ubyte v6, v[3:4], off offset:64
	global_load_ubyte v7, v[3:4], off offset:128
	;; [unrolled: 1-line block ×5, first 2 shown]
	v_mad_u32_u24 v1, v2, s3, v1
	s_lshl_b32 s0, -1, s49
	s_not_b32 s12, s0
	v_mul_u32_u24_e32 v11, 20, v0
	ds_write2_b32 v11, v14, v14 offset0:8 offset1:9
	ds_write2_b32 v11, v14, v14 offset0:10 offset1:11
	ds_write_b32 v11, v14 offset:48
	s_mov_b32 s31, 0
	s_waitcnt vmcnt(0) lgkmcnt(0)
	s_barrier
	; wave barrier
	v_and_b32_e32 v2, 1, v5
	v_lshrrev_b32_e32 v2, s48, v2
	v_and_b32_e32 v2, s12, v2
	v_mul_u32_u24_e32 v16, 36, v2
	v_cmp_ne_u32_e32 vcc, 0, v2
	v_add_co_u32_e64 v2, s[0:1], -1, v2
	v_addc_co_u32_e64 v3, s[0:1], 0, -1, s[0:1]
	v_xor_b32_e32 v14, vcc_hi, v3
	v_mad_u64_u32 v[3:4], s[0:1], v1, v15, v[0:1]
	v_xor_b32_e32 v18, vcc_lo, v2
	v_and_b32_e32 v1, exec_lo, v18
	v_and_b32_e32 v2, exec_hi, v14
	v_mbcnt_lo_u32_b32 v4, v1, 0
	v_cmp_ne_u64_e32 vcc, 0, v[1:2]
	v_mbcnt_hi_u32_b32 v14, v2, v4
	v_lshrrev_b32_e32 v3, 4, v3
	v_cmp_eq_u32_e64 s[0:1], 0, v14
	v_and_b32_e32 v3, 0xffffffc, v3
	s_and_b64 s[2:3], vcc, s[0:1]
	v_add_u32_e32 v18, v3, v16
	s_and_saveexec_b64 s[0:1], s[2:3]
; %bb.98:
	v_bcnt_u32_b32 v1, v1, 0
	v_bcnt_u32_b32 v1, v2, v1
	ds_write_b32 v18, v1 offset:32
; %bb.99:
	s_or_b64 exec, exec, s[0:1]
	v_lshrrev_b32_sdwa v1, s48, v6 dst_sel:DWORD dst_unused:UNUSED_PAD src0_sel:DWORD src1_sel:BYTE_0
	v_and_b32_e32 v1, s12, v1
	v_mul_u32_u24_e32 v4, 36, v1
	v_mad_u32_u24 v2, v1, 36, v3
	v_cmp_ne_u32_e32 vcc, 0, v1
	v_add_co_u32_e64 v1, s[0:1], -1, v1
	; wave barrier
	ds_read_b32 v15, v2 offset:32
	v_addc_co_u32_e64 v2, s[0:1], 0, -1, s[0:1]
	v_xor_b32_e32 v1, vcc_lo, v1
	v_xor_b32_e32 v2, vcc_hi, v2
	v_and_b32_e32 v1, exec_lo, v1
	v_and_b32_e32 v2, exec_hi, v2
	v_mbcnt_lo_u32_b32 v16, v1, 0
	v_mbcnt_hi_u32_b32 v16, v2, v16
	v_cmp_ne_u64_e32 vcc, 0, v[1:2]
	v_cmp_eq_u32_e64 s[0:1], 0, v16
	s_and_b64 s[2:3], vcc, s[0:1]
	v_add_u32_e32 v21, v3, v4
	; wave barrier
	s_and_saveexec_b64 s[0:1], s[2:3]
	s_cbranch_execz .LBB180_101
; %bb.100:
	v_bcnt_u32_b32 v1, v1, 0
	v_bcnt_u32_b32 v1, v2, v1
	s_waitcnt lgkmcnt(0)
	v_add_u32_e32 v1, v15, v1
	ds_write_b32 v21, v1 offset:32
.LBB180_101:
	s_or_b64 exec, exec, s[0:1]
	v_lshrrev_b32_sdwa v1, s48, v7 dst_sel:DWORD dst_unused:UNUSED_PAD src0_sel:DWORD src1_sel:BYTE_0
	v_and_b32_e32 v1, s12, v1
	v_mul_u32_u24_e32 v4, 36, v1
	v_mad_u32_u24 v2, v1, 36, v3
	v_cmp_ne_u32_e32 vcc, 0, v1
	v_add_co_u32_e64 v1, s[0:1], -1, v1
	; wave barrier
	ds_read_b32 v19, v2 offset:32
	v_addc_co_u32_e64 v2, s[0:1], 0, -1, s[0:1]
	v_xor_b32_e32 v1, vcc_lo, v1
	v_xor_b32_e32 v2, vcc_hi, v2
	v_and_b32_e32 v1, exec_lo, v1
	v_and_b32_e32 v2, exec_hi, v2
	v_mbcnt_lo_u32_b32 v20, v1, 0
	v_mbcnt_hi_u32_b32 v20, v2, v20
	v_cmp_ne_u64_e32 vcc, 0, v[1:2]
	v_cmp_eq_u32_e64 s[0:1], 0, v20
	s_and_b64 s[2:3], vcc, s[0:1]
	v_add_u32_e32 v24, v3, v4
	; wave barrier
	s_and_saveexec_b64 s[0:1], s[2:3]
	s_cbranch_execz .LBB180_103
; %bb.102:
	v_bcnt_u32_b32 v1, v1, 0
	v_bcnt_u32_b32 v1, v2, v1
	s_waitcnt lgkmcnt(0)
	v_add_u32_e32 v1, v19, v1
	ds_write_b32 v24, v1 offset:32
.LBB180_103:
	;; [unrolled: 30-line block ×5, first 2 shown]
	s_or_b64 exec, exec, s[0:1]
	; wave barrier
	s_waitcnt lgkmcnt(0)
	s_barrier
	ds_read2_b32 v[3:4], v11 offset0:8 offset1:9
	ds_read2_b32 v[1:2], v11 offset0:10 offset1:11
	ds_read_b32 v32, v11 offset:48
	v_min_u32_e32 v17, 0x1c0, v17
	v_or_b32_e32 v17, 63, v17
	s_waitcnt lgkmcnt(1)
	v_add3_u32 v33, v4, v3, v1
	s_waitcnt lgkmcnt(0)
	v_add3_u32 v32, v33, v2, v32
	v_and_b32_e32 v33, 15, v10
	v_cmp_ne_u32_e32 vcc, 0, v33
	v_mov_b32_dpp v34, v32 row_shr:1 row_mask:0xf bank_mask:0xf
	v_cndmask_b32_e32 v34, 0, v34, vcc
	v_add_u32_e32 v32, v34, v32
	v_cmp_lt_u32_e32 vcc, 1, v33
	s_nop 0
	v_mov_b32_dpp v34, v32 row_shr:2 row_mask:0xf bank_mask:0xf
	v_cndmask_b32_e32 v34, 0, v34, vcc
	v_add_u32_e32 v32, v32, v34
	v_cmp_lt_u32_e32 vcc, 3, v33
	s_nop 0
	v_mov_b32_dpp v34, v32 row_shr:4 row_mask:0xf bank_mask:0xf
	v_cndmask_b32_e32 v34, 0, v34, vcc
	v_add_u32_e32 v32, v32, v34
	v_cmp_lt_u32_e32 vcc, 7, v33
	s_nop 0
	v_mov_b32_dpp v34, v32 row_shr:8 row_mask:0xf bank_mask:0xf
	v_cndmask_b32_e32 v33, 0, v34, vcc
	v_add_u32_e32 v32, v32, v33
	v_bfe_i32 v34, v10, 4, 1
	v_cmp_lt_u32_e32 vcc, 31, v10
	v_mov_b32_dpp v33, v32 row_bcast:15 row_mask:0xf bank_mask:0xf
	v_and_b32_e32 v33, v34, v33
	v_add_u32_e32 v32, v32, v33
	s_nop 1
	v_mov_b32_dpp v33, v32 row_bcast:31 row_mask:0xf bank_mask:0xf
	v_cndmask_b32_e32 v33, 0, v33, vcc
	v_add_u32_e32 v32, v32, v33
	v_lshrrev_b32_e32 v33, 6, v0
	v_cmp_eq_u32_e32 vcc, v0, v17
	s_and_saveexec_b64 s[0:1], vcc
; %bb.110:
	v_lshlrev_b32_e32 v17, 2, v33
	ds_write_b32 v17, v32
; %bb.111:
	s_or_b64 exec, exec, s[0:1]
	v_cmp_gt_u32_e32 vcc, 8, v0
	s_waitcnt lgkmcnt(0)
	s_barrier
	s_and_saveexec_b64 s[0:1], vcc
	s_cbranch_execz .LBB180_113
; %bb.112:
	v_lshlrev_b32_e32 v17, 2, v0
	ds_read_b32 v34, v17
	v_and_b32_e32 v35, 7, v10
	v_cmp_ne_u32_e32 vcc, 0, v35
	s_waitcnt lgkmcnt(0)
	v_mov_b32_dpp v36, v34 row_shr:1 row_mask:0xf bank_mask:0xf
	v_cndmask_b32_e32 v36, 0, v36, vcc
	v_add_u32_e32 v34, v36, v34
	v_cmp_lt_u32_e32 vcc, 1, v35
	s_nop 0
	v_mov_b32_dpp v36, v34 row_shr:2 row_mask:0xf bank_mask:0xf
	v_cndmask_b32_e32 v36, 0, v36, vcc
	v_add_u32_e32 v34, v34, v36
	v_cmp_lt_u32_e32 vcc, 3, v35
	s_nop 0
	v_mov_b32_dpp v36, v34 row_shr:4 row_mask:0xf bank_mask:0xf
	v_cndmask_b32_e32 v35, 0, v36, vcc
	v_add_u32_e32 v34, v34, v35
	ds_write_b32 v17, v34
.LBB180_113:
	s_or_b64 exec, exec, s[0:1]
	v_cmp_lt_u32_e32 vcc, 63, v0
	v_mov_b32_e32 v17, 0
	s_waitcnt lgkmcnt(0)
	s_barrier
	s_and_saveexec_b64 s[0:1], vcc
; %bb.114:
	v_lshl_add_u32 v17, v33, 2, -4
	ds_read_b32 v17, v17
; %bb.115:
	s_or_b64 exec, exec, s[0:1]
	v_subrev_co_u32_e32 v33, vcc, 1, v10
	v_and_b32_e32 v34, 64, v10
	v_cmp_lt_i32_e64 s[0:1], v33, v34
	v_cndmask_b32_e64 v33, v33, v10, s[0:1]
	s_waitcnt lgkmcnt(0)
	v_add_u32_e32 v32, v17, v32
	v_lshlrev_b32_e32 v33, 2, v33
	ds_bpermute_b32 v32, v33, v32
	s_movk_i32 s0, 0xff
	s_movk_i32 s2, 0x100
	s_waitcnt lgkmcnt(0)
	v_cndmask_b32_e32 v17, v32, v17, vcc
	v_cmp_ne_u32_e32 vcc, 0, v0
	v_cndmask_b32_e32 v17, 0, v17, vcc
	v_add_u32_e32 v3, v17, v3
	v_add_u32_e32 v4, v3, v4
	;; [unrolled: 1-line block ×4, first 2 shown]
	ds_write2_b32 v11, v17, v3 offset0:8 offset1:9
	ds_write2_b32 v11, v4, v1 offset0:10 offset1:11
	ds_write_b32 v11, v2 offset:48
	s_waitcnt lgkmcnt(0)
	s_barrier
	ds_read_b32 v3, v18 offset:32
	ds_read_b32 v4, v21 offset:32
	;; [unrolled: 1-line block ×6, first 2 shown]
	v_mov_b32_e32 v1, 0
	v_cmp_lt_u32_e32 vcc, s0, v0
	v_mov_b32_e32 v2, 0
	v_cmp_gt_u32_e64 s[0:1], s2, v0
                                        ; implicit-def: $vgpr11
	s_and_saveexec_b64 s[4:5], s[0:1]
	s_cbranch_execz .LBB180_119
; %bb.116:
	v_mul_u32_u24_e32 v1, 36, v0
	ds_read_b32 v1, v1 offset:32
	v_add_u32_e32 v11, 1, v0
	v_cmp_ne_u32_e64 s[2:3], s2, v11
	v_mov_b32_e32 v2, 0xc00
	s_and_saveexec_b64 s[8:9], s[2:3]
; %bb.117:
	v_mul_u32_u24_e32 v2, 36, v11
	ds_read_b32 v2, v2 offset:32
; %bb.118:
	s_or_b64 exec, exec, s[8:9]
	s_waitcnt lgkmcnt(0)
	v_sub_u32_e32 v11, v2, v1
	v_mov_b32_e32 v2, 0
.LBB180_119:
	s_or_b64 exec, exec, s[4:5]
	s_waitcnt lgkmcnt(5)
	v_add_u32_e32 v21, v3, v14
	s_waitcnt lgkmcnt(4)
	v_add3_u32 v18, v16, v15, v4
	s_waitcnt lgkmcnt(3)
	v_add3_u32 v17, v20, v19, v17
	;; [unrolled: 2-line block ×5, first 2 shown]
	s_barrier
	ds_write_b8 v21, v5 offset:2048
	ds_write_b8 v18, v6 offset:2048
	;; [unrolled: 1-line block ×6, first 2 shown]
	v_mov_b32_e32 v4, 0
	v_lshlrev_b32_e32 v12, 3, v0
	s_waitcnt lgkmcnt(0)
	s_barrier
	s_and_saveexec_b64 s[2:3], s[0:1]
	s_cbranch_execz .LBB180_129
; %bb.120:
	v_lshl_add_u32 v3, s6, 8, v0
	v_lshlrev_b64 v[5:6], 2, v[3:4]
	v_mov_b32_e32 v13, s35
	v_add_co_u32_e64 v5, s[0:1], s34, v5
	v_addc_co_u32_e64 v6, s[0:1], v13, v6, s[0:1]
	v_or_b32_e32 v3, 2.0, v11
	s_mov_b64 s[4:5], 0
	s_brev_b32 s13, -4
	s_mov_b32 s14, s6
	v_mov_b32_e32 v19, 0
	global_store_dword v[5:6], v3, off
                                        ; implicit-def: $sgpr0_sgpr1
	s_branch .LBB180_123
.LBB180_121:                            ;   in Loop: Header=BB180_123 Depth=1
	s_or_b64 exec, exec, s[10:11]
.LBB180_122:                            ;   in Loop: Header=BB180_123 Depth=1
	s_or_b64 exec, exec, s[8:9]
	v_and_b32_e32 v7, 0x3fffffff, v3
	v_add_u32_e32 v19, v7, v19
	v_cmp_gt_i32_e64 s[0:1], -2.0, v3
	s_and_b64 s[8:9], exec, s[0:1]
	s_or_b64 s[4:5], s[8:9], s[4:5]
	s_andn2_b64 exec, exec, s[4:5]
	s_cbranch_execz .LBB180_128
.LBB180_123:                            ; =>This Loop Header: Depth=1
                                        ;     Child Loop BB180_126 Depth 2
	s_or_b64 s[0:1], s[0:1], exec
	s_cmp_eq_u32 s14, 0
	s_cbranch_scc1 .LBB180_127
; %bb.124:                              ;   in Loop: Header=BB180_123 Depth=1
	s_add_i32 s14, s14, -1
	v_lshl_or_b32 v3, s14, 8, v0
	v_lshlrev_b64 v[7:8], 2, v[3:4]
	v_add_co_u32_e64 v7, s[0:1], s34, v7
	v_addc_co_u32_e64 v8, s[0:1], v13, v8, s[0:1]
	global_load_dword v3, v[7:8], off glc
	s_waitcnt vmcnt(0)
	v_cmp_gt_u32_e64 s[0:1], 2.0, v3
	s_and_saveexec_b64 s[8:9], s[0:1]
	s_cbranch_execz .LBB180_122
; %bb.125:                              ;   in Loop: Header=BB180_123 Depth=1
	s_mov_b64 s[10:11], 0
.LBB180_126:                            ;   Parent Loop BB180_123 Depth=1
                                        ; =>  This Inner Loop Header: Depth=2
	global_load_dword v3, v[7:8], off glc
	s_waitcnt vmcnt(0)
	v_cmp_lt_u32_e64 s[0:1], s13, v3
	s_or_b64 s[10:11], s[0:1], s[10:11]
	s_andn2_b64 exec, exec, s[10:11]
	s_cbranch_execnz .LBB180_126
	s_branch .LBB180_121
.LBB180_127:                            ;   in Loop: Header=BB180_123 Depth=1
                                        ; implicit-def: $sgpr14
	s_and_b64 s[8:9], exec, s[0:1]
	s_or_b64 s[4:5], s[8:9], s[4:5]
	s_andn2_b64 exec, exec, s[4:5]
	s_cbranch_execnz .LBB180_123
.LBB180_128:
	s_or_b64 exec, exec, s[4:5]
	v_add_u32_e32 v3, v19, v11
	v_or_b32_e32 v3, 0x80000000, v3
	global_store_dword v[5:6], v3, off
	global_load_dwordx2 v[3:4], v12, s[44:45]
	v_sub_co_u32_e64 v5, s[0:1], v19, v1
	v_subb_co_u32_e64 v6, s[0:1], 0, v2, s[0:1]
	s_waitcnt vmcnt(0)
	v_add_co_u32_e64 v3, s[0:1], v5, v3
	v_addc_co_u32_e64 v4, s[0:1], v6, v4, s[0:1]
	ds_write_b64 v12, v[3:4]
.LBB180_129:
	s_or_b64 exec, exec, s[2:3]
	s_waitcnt lgkmcnt(0)
	s_barrier
	ds_read_u8 v13, v0 offset:2048
	ds_read_u8 v32, v0 offset:2560
	;; [unrolled: 1-line block ×6, first 2 shown]
	s_waitcnt lgkmcnt(5)
	v_and_b32_e32 v3, 1, v13
	v_lshrrev_b32_e32 v3, s48, v3
	v_and_b32_e32 v3, s12, v3
	v_lshlrev_b32_e32 v37, 3, v3
	s_waitcnt lgkmcnt(4)
	v_and_b32_e32 v3, 1, v32
	v_lshrrev_b32_e32 v3, s48, v3
	v_and_b32_e32 v3, s12, v3
	v_lshlrev_b32_e32 v39, 3, v3
	;; [unrolled: 5-line block ×3, first 2 shown]
	s_waitcnt lgkmcnt(2)
	v_and_b32_e32 v3, 1, v34
	v_lshrrev_b32_e32 v3, s48, v3
	s_lshl_b64 s[0:1], s[30:31], 3
	v_and_b32_e32 v3, s12, v3
	s_add_u32 s0, s40, s0
	v_lshlrev_b32_e32 v41, 3, v3
	s_addc_u32 s1, s41, s1
	v_lshlrev_b32_e32 v3, 3, v10
	v_mov_b32_e32 v4, s1
	v_add_co_u32_e64 v3, s[0:1], s0, v3
	v_addc_co_u32_e64 v4, s[0:1], 0, v4, s[0:1]
	v_lshlrev_b32_e32 v5, 3, v9
	v_add_co_u32_e64 v3, s[0:1], v3, v5
	v_addc_co_u32_e64 v4, s[0:1], 0, v4, s[0:1]
	global_load_dwordx2 v[5:6], v[3:4], off
	ds_read_b64 v[7:8], v37
	ds_read_b64 v[9:10], v39
	;; [unrolled: 1-line block ×4, first 2 shown]
	global_load_dwordx2 v[24:25], v[3:4], off offset:512
	global_load_dwordx2 v[26:27], v[3:4], off offset:1024
	;; [unrolled: 1-line block ×4, first 2 shown]
	v_mov_b32_e32 v38, s39
	global_load_dwordx2 v[3:4], v[3:4], off offset:2560
	s_waitcnt lgkmcnt(3)
	v_add_co_u32_e64 v7, s[0:1], s38, v7
	v_addc_co_u32_e64 v8, s[0:1], v38, v8, s[0:1]
	v_add_co_u32_e64 v7, s[0:1], v7, v0
	v_addc_co_u32_e64 v8, s[0:1], 0, v8, s[0:1]
	global_store_byte v[7:8], v13, off
	v_mov_b32_e32 v7, s39
	s_waitcnt lgkmcnt(2)
	v_add_co_u32_e64 v8, s[0:1], s38, v9
	v_addc_co_u32_e64 v9, s[0:1], v7, v10, s[0:1]
	v_add_co_u32_e64 v7, s[0:1], v8, v0
	v_addc_co_u32_e64 v8, s[0:1], 0, v9, s[0:1]
	global_store_byte v[7:8], v32, off offset:512
	v_mov_b32_e32 v7, s39
	s_waitcnt lgkmcnt(1)
	v_add_co_u32_e64 v8, s[0:1], s38, v19
	v_addc_co_u32_e64 v9, s[0:1], v7, v20, s[0:1]
	v_add_co_u32_e64 v7, s[0:1], v8, v0
	v_addc_co_u32_e64 v8, s[0:1], 0, v9, s[0:1]
	global_store_byte v[7:8], v33, off offset:1024
	;; [unrolled: 7-line block ×3, first 2 shown]
	v_and_b32_e32 v7, 1, v35
	v_lshrrev_b32_e32 v7, s48, v7
	v_and_b32_e32 v7, s12, v7
	v_lshlrev_b32_e32 v19, 3, v7
	ds_read_b64 v[7:8], v19
	v_and_b32_e32 v9, 1, v36
	v_lshrrev_b32_e32 v9, s48, v9
	v_and_b32_e32 v9, s12, v9
	v_lshlrev_b32_e32 v20, 3, v9
	ds_read_b64 v[9:10], v20
	v_mov_b32_e32 v13, s39
	s_waitcnt lgkmcnt(1)
	v_add_co_u32_e64 v7, s[0:1], s38, v7
	v_addc_co_u32_e64 v8, s[0:1], v13, v8, s[0:1]
	v_add_co_u32_e64 v7, s[0:1], v7, v0
	v_addc_co_u32_e64 v8, s[0:1], 0, v8, s[0:1]
	global_store_byte v[7:8], v35, off offset:2048
	v_mov_b32_e32 v7, s39
	s_waitcnt lgkmcnt(0)
	v_add_co_u32_e64 v8, s[0:1], s38, v9
	v_addc_co_u32_e64 v9, s[0:1], v7, v10, s[0:1]
	v_add_co_u32_e64 v7, s[0:1], v8, v0
	v_addc_co_u32_e64 v8, s[0:1], 0, v9, s[0:1]
	global_store_byte v[7:8], v36, off offset:2560
	v_lshlrev_b32_e32 v7, 3, v21
	s_waitcnt vmcnt(0)
	s_barrier
	v_mad_u32_u24 v0, v0, 7, v0
	s_add_i32 s7, s7, -1
	ds_write_b64 v7, v[5:6] offset:2048
	v_lshlrev_b32_e32 v5, 3, v18
	ds_write_b64 v5, v[24:25] offset:2048
	v_lshlrev_b32_e32 v5, 3, v17
	;; [unrolled: 2-line block ×5, first 2 shown]
	ds_write_b64 v5, v[3:4] offset:2048
	s_waitcnt lgkmcnt(0)
	s_barrier
	ds_read_b64 v[7:8], v37
	ds_read2st64_b64 v[3:6], v0 offset0:4 offset1:12
	ds_read_b64 v[9:10], v39
	ds_read_b64 v[13:14], v40
	;; [unrolled: 1-line block ×3, first 2 shown]
	s_waitcnt lgkmcnt(4)
	v_lshlrev_b64 v[7:8], 3, v[7:8]
	v_mov_b32_e32 v17, s43
	v_add_co_u32_e64 v7, s[0:1], s42, v7
	v_addc_co_u32_e64 v8, s[0:1], v17, v8, s[0:1]
	v_add_co_u32_e64 v7, s[0:1], v7, v12
	v_addc_co_u32_e64 v8, s[0:1], 0, v8, s[0:1]
	s_waitcnt lgkmcnt(3)
	global_store_dwordx2 v[7:8], v[3:4], off
	s_waitcnt lgkmcnt(2)
	v_lshlrev_b64 v[3:4], 3, v[9:10]
	v_mov_b32_e32 v7, s43
	v_add_co_u32_e64 v3, s[0:1], s42, v3
	v_addc_co_u32_e64 v4, s[0:1], v7, v4, s[0:1]
	v_or_b32_e32 v7, 0x1000, v12
	v_add_co_u32_e64 v3, s[0:1], v3, v7
	v_addc_co_u32_e64 v4, s[0:1], 0, v4, s[0:1]
	s_waitcnt lgkmcnt(1)
	v_lshlrev_b64 v[7:8], 3, v[13:14]
	global_store_dwordx2 v[3:4], v[5:6], off
	ds_read2st64_b64 v[3:6], v0 offset0:20 offset1:28
	v_mov_b32_e32 v9, s43
	v_add_co_u32_e64 v7, s[0:1], s42, v7
	v_addc_co_u32_e64 v8, s[0:1], v9, v8, s[0:1]
	v_or_b32_e32 v9, 0x2000, v12
	v_add_co_u32_e64 v7, s[0:1], v7, v9
	v_addc_co_u32_e64 v8, s[0:1], 0, v8, s[0:1]
	s_waitcnt lgkmcnt(0)
	global_store_dwordx2 v[7:8], v[3:4], off
	v_lshlrev_b64 v[3:4], 3, v[15:16]
	v_mov_b32_e32 v7, s43
	v_add_co_u32_e64 v3, s[0:1], s42, v3
	v_addc_co_u32_e64 v4, s[0:1], v7, v4, s[0:1]
	ds_read_b64 v[7:8], v19
	v_or_b32_e32 v9, 0x3000, v12
	v_add_co_u32_e64 v3, s[0:1], v3, v9
	v_addc_co_u32_e64 v4, s[0:1], 0, v4, s[0:1]
	global_store_dwordx2 v[3:4], v[5:6], off
	s_waitcnt lgkmcnt(0)
	v_lshlrev_b64 v[7:8], 3, v[7:8]
	ds_read2st64_b64 v[3:6], v0 offset0:36 offset1:44
	ds_read_b64 v[9:10], v20
	v_mov_b32_e32 v0, s43
	v_add_co_u32_e64 v7, s[0:1], s42, v7
	v_addc_co_u32_e64 v0, s[0:1], v0, v8, s[0:1]
	v_or_b32_e32 v8, 0x4000, v12
	v_add_co_u32_e64 v7, s[0:1], v7, v8
	v_addc_co_u32_e64 v8, s[0:1], 0, v0, s[0:1]
	s_waitcnt lgkmcnt(1)
	global_store_dwordx2 v[7:8], v[3:4], off
	s_waitcnt lgkmcnt(0)
	v_lshlrev_b64 v[3:4], 3, v[9:10]
	v_mov_b32_e32 v0, s43
	v_add_co_u32_e64 v3, s[0:1], s42, v3
	v_addc_co_u32_e64 v0, s[0:1], v0, v4, s[0:1]
	v_or_b32_e32 v4, 0x5000, v12
	v_add_co_u32_e64 v3, s[0:1], v3, v4
	v_addc_co_u32_e64 v4, s[0:1], 0, v0, s[0:1]
	s_cmp_eq_u32 s6, s7
	s_cselect_b64 s[0:1], -1, 0
	s_xor_b64 s[2:3], vcc, -1
	s_and_b64 s[0:1], s[2:3], s[0:1]
	global_store_dwordx2 v[3:4], v[5:6], off
	s_and_saveexec_b64 s[2:3], s[0:1]
	s_cbranch_execz .LBB180_131
; %bb.130:
	ds_read_b64 v[3:4], v12
	v_add_co_u32_e32 v0, vcc, v1, v11
	v_addc_co_u32_e32 v1, vcc, 0, v2, vcc
	s_waitcnt lgkmcnt(0)
	v_add_co_u32_e32 v0, vcc, v0, v3
	v_addc_co_u32_e32 v1, vcc, v1, v4, vcc
	global_store_dwordx2 v12, v[0:1], s[46:47]
.LBB180_131:
	s_endpgm
	.section	.rodata,"a",@progbits
	.p2align	6, 0x0
	.amdhsa_kernel _ZN7rocprim17ROCPRIM_304000_NS6detail25onesweep_iteration_kernelINS1_34wrapped_radix_sort_onesweep_configINS0_14default_configEbN2at4cuda3cub6detail10OpaqueTypeILi8EEEEELb0EPKbPbPKSA_PSA_mNS0_19identity_decomposerEEEvT1_T2_T3_T4_jPT5_SO_PNS1_23onesweep_lookback_stateET6_jjj
		.amdhsa_group_segment_fixed_size 26624
		.amdhsa_private_segment_fixed_size 0
		.amdhsa_kernarg_size 336
		.amdhsa_user_sgpr_count 6
		.amdhsa_user_sgpr_private_segment_buffer 1
		.amdhsa_user_sgpr_dispatch_ptr 0
		.amdhsa_user_sgpr_queue_ptr 0
		.amdhsa_user_sgpr_kernarg_segment_ptr 1
		.amdhsa_user_sgpr_dispatch_id 0
		.amdhsa_user_sgpr_flat_scratch_init 0
		.amdhsa_user_sgpr_private_segment_size 0
		.amdhsa_uses_dynamic_stack 0
		.amdhsa_system_sgpr_private_segment_wavefront_offset 0
		.amdhsa_system_sgpr_workgroup_id_x 1
		.amdhsa_system_sgpr_workgroup_id_y 0
		.amdhsa_system_sgpr_workgroup_id_z 0
		.amdhsa_system_sgpr_workgroup_info 0
		.amdhsa_system_vgpr_workitem_id 2
		.amdhsa_next_free_vgpr 49
		.amdhsa_next_free_sgpr 98
		.amdhsa_reserve_vcc 1
		.amdhsa_reserve_flat_scratch 0
		.amdhsa_float_round_mode_32 0
		.amdhsa_float_round_mode_16_64 0
		.amdhsa_float_denorm_mode_32 3
		.amdhsa_float_denorm_mode_16_64 3
		.amdhsa_dx10_clamp 1
		.amdhsa_ieee_mode 1
		.amdhsa_fp16_overflow 0
		.amdhsa_exception_fp_ieee_invalid_op 0
		.amdhsa_exception_fp_denorm_src 0
		.amdhsa_exception_fp_ieee_div_zero 0
		.amdhsa_exception_fp_ieee_overflow 0
		.amdhsa_exception_fp_ieee_underflow 0
		.amdhsa_exception_fp_ieee_inexact 0
		.amdhsa_exception_int_div_zero 0
	.end_amdhsa_kernel
	.section	.text._ZN7rocprim17ROCPRIM_304000_NS6detail25onesweep_iteration_kernelINS1_34wrapped_radix_sort_onesweep_configINS0_14default_configEbN2at4cuda3cub6detail10OpaqueTypeILi8EEEEELb0EPKbPbPKSA_PSA_mNS0_19identity_decomposerEEEvT1_T2_T3_T4_jPT5_SO_PNS1_23onesweep_lookback_stateET6_jjj,"axG",@progbits,_ZN7rocprim17ROCPRIM_304000_NS6detail25onesweep_iteration_kernelINS1_34wrapped_radix_sort_onesweep_configINS0_14default_configEbN2at4cuda3cub6detail10OpaqueTypeILi8EEEEELb0EPKbPbPKSA_PSA_mNS0_19identity_decomposerEEEvT1_T2_T3_T4_jPT5_SO_PNS1_23onesweep_lookback_stateET6_jjj,comdat
.Lfunc_end180:
	.size	_ZN7rocprim17ROCPRIM_304000_NS6detail25onesweep_iteration_kernelINS1_34wrapped_radix_sort_onesweep_configINS0_14default_configEbN2at4cuda3cub6detail10OpaqueTypeILi8EEEEELb0EPKbPbPKSA_PSA_mNS0_19identity_decomposerEEEvT1_T2_T3_T4_jPT5_SO_PNS1_23onesweep_lookback_stateET6_jjj, .Lfunc_end180-_ZN7rocprim17ROCPRIM_304000_NS6detail25onesweep_iteration_kernelINS1_34wrapped_radix_sort_onesweep_configINS0_14default_configEbN2at4cuda3cub6detail10OpaqueTypeILi8EEEEELb0EPKbPbPKSA_PSA_mNS0_19identity_decomposerEEEvT1_T2_T3_T4_jPT5_SO_PNS1_23onesweep_lookback_stateET6_jjj
                                        ; -- End function
	.set _ZN7rocprim17ROCPRIM_304000_NS6detail25onesweep_iteration_kernelINS1_34wrapped_radix_sort_onesweep_configINS0_14default_configEbN2at4cuda3cub6detail10OpaqueTypeILi8EEEEELb0EPKbPbPKSA_PSA_mNS0_19identity_decomposerEEEvT1_T2_T3_T4_jPT5_SO_PNS1_23onesweep_lookback_stateET6_jjj.num_vgpr, 42
	.set _ZN7rocprim17ROCPRIM_304000_NS6detail25onesweep_iteration_kernelINS1_34wrapped_radix_sort_onesweep_configINS0_14default_configEbN2at4cuda3cub6detail10OpaqueTypeILi8EEEEELb0EPKbPbPKSA_PSA_mNS0_19identity_decomposerEEEvT1_T2_T3_T4_jPT5_SO_PNS1_23onesweep_lookback_stateET6_jjj.num_agpr, 0
	.set _ZN7rocprim17ROCPRIM_304000_NS6detail25onesweep_iteration_kernelINS1_34wrapped_radix_sort_onesweep_configINS0_14default_configEbN2at4cuda3cub6detail10OpaqueTypeILi8EEEEELb0EPKbPbPKSA_PSA_mNS0_19identity_decomposerEEEvT1_T2_T3_T4_jPT5_SO_PNS1_23onesweep_lookback_stateET6_jjj.numbered_sgpr, 52
	.set _ZN7rocprim17ROCPRIM_304000_NS6detail25onesweep_iteration_kernelINS1_34wrapped_radix_sort_onesweep_configINS0_14default_configEbN2at4cuda3cub6detail10OpaqueTypeILi8EEEEELb0EPKbPbPKSA_PSA_mNS0_19identity_decomposerEEEvT1_T2_T3_T4_jPT5_SO_PNS1_23onesweep_lookback_stateET6_jjj.num_named_barrier, 0
	.set _ZN7rocprim17ROCPRIM_304000_NS6detail25onesweep_iteration_kernelINS1_34wrapped_radix_sort_onesweep_configINS0_14default_configEbN2at4cuda3cub6detail10OpaqueTypeILi8EEEEELb0EPKbPbPKSA_PSA_mNS0_19identity_decomposerEEEvT1_T2_T3_T4_jPT5_SO_PNS1_23onesweep_lookback_stateET6_jjj.private_seg_size, 0
	.set _ZN7rocprim17ROCPRIM_304000_NS6detail25onesweep_iteration_kernelINS1_34wrapped_radix_sort_onesweep_configINS0_14default_configEbN2at4cuda3cub6detail10OpaqueTypeILi8EEEEELb0EPKbPbPKSA_PSA_mNS0_19identity_decomposerEEEvT1_T2_T3_T4_jPT5_SO_PNS1_23onesweep_lookback_stateET6_jjj.uses_vcc, 1
	.set _ZN7rocprim17ROCPRIM_304000_NS6detail25onesweep_iteration_kernelINS1_34wrapped_radix_sort_onesweep_configINS0_14default_configEbN2at4cuda3cub6detail10OpaqueTypeILi8EEEEELb0EPKbPbPKSA_PSA_mNS0_19identity_decomposerEEEvT1_T2_T3_T4_jPT5_SO_PNS1_23onesweep_lookback_stateET6_jjj.uses_flat_scratch, 0
	.set _ZN7rocprim17ROCPRIM_304000_NS6detail25onesweep_iteration_kernelINS1_34wrapped_radix_sort_onesweep_configINS0_14default_configEbN2at4cuda3cub6detail10OpaqueTypeILi8EEEEELb0EPKbPbPKSA_PSA_mNS0_19identity_decomposerEEEvT1_T2_T3_T4_jPT5_SO_PNS1_23onesweep_lookback_stateET6_jjj.has_dyn_sized_stack, 0
	.set _ZN7rocprim17ROCPRIM_304000_NS6detail25onesweep_iteration_kernelINS1_34wrapped_radix_sort_onesweep_configINS0_14default_configEbN2at4cuda3cub6detail10OpaqueTypeILi8EEEEELb0EPKbPbPKSA_PSA_mNS0_19identity_decomposerEEEvT1_T2_T3_T4_jPT5_SO_PNS1_23onesweep_lookback_stateET6_jjj.has_recursion, 0
	.set _ZN7rocprim17ROCPRIM_304000_NS6detail25onesweep_iteration_kernelINS1_34wrapped_radix_sort_onesweep_configINS0_14default_configEbN2at4cuda3cub6detail10OpaqueTypeILi8EEEEELb0EPKbPbPKSA_PSA_mNS0_19identity_decomposerEEEvT1_T2_T3_T4_jPT5_SO_PNS1_23onesweep_lookback_stateET6_jjj.has_indirect_call, 0
	.section	.AMDGPU.csdata,"",@progbits
; Kernel info:
; codeLenInByte = 7972
; TotalNumSgprs: 56
; NumVgprs: 42
; ScratchSize: 0
; MemoryBound: 0
; FloatMode: 240
; IeeeMode: 1
; LDSByteSize: 26624 bytes/workgroup (compile time only)
; SGPRBlocks: 12
; VGPRBlocks: 12
; NumSGPRsForWavesPerEU: 102
; NumVGPRsForWavesPerEU: 49
; Occupancy: 4
; WaveLimiterHint : 1
; COMPUTE_PGM_RSRC2:SCRATCH_EN: 0
; COMPUTE_PGM_RSRC2:USER_SGPR: 6
; COMPUTE_PGM_RSRC2:TRAP_HANDLER: 0
; COMPUTE_PGM_RSRC2:TGID_X_EN: 1
; COMPUTE_PGM_RSRC2:TGID_Y_EN: 0
; COMPUTE_PGM_RSRC2:TGID_Z_EN: 0
; COMPUTE_PGM_RSRC2:TIDIG_COMP_CNT: 2
	.section	.text._ZN7rocprim17ROCPRIM_304000_NS6detail25onesweep_iteration_kernelINS1_34wrapped_radix_sort_onesweep_configINS0_14default_configEbN2at4cuda3cub6detail10OpaqueTypeILi8EEEEELb0EPbSC_PSA_SD_mNS0_19identity_decomposerEEEvT1_T2_T3_T4_jPT5_SK_PNS1_23onesweep_lookback_stateET6_jjj,"axG",@progbits,_ZN7rocprim17ROCPRIM_304000_NS6detail25onesweep_iteration_kernelINS1_34wrapped_radix_sort_onesweep_configINS0_14default_configEbN2at4cuda3cub6detail10OpaqueTypeILi8EEEEELb0EPbSC_PSA_SD_mNS0_19identity_decomposerEEEvT1_T2_T3_T4_jPT5_SK_PNS1_23onesweep_lookback_stateET6_jjj,comdat
	.protected	_ZN7rocprim17ROCPRIM_304000_NS6detail25onesweep_iteration_kernelINS1_34wrapped_radix_sort_onesweep_configINS0_14default_configEbN2at4cuda3cub6detail10OpaqueTypeILi8EEEEELb0EPbSC_PSA_SD_mNS0_19identity_decomposerEEEvT1_T2_T3_T4_jPT5_SK_PNS1_23onesweep_lookback_stateET6_jjj ; -- Begin function _ZN7rocprim17ROCPRIM_304000_NS6detail25onesweep_iteration_kernelINS1_34wrapped_radix_sort_onesweep_configINS0_14default_configEbN2at4cuda3cub6detail10OpaqueTypeILi8EEEEELb0EPbSC_PSA_SD_mNS0_19identity_decomposerEEEvT1_T2_T3_T4_jPT5_SK_PNS1_23onesweep_lookback_stateET6_jjj
	.globl	_ZN7rocprim17ROCPRIM_304000_NS6detail25onesweep_iteration_kernelINS1_34wrapped_radix_sort_onesweep_configINS0_14default_configEbN2at4cuda3cub6detail10OpaqueTypeILi8EEEEELb0EPbSC_PSA_SD_mNS0_19identity_decomposerEEEvT1_T2_T3_T4_jPT5_SK_PNS1_23onesweep_lookback_stateET6_jjj
	.p2align	8
	.type	_ZN7rocprim17ROCPRIM_304000_NS6detail25onesweep_iteration_kernelINS1_34wrapped_radix_sort_onesweep_configINS0_14default_configEbN2at4cuda3cub6detail10OpaqueTypeILi8EEEEELb0EPbSC_PSA_SD_mNS0_19identity_decomposerEEEvT1_T2_T3_T4_jPT5_SK_PNS1_23onesweep_lookback_stateET6_jjj,@function
_ZN7rocprim17ROCPRIM_304000_NS6detail25onesweep_iteration_kernelINS1_34wrapped_radix_sort_onesweep_configINS0_14default_configEbN2at4cuda3cub6detail10OpaqueTypeILi8EEEEELb0EPbSC_PSA_SD_mNS0_19identity_decomposerEEEvT1_T2_T3_T4_jPT5_SK_PNS1_23onesweep_lookback_stateET6_jjj: ; @_ZN7rocprim17ROCPRIM_304000_NS6detail25onesweep_iteration_kernelINS1_34wrapped_radix_sort_onesweep_configINS0_14default_configEbN2at4cuda3cub6detail10OpaqueTypeILi8EEEEELb0EPbSC_PSA_SD_mNS0_19identity_decomposerEEEvT1_T2_T3_T4_jPT5_SK_PNS1_23onesweep_lookback_stateET6_jjj
; %bb.0:
	s_load_dwordx4 s[48:51], s[4:5], 0x44
	s_load_dwordx8 s[36:43], s[4:5], 0x0
	s_load_dwordx4 s[44:47], s[4:5], 0x28
	s_load_dwordx2 s[34:35], s[4:5], 0x38
	s_mov_b64 s[0:1], -1
	s_waitcnt lgkmcnt(0)
	s_cmp_ge_u32 s6, s50
	s_mul_i32 s30, s6, 0xc00
	v_mbcnt_lo_u32_b32 v19, -1, 0
	s_cbranch_scc0 .LBB181_96
; %bb.1:
	s_load_dword s0, s[4:5], 0x20
	s_mulk_i32 s50, 0xf400
	v_mbcnt_hi_u32_b32 v12, -1, v19
	v_and_b32_e32 v15, 0x1c0, v0
	v_mul_u32_u24_e32 v11, 6, v15
	s_waitcnt lgkmcnt(0)
	s_add_i32 s50, s50, s0
	s_add_u32 s0, s36, s30
	s_addc_u32 s1, s37, 0
	v_mov_b32_e32 v3, s1
	v_add_co_u32_e32 v4, vcc, s0, v12
	v_addc_co_u32_e32 v5, vcc, 0, v3, vcc
	v_add_co_u32_e32 v3, vcc, v4, v11
	v_addc_co_u32_e32 v4, vcc, 0, v5, vcc
	v_or_b32_e32 v5, v12, v11
	s_mov_b32 s31, 0
	v_cmp_gt_u32_e32 vcc, s50, v5
	v_mov_b32_e32 v16, 1
	v_mov_b32_e32 v7, 1
	;; [unrolled: 1-line block ×3, first 2 shown]
	s_and_saveexec_b64 s[0:1], vcc
	s_cbranch_execz .LBB181_3
; %bb.2:
	global_load_ubyte v8, v[3:4], off
	s_waitcnt vmcnt(0)
	v_and_b32_e32 v16, 1, v8
.LBB181_3:
	s_or_b64 exec, exec, s[0:1]
	v_add_u32_e32 v6, 64, v5
	v_cmp_gt_u32_e64 s[0:1], s50, v6
	v_mov_b32_e32 v18, 1
	s_and_saveexec_b64 s[2:3], s[0:1]
	s_cbranch_execz .LBB181_5
; %bb.4:
	global_load_ubyte v7, v[3:4], off offset:64
	s_waitcnt vmcnt(0)
	v_and_b32_e32 v18, 1, v7
.LBB181_5:
	s_or_b64 exec, exec, s[2:3]
	v_add_u32_e32 v6, 0x80, v5
	v_cmp_gt_u32_e64 s[2:3], s50, v6
	v_mov_b32_e32 v22, 1
	v_mov_b32_e32 v9, 1
	;; [unrolled: 1-line block ×3, first 2 shown]
	s_and_saveexec_b64 s[8:9], s[2:3]
	s_cbranch_execz .LBB181_7
; %bb.6:
	global_load_ubyte v10, v[3:4], off offset:128
	s_waitcnt vmcnt(0)
	v_and_b32_e32 v22, 1, v10
.LBB181_7:
	s_or_b64 exec, exec, s[8:9]
	v_add_u32_e32 v6, 0xc0, v5
	v_cmp_gt_u32_e64 s[26:27], s50, v6
	v_mov_b32_e32 v26, 1
	s_and_saveexec_b64 s[8:9], s[26:27]
	s_cbranch_execz .LBB181_9
; %bb.8:
	global_load_ubyte v9, v[3:4], off offset:192
	s_waitcnt vmcnt(0)
	v_and_b32_e32 v26, 1, v9
.LBB181_9:
	s_or_b64 exec, exec, s[8:9]
	v_add_u32_e32 v6, 0x100, v5
	v_cmp_gt_u32_e64 s[8:9], s50, v6
	v_mov_b32_e32 v6, 1
	v_mov_b32_e32 v13, 1
	;; [unrolled: 1-line block ×3, first 2 shown]
	s_and_saveexec_b64 s[10:11], s[8:9]
	s_cbranch_execz .LBB181_11
; %bb.10:
	global_load_ubyte v14, v[3:4], off offset:256
	s_waitcnt vmcnt(0)
	v_and_b32_e32 v6, 1, v14
.LBB181_11:
	s_or_b64 exec, exec, s[10:11]
	v_add_u32_e32 v5, 0x140, v5
	v_cmp_gt_u32_e64 s[10:11], s50, v5
	v_mov_b32_e32 v5, 1
	s_and_saveexec_b64 s[12:13], s[10:11]
	s_cbranch_execz .LBB181_13
; %bb.12:
	global_load_ubyte v13, v[3:4], off offset:320
	s_waitcnt vmcnt(0)
	v_and_b32_e32 v5, 1, v13
.LBB181_13:
	s_or_b64 exec, exec, s[12:13]
	s_load_dword s12, s[4:5], 0x5c
	s_load_dword s7, s[4:5], 0x50
	s_add_u32 s13, s4, 0x50
	s_addc_u32 s14, s5, 0
	v_mov_b32_e32 v3, 0
	s_waitcnt lgkmcnt(0)
	s_lshr_b32 s15, s12, 16
	s_cmp_lt_u32 s6, s7
	s_cselect_b32 s12, 12, 18
	s_add_u32 s12, s13, s12
	s_addc_u32 s13, s14, 0
	global_load_ushort v20, v3, s[12:13]
	s_lshl_b32 s12, -1, s49
	v_mul_u32_u24_e32 v17, 20, v0
	v_lshrrev_b32_e32 v4, s48, v16
	s_not_b32 s33, s12
	ds_write2_b32 v17, v3, v3 offset0:8 offset1:9
	ds_write2_b32 v17, v3, v3 offset0:10 offset1:11
	ds_write_b32 v17, v3 offset:48
	v_and_b32_e32 v3, s33, v4
	v_mad_u32_u24 v16, v2, s15, v1
	v_mul_u32_u24_e32 v23, 36, v3
	v_cmp_ne_u32_e64 s[12:13], 0, v3
	v_add_co_u32_e64 v3, s[14:15], -1, v3
	v_addc_co_u32_e64 v4, s[14:15], 0, -1, s[14:15]
	v_xor_b32_e32 v4, s13, v4
	v_xor_b32_e32 v3, s12, v3
	v_and_b32_e32 v3, exec_lo, v3
	v_and_b32_e32 v4, exec_hi, v4
	v_mbcnt_lo_u32_b32 v24, v3, 0
	s_waitcnt vmcnt(0) lgkmcnt(0)
	s_barrier
	; wave barrier
	v_mad_u64_u32 v[20:21], s[12:13], v16, v20, v[0:1]
	v_cmp_ne_u64_e64 s[12:13], 0, v[3:4]
	v_mbcnt_hi_u32_b32 v16, v4, v24
	v_lshrrev_b32_e32 v20, 4, v20
	v_cmp_eq_u32_e64 s[14:15], 0, v16
	v_and_b32_e32 v27, 0xffffffc, v20
	s_and_b64 s[14:15], s[12:13], s[14:15]
	v_add_u32_e32 v20, v27, v23
	s_and_saveexec_b64 s[12:13], s[14:15]
; %bb.14:
	v_bcnt_u32_b32 v3, v3, 0
	v_bcnt_u32_b32 v3, v4, v3
	ds_write_b32 v20, v3 offset:32
; %bb.15:
	s_or_b64 exec, exec, s[12:13]
	v_lshrrev_b32_e32 v3, s48, v18
	v_and_b32_e32 v3, s33, v3
	v_mul_u32_u24_e32 v23, 36, v3
	v_mad_u32_u24 v4, v3, 36, v27
	v_cmp_ne_u32_e64 s[12:13], 0, v3
	v_add_co_u32_e64 v3, s[14:15], -1, v3
	; wave barrier
	ds_read_b32 v18, v4 offset:32
	v_addc_co_u32_e64 v4, s[14:15], 0, -1, s[14:15]
	v_xor_b32_e32 v3, s12, v3
	v_xor_b32_e32 v4, s13, v4
	v_and_b32_e32 v3, exec_lo, v3
	v_and_b32_e32 v4, exec_hi, v4
	v_mbcnt_lo_u32_b32 v21, v3, 0
	v_mbcnt_hi_u32_b32 v21, v4, v21
	v_cmp_ne_u64_e64 s[12:13], 0, v[3:4]
	v_cmp_eq_u32_e64 s[14:15], 0, v21
	s_and_b64 s[14:15], s[12:13], s[14:15]
	v_add_u32_e32 v24, v27, v23
	; wave barrier
	s_and_saveexec_b64 s[12:13], s[14:15]
	s_cbranch_execz .LBB181_17
; %bb.16:
	v_bcnt_u32_b32 v3, v3, 0
	v_bcnt_u32_b32 v3, v4, v3
	s_waitcnt lgkmcnt(0)
	v_add_u32_e32 v3, v18, v3
	ds_write_b32 v24, v3 offset:32
.LBB181_17:
	s_or_b64 exec, exec, s[12:13]
	v_lshrrev_b32_e32 v3, s48, v22
	v_and_b32_e32 v3, s33, v3
	v_mul_u32_u24_e32 v25, 36, v3
	v_mad_u32_u24 v4, v3, 36, v27
	v_cmp_ne_u32_e64 s[12:13], 0, v3
	v_add_co_u32_e64 v3, s[14:15], -1, v3
	; wave barrier
	ds_read_b32 v22, v4 offset:32
	v_addc_co_u32_e64 v4, s[14:15], 0, -1, s[14:15]
	v_xor_b32_e32 v3, s12, v3
	v_xor_b32_e32 v4, s13, v4
	v_and_b32_e32 v3, exec_lo, v3
	v_and_b32_e32 v4, exec_hi, v4
	v_mbcnt_lo_u32_b32 v23, v3, 0
	v_mbcnt_hi_u32_b32 v23, v4, v23
	v_cmp_ne_u64_e64 s[12:13], 0, v[3:4]
	v_cmp_eq_u32_e64 s[14:15], 0, v23
	s_and_b64 s[14:15], s[12:13], s[14:15]
	v_add_u32_e32 v25, v27, v25
	; wave barrier
	s_and_saveexec_b64 s[12:13], s[14:15]
	s_cbranch_execz .LBB181_19
; %bb.18:
	v_bcnt_u32_b32 v3, v3, 0
	v_bcnt_u32_b32 v3, v4, v3
	s_waitcnt lgkmcnt(0)
	v_add_u32_e32 v3, v22, v3
	ds_write_b32 v25, v3 offset:32
.LBB181_19:
	;; [unrolled: 30-line block ×5, first 2 shown]
	s_or_b64 exec, exec, s[12:13]
	; wave barrier
	s_waitcnt lgkmcnt(0)
	s_barrier
	ds_read2_b32 v[5:6], v17 offset0:8 offset1:9
	ds_read2_b32 v[3:4], v17 offset0:10 offset1:11
	ds_read_b32 v35, v17 offset:48
	v_min_u32_e32 v15, 0x1c0, v15
	v_or_b32_e32 v15, 63, v15
	s_waitcnt lgkmcnt(1)
	v_add3_u32 v36, v6, v5, v3
	s_waitcnt lgkmcnt(0)
	v_add3_u32 v35, v36, v4, v35
	v_and_b32_e32 v36, 15, v12
	v_cmp_ne_u32_e64 s[12:13], 0, v36
	v_mov_b32_dpp v37, v35 row_shr:1 row_mask:0xf bank_mask:0xf
	v_cndmask_b32_e64 v37, 0, v37, s[12:13]
	v_add_u32_e32 v35, v37, v35
	v_cmp_lt_u32_e64 s[12:13], 1, v36
	s_nop 0
	v_mov_b32_dpp v37, v35 row_shr:2 row_mask:0xf bank_mask:0xf
	v_cndmask_b32_e64 v37, 0, v37, s[12:13]
	v_add_u32_e32 v35, v35, v37
	v_cmp_lt_u32_e64 s[12:13], 3, v36
	s_nop 0
	;; [unrolled: 5-line block ×3, first 2 shown]
	v_mov_b32_dpp v37, v35 row_shr:8 row_mask:0xf bank_mask:0xf
	v_cndmask_b32_e64 v36, 0, v37, s[12:13]
	v_add_u32_e32 v35, v35, v36
	v_bfe_i32 v37, v12, 4, 1
	v_cmp_lt_u32_e64 s[12:13], 31, v12
	v_mov_b32_dpp v36, v35 row_bcast:15 row_mask:0xf bank_mask:0xf
	v_and_b32_e32 v36, v37, v36
	v_add_u32_e32 v35, v35, v36
	s_nop 1
	v_mov_b32_dpp v36, v35 row_bcast:31 row_mask:0xf bank_mask:0xf
	v_cndmask_b32_e64 v36, 0, v36, s[12:13]
	v_add_u32_e32 v35, v35, v36
	v_lshrrev_b32_e32 v36, 6, v0
	v_cmp_eq_u32_e64 s[12:13], v0, v15
	s_and_saveexec_b64 s[14:15], s[12:13]
; %bb.26:
	v_lshlrev_b32_e32 v15, 2, v36
	ds_write_b32 v15, v35
; %bb.27:
	s_or_b64 exec, exec, s[14:15]
	v_cmp_gt_u32_e64 s[12:13], 8, v0
	s_waitcnt lgkmcnt(0)
	s_barrier
	s_and_saveexec_b64 s[14:15], s[12:13]
	s_cbranch_execz .LBB181_29
; %bb.28:
	v_lshlrev_b32_e32 v15, 2, v0
	ds_read_b32 v37, v15
	v_and_b32_e32 v38, 7, v12
	v_cmp_ne_u32_e64 s[12:13], 0, v38
	s_waitcnt lgkmcnt(0)
	v_mov_b32_dpp v39, v37 row_shr:1 row_mask:0xf bank_mask:0xf
	v_cndmask_b32_e64 v39, 0, v39, s[12:13]
	v_add_u32_e32 v37, v39, v37
	v_cmp_lt_u32_e64 s[12:13], 1, v38
	s_nop 0
	v_mov_b32_dpp v39, v37 row_shr:2 row_mask:0xf bank_mask:0xf
	v_cndmask_b32_e64 v39, 0, v39, s[12:13]
	v_add_u32_e32 v37, v37, v39
	v_cmp_lt_u32_e64 s[12:13], 3, v38
	s_nop 0
	v_mov_b32_dpp v39, v37 row_shr:4 row_mask:0xf bank_mask:0xf
	v_cndmask_b32_e64 v38, 0, v39, s[12:13]
	v_add_u32_e32 v37, v37, v38
	ds_write_b32 v15, v37
.LBB181_29:
	s_or_b64 exec, exec, s[14:15]
	v_cmp_lt_u32_e64 s[12:13], 63, v0
	v_mov_b32_e32 v15, 0
	s_waitcnt lgkmcnt(0)
	s_barrier
	s_and_saveexec_b64 s[14:15], s[12:13]
; %bb.30:
	v_lshl_add_u32 v15, v36, 2, -4
	ds_read_b32 v15, v15
; %bb.31:
	s_or_b64 exec, exec, s[14:15]
	v_subrev_co_u32_e64 v36, s[12:13], 1, v12
	v_and_b32_e32 v37, 64, v12
	v_cmp_lt_i32_e64 s[14:15], v36, v37
	v_cndmask_b32_e64 v36, v36, v12, s[14:15]
	s_waitcnt lgkmcnt(0)
	v_add_u32_e32 v35, v15, v35
	v_lshlrev_b32_e32 v36, 2, v36
	ds_bpermute_b32 v35, v36, v35
	s_movk_i32 s16, 0x100
	v_cmp_gt_u32_e64 s[14:15], s16, v0
	s_waitcnt lgkmcnt(0)
	v_cndmask_b32_e64 v15, v35, v15, s[12:13]
	v_cmp_ne_u32_e64 s[12:13], 0, v0
	v_cndmask_b32_e64 v15, 0, v15, s[12:13]
	v_add_u32_e32 v5, v15, v5
	v_add_u32_e32 v6, v5, v6
	;; [unrolled: 1-line block ×4, first 2 shown]
	ds_write2_b32 v17, v15, v5 offset0:8 offset1:9
	ds_write2_b32 v17, v6, v3 offset0:10 offset1:11
	ds_write_b32 v17, v4 offset:48
	s_waitcnt lgkmcnt(0)
	s_barrier
	ds_read_b32 v5, v20 offset:32
	ds_read_b32 v6, v24 offset:32
	;; [unrolled: 1-line block ×6, first 2 shown]
	s_movk_i32 s12, 0xff
	v_mov_b32_e32 v3, 0
	v_cmp_lt_u32_e64 s[12:13], s12, v0
	v_mov_b32_e32 v4, 0
                                        ; implicit-def: $vgpr20
	s_and_saveexec_b64 s[18:19], s[14:15]
	s_cbranch_execz .LBB181_35
; %bb.32:
	v_mul_u32_u24_e32 v3, 36, v0
	ds_read_b32 v3, v3 offset:32
	v_add_u32_e32 v20, 1, v0
	v_cmp_ne_u32_e64 s[16:17], s16, v20
	v_mov_b32_e32 v4, 0xc00
	s_and_saveexec_b64 s[20:21], s[16:17]
; %bb.33:
	v_mul_u32_u24_e32 v4, 36, v20
	ds_read_b32 v4, v4 offset:32
; %bb.34:
	s_or_b64 exec, exec, s[20:21]
	s_waitcnt lgkmcnt(0)
	v_sub_u32_e32 v20, v4, v3
	v_mov_b32_e32 v4, 0
.LBB181_35:
	s_or_b64 exec, exec, s[18:19]
	s_waitcnt lgkmcnt(5)
	v_add_u32_e32 v27, v5, v16
	s_waitcnt lgkmcnt(4)
	v_add3_u32 v26, v21, v18, v6
	s_waitcnt lgkmcnt(3)
	v_add3_u32 v25, v23, v22, v15
	;; [unrolled: 2-line block ×5, first 2 shown]
	v_mov_b32_e32 v6, 0
	v_lshlrev_b32_e32 v21, 3, v0
	s_barrier
	ds_write_b8 v27, v8 offset:2048
	ds_write_b8 v26, v7 offset:2048
	ds_write_b8 v25, v10 offset:2048
	ds_write_b8 v24, v9 offset:2048
	ds_write_b8 v23, v14 offset:2048
	ds_write_b8 v22, v13 offset:2048
	s_waitcnt lgkmcnt(0)
	s_barrier
	s_and_saveexec_b64 s[16:17], s[14:15]
	s_cbranch_execz .LBB181_45
; %bb.36:
	v_lshl_add_u32 v5, s6, 8, v0
	v_lshlrev_b64 v[7:8], 2, v[5:6]
	v_mov_b32_e32 v13, s35
	v_add_co_u32_e64 v7, s[14:15], s34, v7
	v_addc_co_u32_e64 v8, s[14:15], v13, v8, s[14:15]
	v_or_b32_e32 v5, 2.0, v20
	s_mov_b64 s[18:19], 0
	s_brev_b32 s24, -4
	s_mov_b32 s25, s6
	v_mov_b32_e32 v14, 0
	global_store_dword v[7:8], v5, off
                                        ; implicit-def: $sgpr14_sgpr15
	s_branch .LBB181_39
.LBB181_37:                             ;   in Loop: Header=BB181_39 Depth=1
	s_or_b64 exec, exec, s[22:23]
.LBB181_38:                             ;   in Loop: Header=BB181_39 Depth=1
	s_or_b64 exec, exec, s[20:21]
	v_and_b32_e32 v9, 0x3fffffff, v5
	v_add_u32_e32 v14, v9, v14
	v_cmp_gt_i32_e64 s[14:15], -2.0, v5
	s_and_b64 s[20:21], exec, s[14:15]
	s_or_b64 s[18:19], s[20:21], s[18:19]
	s_andn2_b64 exec, exec, s[18:19]
	s_cbranch_execz .LBB181_44
.LBB181_39:                             ; =>This Loop Header: Depth=1
                                        ;     Child Loop BB181_42 Depth 2
	s_or_b64 s[14:15], s[14:15], exec
	s_cmp_eq_u32 s25, 0
	s_cbranch_scc1 .LBB181_43
; %bb.40:                               ;   in Loop: Header=BB181_39 Depth=1
	s_add_i32 s25, s25, -1
	v_lshl_or_b32 v5, s25, 8, v0
	v_lshlrev_b64 v[9:10], 2, v[5:6]
	v_add_co_u32_e64 v9, s[14:15], s34, v9
	v_addc_co_u32_e64 v10, s[14:15], v13, v10, s[14:15]
	global_load_dword v5, v[9:10], off glc
	s_waitcnt vmcnt(0)
	v_cmp_gt_u32_e64 s[14:15], 2.0, v5
	s_and_saveexec_b64 s[20:21], s[14:15]
	s_cbranch_execz .LBB181_38
; %bb.41:                               ;   in Loop: Header=BB181_39 Depth=1
	s_mov_b64 s[22:23], 0
.LBB181_42:                             ;   Parent Loop BB181_39 Depth=1
                                        ; =>  This Inner Loop Header: Depth=2
	global_load_dword v5, v[9:10], off glc
	s_waitcnt vmcnt(0)
	v_cmp_lt_u32_e64 s[14:15], s24, v5
	s_or_b64 s[22:23], s[14:15], s[22:23]
	s_andn2_b64 exec, exec, s[22:23]
	s_cbranch_execnz .LBB181_42
	s_branch .LBB181_37
.LBB181_43:                             ;   in Loop: Header=BB181_39 Depth=1
                                        ; implicit-def: $sgpr25
	s_and_b64 s[20:21], exec, s[14:15]
	s_or_b64 s[18:19], s[20:21], s[18:19]
	s_andn2_b64 exec, exec, s[18:19]
	s_cbranch_execnz .LBB181_39
.LBB181_44:
	s_or_b64 exec, exec, s[18:19]
	v_add_u32_e32 v5, v14, v20
	v_or_b32_e32 v5, 0x80000000, v5
	global_store_dword v[7:8], v5, off
	global_load_dwordx2 v[5:6], v21, s[44:45]
	v_sub_co_u32_e64 v7, s[14:15], v14, v3
	v_subb_co_u32_e64 v8, s[14:15], 0, v4, s[14:15]
	s_waitcnt vmcnt(0)
	v_add_co_u32_e64 v5, s[14:15], v7, v5
	v_addc_co_u32_e64 v6, s[14:15], v8, v6, s[14:15]
	ds_write_b64 v21, v[5:6]
.LBB181_45:
	s_or_b64 exec, exec, s[16:17]
	v_cmp_gt_u32_e64 s[14:15], s50, v0
	s_waitcnt lgkmcnt(0)
	s_barrier
	s_and_saveexec_b64 s[18:19], s[14:15]
	s_cbranch_execz .LBB181_47
; %bb.46:
	ds_read_u8 v7, v0 offset:2048
	v_mov_b32_e32 v8, s39
	s_waitcnt lgkmcnt(0)
	v_and_b32_e32 v5, 1, v7
	v_lshrrev_b32_e32 v5, s48, v5
	v_and_b32_e32 v5, s33, v5
	v_lshlrev_b32_e32 v5, 3, v5
	ds_read_b64 v[5:6], v5
	s_waitcnt lgkmcnt(0)
	v_add_co_u32_e64 v5, s[16:17], s38, v5
	v_addc_co_u32_e64 v6, s[16:17], v8, v6, s[16:17]
	v_add_co_u32_e64 v5, s[16:17], v5, v0
	v_addc_co_u32_e64 v6, s[16:17], 0, v6, s[16:17]
	global_store_byte v[5:6], v7, off
.LBB181_47:
	s_or_b64 exec, exec, s[18:19]
	v_or_b32_e32 v28, 0x200, v0
	v_cmp_gt_u32_e64 s[16:17], s50, v28
	s_and_saveexec_b64 s[20:21], s[16:17]
	s_cbranch_execz .LBB181_49
; %bb.48:
	ds_read_u8 v7, v0 offset:2560
	v_mov_b32_e32 v8, s39
	s_waitcnt lgkmcnt(0)
	v_and_b32_e32 v5, 1, v7
	v_lshrrev_b32_e32 v5, s48, v5
	v_and_b32_e32 v5, s33, v5
	v_lshlrev_b32_e32 v5, 3, v5
	ds_read_b64 v[5:6], v5
	s_waitcnt lgkmcnt(0)
	v_add_co_u32_e64 v5, s[18:19], s38, v5
	v_addc_co_u32_e64 v6, s[18:19], v8, v6, s[18:19]
	v_add_co_u32_e64 v5, s[18:19], v5, v0
	v_addc_co_u32_e64 v6, s[18:19], 0, v6, s[18:19]
	global_store_byte v[5:6], v7, off offset:512
.LBB181_49:
	s_or_b64 exec, exec, s[20:21]
	v_or_b32_e32 v29, 0x400, v0
	v_cmp_gt_u32_e64 s[18:19], s50, v29
	s_and_saveexec_b64 s[22:23], s[18:19]
	s_cbranch_execz .LBB181_51
; %bb.50:
	ds_read_u8 v7, v0 offset:3072
	v_mov_b32_e32 v8, s39
	s_waitcnt lgkmcnt(0)
	v_and_b32_e32 v5, 1, v7
	v_lshrrev_b32_e32 v5, s48, v5
	v_and_b32_e32 v5, s33, v5
	v_lshlrev_b32_e32 v5, 3, v5
	ds_read_b64 v[5:6], v5
	s_waitcnt lgkmcnt(0)
	v_add_co_u32_e64 v5, s[20:21], s38, v5
	v_addc_co_u32_e64 v6, s[20:21], v8, v6, s[20:21]
	v_add_co_u32_e64 v5, s[20:21], v5, v0
	v_addc_co_u32_e64 v6, s[20:21], 0, v6, s[20:21]
	global_store_byte v[5:6], v7, off offset:1024
.LBB181_51:
	;; [unrolled: 21-line block ×5, first 2 shown]
	s_or_b64 exec, exec, s[50:51]
	s_lshl_b64 s[28:29], s[30:31], 3
	s_add_u32 s28, s40, s28
	s_addc_u32 s29, s41, s29
	v_lshlrev_b32_e32 v5, 3, v12
	v_mov_b32_e32 v6, s29
	v_add_co_u32_e64 v5, s[28:29], s28, v5
	v_addc_co_u32_e64 v6, s[28:29], 0, v6, s[28:29]
	v_lshlrev_b32_e32 v7, 3, v11
	v_add_co_u32_e64 v17, s[28:29], v5, v7
	v_addc_co_u32_e64 v18, s[28:29], 0, v6, s[28:29]
                                        ; implicit-def: $vgpr5_vgpr6
	s_and_saveexec_b64 s[28:29], vcc
	s_xor_b64 s[28:29], exec, s[28:29]
	s_cbranch_execz .LBB181_63
; %bb.58:
	global_load_dwordx2 v[5:6], v[17:18], off
	s_or_b64 exec, exec, s[28:29]
                                        ; implicit-def: $vgpr7_vgpr8
	s_and_saveexec_b64 s[28:29], s[0:1]
	s_cbranch_execnz .LBB181_64
.LBB181_59:
	s_or_b64 exec, exec, s[28:29]
                                        ; implicit-def: $vgpr9_vgpr10
	s_and_saveexec_b64 s[0:1], s[2:3]
	s_cbranch_execz .LBB181_65
.LBB181_60:
	global_load_dwordx2 v[9:10], v[17:18], off offset:1024
	s_or_b64 exec, exec, s[0:1]
                                        ; implicit-def: $vgpr11_vgpr12
	s_and_saveexec_b64 s[0:1], s[26:27]
	s_cbranch_execnz .LBB181_66
.LBB181_61:
	s_or_b64 exec, exec, s[0:1]
                                        ; implicit-def: $vgpr13_vgpr14
	s_and_saveexec_b64 s[0:1], s[8:9]
	s_cbranch_execz .LBB181_67
.LBB181_62:
	global_load_dwordx2 v[13:14], v[17:18], off offset:2048
	s_or_b64 exec, exec, s[0:1]
                                        ; implicit-def: $vgpr15_vgpr16
	s_and_saveexec_b64 s[0:1], s[10:11]
	s_cbranch_execnz .LBB181_68
	s_branch .LBB181_69
.LBB181_63:
	s_or_b64 exec, exec, s[28:29]
                                        ; implicit-def: $vgpr7_vgpr8
	s_and_saveexec_b64 s[28:29], s[0:1]
	s_cbranch_execz .LBB181_59
.LBB181_64:
	global_load_dwordx2 v[7:8], v[17:18], off offset:512
	s_or_b64 exec, exec, s[28:29]
                                        ; implicit-def: $vgpr9_vgpr10
	s_and_saveexec_b64 s[0:1], s[2:3]
	s_cbranch_execnz .LBB181_60
.LBB181_65:
	s_or_b64 exec, exec, s[0:1]
                                        ; implicit-def: $vgpr11_vgpr12
	s_and_saveexec_b64 s[0:1], s[26:27]
	s_cbranch_execz .LBB181_61
.LBB181_66:
	global_load_dwordx2 v[11:12], v[17:18], off offset:1536
	s_or_b64 exec, exec, s[0:1]
                                        ; implicit-def: $vgpr13_vgpr14
	s_and_saveexec_b64 s[0:1], s[8:9]
	s_cbranch_execnz .LBB181_62
.LBB181_67:
	s_or_b64 exec, exec, s[0:1]
                                        ; implicit-def: $vgpr15_vgpr16
	s_and_saveexec_b64 s[0:1], s[10:11]
	s_cbranch_execz .LBB181_69
.LBB181_68:
	global_load_dwordx2 v[15:16], v[17:18], off offset:2560
.LBB181_69:
	s_or_b64 exec, exec, s[0:1]
	v_mov_b32_e32 v34, 0
	v_mov_b32_e32 v36, 0
	s_and_saveexec_b64 s[0:1], s[14:15]
	s_cbranch_execz .LBB181_71
; %bb.70:
	ds_read_u8 v17, v0 offset:2048
	s_waitcnt lgkmcnt(0)
	v_lshrrev_b32_e32 v17, s48, v17
	v_and_b32_e32 v36, s33, v17
.LBB181_71:
	s_or_b64 exec, exec, s[0:1]
	s_and_saveexec_b64 s[0:1], s[16:17]
	s_cbranch_execz .LBB181_73
; %bb.72:
	ds_read_u8 v17, v0 offset:2560
	s_waitcnt lgkmcnt(0)
	v_lshrrev_b32_e32 v17, s48, v17
	v_and_b32_e32 v34, s33, v17
.LBB181_73:
	s_or_b64 exec, exec, s[0:1]
	v_mov_b32_e32 v18, 0
	v_mov_b32_e32 v35, 0
	s_and_saveexec_b64 s[0:1], s[18:19]
	s_cbranch_execz .LBB181_75
; %bb.74:
	ds_read_u8 v17, v0 offset:3072
	s_waitcnt lgkmcnt(0)
	v_lshrrev_b32_e32 v17, s48, v17
	v_and_b32_e32 v35, s33, v17
.LBB181_75:
	s_or_b64 exec, exec, s[0:1]
	s_and_saveexec_b64 s[0:1], s[20:21]
	s_cbranch_execz .LBB181_77
; %bb.76:
	ds_read_u8 v17, v0 offset:3584
	s_waitcnt lgkmcnt(0)
	v_lshrrev_b32_e32 v17, s48, v17
	v_and_b32_e32 v18, s33, v17
.LBB181_77:
	;; [unrolled: 20-line block ×3, first 2 shown]
	s_or_b64 exec, exec, s[0:1]
	v_lshlrev_b32_e32 v27, 3, v27
	s_waitcnt vmcnt(0)
	s_barrier
	ds_write_b64 v27, v[5:6] offset:2048
	v_lshlrev_b32_e32 v5, 3, v26
	ds_write_b64 v5, v[7:8] offset:2048
	v_lshlrev_b32_e32 v5, 3, v25
	;; [unrolled: 2-line block ×5, first 2 shown]
	ds_write_b64 v5, v[15:16] offset:2048
	s_waitcnt lgkmcnt(0)
	s_barrier
	s_and_saveexec_b64 s[0:1], s[14:15]
	s_cbranch_execz .LBB181_87
; %bb.82:
	v_lshlrev_b32_e32 v5, 3, v36
	ds_read_b64 v[5:6], v5
	ds_read_b64 v[7:8], v21 offset:2048
	v_mov_b32_e32 v9, s43
	s_waitcnt lgkmcnt(1)
	v_lshlrev_b64 v[5:6], 3, v[5:6]
	v_add_co_u32_e32 v5, vcc, s42, v5
	v_addc_co_u32_e32 v6, vcc, v9, v6, vcc
	v_add_co_u32_e32 v5, vcc, v5, v21
	v_addc_co_u32_e32 v6, vcc, 0, v6, vcc
	s_waitcnt lgkmcnt(0)
	global_store_dwordx2 v[5:6], v[7:8], off
	s_or_b64 exec, exec, s[0:1]
	s_and_saveexec_b64 s[0:1], s[16:17]
	s_cbranch_execnz .LBB181_88
.LBB181_83:
	s_or_b64 exec, exec, s[0:1]
	s_and_saveexec_b64 s[0:1], s[18:19]
	s_cbranch_execz .LBB181_89
.LBB181_84:
	v_lshlrev_b32_e32 v5, 3, v35
	ds_read_b64 v[5:6], v5
	ds_read_b64 v[7:8], v21 offset:10240
	v_mov_b32_e32 v9, s43
	s_waitcnt lgkmcnt(1)
	v_lshlrev_b64 v[5:6], 3, v[5:6]
	v_add_co_u32_e32 v5, vcc, s42, v5
	v_addc_co_u32_e32 v6, vcc, v9, v6, vcc
	v_lshlrev_b32_e32 v9, 3, v29
	v_add_co_u32_e32 v5, vcc, v5, v9
	v_addc_co_u32_e32 v6, vcc, 0, v6, vcc
	s_waitcnt lgkmcnt(0)
	global_store_dwordx2 v[5:6], v[7:8], off
	s_or_b64 exec, exec, s[0:1]
	s_and_saveexec_b64 s[0:1], s[20:21]
	s_cbranch_execnz .LBB181_90
.LBB181_85:
	s_or_b64 exec, exec, s[0:1]
	s_and_saveexec_b64 s[0:1], s[22:23]
	s_cbranch_execz .LBB181_91
.LBB181_86:
	v_lshlrev_b32_e32 v5, 3, v33
	ds_read_b64 v[5:6], v5
	ds_read_b64 v[7:8], v21 offset:18432
	v_mov_b32_e32 v9, s43
	s_waitcnt lgkmcnt(1)
	v_lshlrev_b64 v[5:6], 3, v[5:6]
	v_add_co_u32_e32 v5, vcc, s42, v5
	v_addc_co_u32_e32 v6, vcc, v9, v6, vcc
	v_lshlrev_b32_e32 v9, 3, v31
	v_add_co_u32_e32 v5, vcc, v5, v9
	v_addc_co_u32_e32 v6, vcc, 0, v6, vcc
	s_waitcnt lgkmcnt(0)
	global_store_dwordx2 v[5:6], v[7:8], off
	s_or_b64 exec, exec, s[0:1]
	s_and_saveexec_b64 s[0:1], s[24:25]
	s_cbranch_execnz .LBB181_92
	s_branch .LBB181_93
.LBB181_87:
	s_or_b64 exec, exec, s[0:1]
	s_and_saveexec_b64 s[0:1], s[16:17]
	s_cbranch_execz .LBB181_83
.LBB181_88:
	v_lshlrev_b32_e32 v5, 3, v34
	ds_read_b64 v[5:6], v5
	ds_read_b64 v[7:8], v21 offset:6144
	v_mov_b32_e32 v9, s43
	s_waitcnt lgkmcnt(1)
	v_lshlrev_b64 v[5:6], 3, v[5:6]
	v_add_co_u32_e32 v5, vcc, s42, v5
	v_addc_co_u32_e32 v6, vcc, v9, v6, vcc
	v_lshlrev_b32_e32 v9, 3, v28
	v_add_co_u32_e32 v5, vcc, v5, v9
	v_addc_co_u32_e32 v6, vcc, 0, v6, vcc
	s_waitcnt lgkmcnt(0)
	global_store_dwordx2 v[5:6], v[7:8], off
	s_or_b64 exec, exec, s[0:1]
	s_and_saveexec_b64 s[0:1], s[18:19]
	s_cbranch_execnz .LBB181_84
.LBB181_89:
	s_or_b64 exec, exec, s[0:1]
	s_and_saveexec_b64 s[0:1], s[20:21]
	s_cbranch_execz .LBB181_85
.LBB181_90:
	v_lshlrev_b32_e32 v5, 3, v18
	ds_read_b64 v[5:6], v5
	ds_read_b64 v[7:8], v21 offset:14336
	v_mov_b32_e32 v9, s43
	s_waitcnt lgkmcnt(1)
	v_lshlrev_b64 v[5:6], 3, v[5:6]
	v_add_co_u32_e32 v5, vcc, s42, v5
	v_addc_co_u32_e32 v6, vcc, v9, v6, vcc
	v_lshlrev_b32_e32 v9, 3, v30
	v_add_co_u32_e32 v5, vcc, v5, v9
	v_addc_co_u32_e32 v6, vcc, 0, v6, vcc
	s_waitcnt lgkmcnt(0)
	global_store_dwordx2 v[5:6], v[7:8], off
	s_or_b64 exec, exec, s[0:1]
	s_and_saveexec_b64 s[0:1], s[22:23]
	s_cbranch_execnz .LBB181_86
.LBB181_91:
	s_or_b64 exec, exec, s[0:1]
	s_and_saveexec_b64 s[0:1], s[24:25]
	s_cbranch_execz .LBB181_93
.LBB181_92:
	v_lshlrev_b32_e32 v5, 3, v17
	ds_read_b64 v[5:6], v5
	ds_read_b64 v[7:8], v21 offset:22528
	v_mov_b32_e32 v9, s43
	s_waitcnt lgkmcnt(1)
	v_lshlrev_b64 v[5:6], 3, v[5:6]
	v_add_co_u32_e32 v5, vcc, s42, v5
	v_addc_co_u32_e32 v6, vcc, v9, v6, vcc
	v_lshlrev_b32_e32 v9, 3, v32
	v_add_co_u32_e32 v5, vcc, v5, v9
	v_addc_co_u32_e32 v6, vcc, 0, v6, vcc
	s_waitcnt lgkmcnt(0)
	global_store_dwordx2 v[5:6], v[7:8], off
.LBB181_93:
	s_or_b64 exec, exec, s[0:1]
	s_add_i32 s7, s7, -1
	s_cmp_eq_u32 s6, s7
	s_cselect_b64 s[0:1], -1, 0
	s_xor_b64 s[2:3], s[12:13], -1
	s_and_b64 s[2:3], s[2:3], s[0:1]
	s_and_saveexec_b64 s[0:1], s[2:3]
	s_cbranch_execz .LBB181_95
; %bb.94:
	ds_read_b64 v[5:6], v21
	v_add_co_u32_e32 v3, vcc, v3, v20
	v_addc_co_u32_e32 v4, vcc, 0, v4, vcc
	s_waitcnt lgkmcnt(0)
	v_add_co_u32_e32 v3, vcc, v3, v5
	v_addc_co_u32_e32 v4, vcc, v4, v6, vcc
	global_store_dwordx2 v21, v[3:4], s[46:47]
.LBB181_95:
	s_or_b64 exec, exec, s[0:1]
	s_mov_b64 s[0:1], 0
.LBB181_96:
	s_and_b64 vcc, exec, s[0:1]
	s_cbranch_vccz .LBB181_131
; %bb.97:
	s_add_u32 s0, s36, s30
	s_addc_u32 s1, s37, 0
	v_mbcnt_hi_u32_b32 v10, -1, v19
	v_and_b32_e32 v17, 0x1c0, v0
	v_mov_b32_e32 v3, s1
	v_add_co_u32_e32 v4, vcc, s0, v10
	v_mul_u32_u24_e32 v9, 6, v17
	v_addc_co_u32_e32 v5, vcc, 0, v3, vcc
	v_add_co_u32_e32 v3, vcc, v4, v9
	v_addc_co_u32_e32 v4, vcc, 0, v5, vcc
	global_load_ubyte v5, v[3:4], off
	s_load_dword s0, s[4:5], 0x5c
	s_load_dword s7, s[4:5], 0x50
	s_add_u32 s1, s4, 0x50
	s_addc_u32 s2, s5, 0
	v_mov_b32_e32 v14, 0
	s_waitcnt lgkmcnt(0)
	s_lshr_b32 s3, s0, 16
	s_cmp_lt_u32 s6, s7
	s_cselect_b32 s0, 12, 18
	s_add_u32 s0, s1, s0
	s_addc_u32 s1, s2, 0
	global_load_ushort v15, v14, s[0:1]
	global_load_ubyte v6, v[3:4], off offset:64
	global_load_ubyte v7, v[3:4], off offset:128
	;; [unrolled: 1-line block ×5, first 2 shown]
	v_mad_u32_u24 v1, v2, s3, v1
	s_lshl_b32 s0, -1, s49
	s_not_b32 s12, s0
	v_mul_u32_u24_e32 v11, 20, v0
	ds_write2_b32 v11, v14, v14 offset0:8 offset1:9
	ds_write2_b32 v11, v14, v14 offset0:10 offset1:11
	ds_write_b32 v11, v14 offset:48
	s_mov_b32 s31, 0
	s_waitcnt vmcnt(0) lgkmcnt(0)
	s_barrier
	; wave barrier
	v_and_b32_e32 v2, 1, v5
	v_lshrrev_b32_e32 v2, s48, v2
	v_and_b32_e32 v2, s12, v2
	v_mul_u32_u24_e32 v16, 36, v2
	v_cmp_ne_u32_e32 vcc, 0, v2
	v_add_co_u32_e64 v2, s[0:1], -1, v2
	v_addc_co_u32_e64 v3, s[0:1], 0, -1, s[0:1]
	v_xor_b32_e32 v14, vcc_hi, v3
	v_mad_u64_u32 v[3:4], s[0:1], v1, v15, v[0:1]
	v_xor_b32_e32 v18, vcc_lo, v2
	v_and_b32_e32 v1, exec_lo, v18
	v_and_b32_e32 v2, exec_hi, v14
	v_mbcnt_lo_u32_b32 v4, v1, 0
	v_cmp_ne_u64_e32 vcc, 0, v[1:2]
	v_mbcnt_hi_u32_b32 v14, v2, v4
	v_lshrrev_b32_e32 v3, 4, v3
	v_cmp_eq_u32_e64 s[0:1], 0, v14
	v_and_b32_e32 v3, 0xffffffc, v3
	s_and_b64 s[2:3], vcc, s[0:1]
	v_add_u32_e32 v18, v3, v16
	s_and_saveexec_b64 s[0:1], s[2:3]
; %bb.98:
	v_bcnt_u32_b32 v1, v1, 0
	v_bcnt_u32_b32 v1, v2, v1
	ds_write_b32 v18, v1 offset:32
; %bb.99:
	s_or_b64 exec, exec, s[0:1]
	v_lshrrev_b32_sdwa v1, s48, v6 dst_sel:DWORD dst_unused:UNUSED_PAD src0_sel:DWORD src1_sel:BYTE_0
	v_and_b32_e32 v1, s12, v1
	v_mul_u32_u24_e32 v4, 36, v1
	v_mad_u32_u24 v2, v1, 36, v3
	v_cmp_ne_u32_e32 vcc, 0, v1
	v_add_co_u32_e64 v1, s[0:1], -1, v1
	; wave barrier
	ds_read_b32 v15, v2 offset:32
	v_addc_co_u32_e64 v2, s[0:1], 0, -1, s[0:1]
	v_xor_b32_e32 v1, vcc_lo, v1
	v_xor_b32_e32 v2, vcc_hi, v2
	v_and_b32_e32 v1, exec_lo, v1
	v_and_b32_e32 v2, exec_hi, v2
	v_mbcnt_lo_u32_b32 v16, v1, 0
	v_mbcnt_hi_u32_b32 v16, v2, v16
	v_cmp_ne_u64_e32 vcc, 0, v[1:2]
	v_cmp_eq_u32_e64 s[0:1], 0, v16
	s_and_b64 s[2:3], vcc, s[0:1]
	v_add_u32_e32 v21, v3, v4
	; wave barrier
	s_and_saveexec_b64 s[0:1], s[2:3]
	s_cbranch_execz .LBB181_101
; %bb.100:
	v_bcnt_u32_b32 v1, v1, 0
	v_bcnt_u32_b32 v1, v2, v1
	s_waitcnt lgkmcnt(0)
	v_add_u32_e32 v1, v15, v1
	ds_write_b32 v21, v1 offset:32
.LBB181_101:
	s_or_b64 exec, exec, s[0:1]
	v_lshrrev_b32_sdwa v1, s48, v7 dst_sel:DWORD dst_unused:UNUSED_PAD src0_sel:DWORD src1_sel:BYTE_0
	v_and_b32_e32 v1, s12, v1
	v_mul_u32_u24_e32 v4, 36, v1
	v_mad_u32_u24 v2, v1, 36, v3
	v_cmp_ne_u32_e32 vcc, 0, v1
	v_add_co_u32_e64 v1, s[0:1], -1, v1
	; wave barrier
	ds_read_b32 v19, v2 offset:32
	v_addc_co_u32_e64 v2, s[0:1], 0, -1, s[0:1]
	v_xor_b32_e32 v1, vcc_lo, v1
	v_xor_b32_e32 v2, vcc_hi, v2
	v_and_b32_e32 v1, exec_lo, v1
	v_and_b32_e32 v2, exec_hi, v2
	v_mbcnt_lo_u32_b32 v20, v1, 0
	v_mbcnt_hi_u32_b32 v20, v2, v20
	v_cmp_ne_u64_e32 vcc, 0, v[1:2]
	v_cmp_eq_u32_e64 s[0:1], 0, v20
	s_and_b64 s[2:3], vcc, s[0:1]
	v_add_u32_e32 v24, v3, v4
	; wave barrier
	s_and_saveexec_b64 s[0:1], s[2:3]
	s_cbranch_execz .LBB181_103
; %bb.102:
	v_bcnt_u32_b32 v1, v1, 0
	v_bcnt_u32_b32 v1, v2, v1
	s_waitcnt lgkmcnt(0)
	v_add_u32_e32 v1, v19, v1
	ds_write_b32 v24, v1 offset:32
.LBB181_103:
	;; [unrolled: 30-line block ×5, first 2 shown]
	s_or_b64 exec, exec, s[0:1]
	; wave barrier
	s_waitcnt lgkmcnt(0)
	s_barrier
	ds_read2_b32 v[3:4], v11 offset0:8 offset1:9
	ds_read2_b32 v[1:2], v11 offset0:10 offset1:11
	ds_read_b32 v32, v11 offset:48
	v_min_u32_e32 v17, 0x1c0, v17
	v_or_b32_e32 v17, 63, v17
	s_waitcnt lgkmcnt(1)
	v_add3_u32 v33, v4, v3, v1
	s_waitcnt lgkmcnt(0)
	v_add3_u32 v32, v33, v2, v32
	v_and_b32_e32 v33, 15, v10
	v_cmp_ne_u32_e32 vcc, 0, v33
	v_mov_b32_dpp v34, v32 row_shr:1 row_mask:0xf bank_mask:0xf
	v_cndmask_b32_e32 v34, 0, v34, vcc
	v_add_u32_e32 v32, v34, v32
	v_cmp_lt_u32_e32 vcc, 1, v33
	s_nop 0
	v_mov_b32_dpp v34, v32 row_shr:2 row_mask:0xf bank_mask:0xf
	v_cndmask_b32_e32 v34, 0, v34, vcc
	v_add_u32_e32 v32, v32, v34
	v_cmp_lt_u32_e32 vcc, 3, v33
	s_nop 0
	;; [unrolled: 5-line block ×3, first 2 shown]
	v_mov_b32_dpp v34, v32 row_shr:8 row_mask:0xf bank_mask:0xf
	v_cndmask_b32_e32 v33, 0, v34, vcc
	v_add_u32_e32 v32, v32, v33
	v_bfe_i32 v34, v10, 4, 1
	v_cmp_lt_u32_e32 vcc, 31, v10
	v_mov_b32_dpp v33, v32 row_bcast:15 row_mask:0xf bank_mask:0xf
	v_and_b32_e32 v33, v34, v33
	v_add_u32_e32 v32, v32, v33
	s_nop 1
	v_mov_b32_dpp v33, v32 row_bcast:31 row_mask:0xf bank_mask:0xf
	v_cndmask_b32_e32 v33, 0, v33, vcc
	v_add_u32_e32 v32, v32, v33
	v_lshrrev_b32_e32 v33, 6, v0
	v_cmp_eq_u32_e32 vcc, v0, v17
	s_and_saveexec_b64 s[0:1], vcc
; %bb.110:
	v_lshlrev_b32_e32 v17, 2, v33
	ds_write_b32 v17, v32
; %bb.111:
	s_or_b64 exec, exec, s[0:1]
	v_cmp_gt_u32_e32 vcc, 8, v0
	s_waitcnt lgkmcnt(0)
	s_barrier
	s_and_saveexec_b64 s[0:1], vcc
	s_cbranch_execz .LBB181_113
; %bb.112:
	v_lshlrev_b32_e32 v17, 2, v0
	ds_read_b32 v34, v17
	v_and_b32_e32 v35, 7, v10
	v_cmp_ne_u32_e32 vcc, 0, v35
	s_waitcnt lgkmcnt(0)
	v_mov_b32_dpp v36, v34 row_shr:1 row_mask:0xf bank_mask:0xf
	v_cndmask_b32_e32 v36, 0, v36, vcc
	v_add_u32_e32 v34, v36, v34
	v_cmp_lt_u32_e32 vcc, 1, v35
	s_nop 0
	v_mov_b32_dpp v36, v34 row_shr:2 row_mask:0xf bank_mask:0xf
	v_cndmask_b32_e32 v36, 0, v36, vcc
	v_add_u32_e32 v34, v34, v36
	v_cmp_lt_u32_e32 vcc, 3, v35
	s_nop 0
	v_mov_b32_dpp v36, v34 row_shr:4 row_mask:0xf bank_mask:0xf
	v_cndmask_b32_e32 v35, 0, v36, vcc
	v_add_u32_e32 v34, v34, v35
	ds_write_b32 v17, v34
.LBB181_113:
	s_or_b64 exec, exec, s[0:1]
	v_cmp_lt_u32_e32 vcc, 63, v0
	v_mov_b32_e32 v17, 0
	s_waitcnt lgkmcnt(0)
	s_barrier
	s_and_saveexec_b64 s[0:1], vcc
; %bb.114:
	v_lshl_add_u32 v17, v33, 2, -4
	ds_read_b32 v17, v17
; %bb.115:
	s_or_b64 exec, exec, s[0:1]
	v_subrev_co_u32_e32 v33, vcc, 1, v10
	v_and_b32_e32 v34, 64, v10
	v_cmp_lt_i32_e64 s[0:1], v33, v34
	v_cndmask_b32_e64 v33, v33, v10, s[0:1]
	s_waitcnt lgkmcnt(0)
	v_add_u32_e32 v32, v17, v32
	v_lshlrev_b32_e32 v33, 2, v33
	ds_bpermute_b32 v32, v33, v32
	s_movk_i32 s0, 0xff
	s_movk_i32 s2, 0x100
	s_waitcnt lgkmcnt(0)
	v_cndmask_b32_e32 v17, v32, v17, vcc
	v_cmp_ne_u32_e32 vcc, 0, v0
	v_cndmask_b32_e32 v17, 0, v17, vcc
	v_add_u32_e32 v3, v17, v3
	v_add_u32_e32 v4, v3, v4
	;; [unrolled: 1-line block ×4, first 2 shown]
	ds_write2_b32 v11, v17, v3 offset0:8 offset1:9
	ds_write2_b32 v11, v4, v1 offset0:10 offset1:11
	ds_write_b32 v11, v2 offset:48
	s_waitcnt lgkmcnt(0)
	s_barrier
	ds_read_b32 v3, v18 offset:32
	ds_read_b32 v4, v21 offset:32
	;; [unrolled: 1-line block ×6, first 2 shown]
	v_mov_b32_e32 v1, 0
	v_cmp_lt_u32_e32 vcc, s0, v0
	v_mov_b32_e32 v2, 0
	v_cmp_gt_u32_e64 s[0:1], s2, v0
                                        ; implicit-def: $vgpr11
	s_and_saveexec_b64 s[4:5], s[0:1]
	s_cbranch_execz .LBB181_119
; %bb.116:
	v_mul_u32_u24_e32 v1, 36, v0
	ds_read_b32 v1, v1 offset:32
	v_add_u32_e32 v11, 1, v0
	v_cmp_ne_u32_e64 s[2:3], s2, v11
	v_mov_b32_e32 v2, 0xc00
	s_and_saveexec_b64 s[8:9], s[2:3]
; %bb.117:
	v_mul_u32_u24_e32 v2, 36, v11
	ds_read_b32 v2, v2 offset:32
; %bb.118:
	s_or_b64 exec, exec, s[8:9]
	s_waitcnt lgkmcnt(0)
	v_sub_u32_e32 v11, v2, v1
	v_mov_b32_e32 v2, 0
.LBB181_119:
	s_or_b64 exec, exec, s[4:5]
	s_waitcnt lgkmcnt(5)
	v_add_u32_e32 v21, v3, v14
	s_waitcnt lgkmcnt(4)
	v_add3_u32 v18, v16, v15, v4
	s_waitcnt lgkmcnt(3)
	v_add3_u32 v17, v20, v19, v17
	;; [unrolled: 2-line block ×5, first 2 shown]
	s_barrier
	ds_write_b8 v21, v5 offset:2048
	ds_write_b8 v18, v6 offset:2048
	;; [unrolled: 1-line block ×6, first 2 shown]
	v_mov_b32_e32 v4, 0
	v_lshlrev_b32_e32 v12, 3, v0
	s_waitcnt lgkmcnt(0)
	s_barrier
	s_and_saveexec_b64 s[2:3], s[0:1]
	s_cbranch_execz .LBB181_129
; %bb.120:
	v_lshl_add_u32 v3, s6, 8, v0
	v_lshlrev_b64 v[5:6], 2, v[3:4]
	v_mov_b32_e32 v13, s35
	v_add_co_u32_e64 v5, s[0:1], s34, v5
	v_addc_co_u32_e64 v6, s[0:1], v13, v6, s[0:1]
	v_or_b32_e32 v3, 2.0, v11
	s_mov_b64 s[4:5], 0
	s_brev_b32 s13, -4
	s_mov_b32 s14, s6
	v_mov_b32_e32 v19, 0
	global_store_dword v[5:6], v3, off
                                        ; implicit-def: $sgpr0_sgpr1
	s_branch .LBB181_123
.LBB181_121:                            ;   in Loop: Header=BB181_123 Depth=1
	s_or_b64 exec, exec, s[10:11]
.LBB181_122:                            ;   in Loop: Header=BB181_123 Depth=1
	s_or_b64 exec, exec, s[8:9]
	v_and_b32_e32 v7, 0x3fffffff, v3
	v_add_u32_e32 v19, v7, v19
	v_cmp_gt_i32_e64 s[0:1], -2.0, v3
	s_and_b64 s[8:9], exec, s[0:1]
	s_or_b64 s[4:5], s[8:9], s[4:5]
	s_andn2_b64 exec, exec, s[4:5]
	s_cbranch_execz .LBB181_128
.LBB181_123:                            ; =>This Loop Header: Depth=1
                                        ;     Child Loop BB181_126 Depth 2
	s_or_b64 s[0:1], s[0:1], exec
	s_cmp_eq_u32 s14, 0
	s_cbranch_scc1 .LBB181_127
; %bb.124:                              ;   in Loop: Header=BB181_123 Depth=1
	s_add_i32 s14, s14, -1
	v_lshl_or_b32 v3, s14, 8, v0
	v_lshlrev_b64 v[7:8], 2, v[3:4]
	v_add_co_u32_e64 v7, s[0:1], s34, v7
	v_addc_co_u32_e64 v8, s[0:1], v13, v8, s[0:1]
	global_load_dword v3, v[7:8], off glc
	s_waitcnt vmcnt(0)
	v_cmp_gt_u32_e64 s[0:1], 2.0, v3
	s_and_saveexec_b64 s[8:9], s[0:1]
	s_cbranch_execz .LBB181_122
; %bb.125:                              ;   in Loop: Header=BB181_123 Depth=1
	s_mov_b64 s[10:11], 0
.LBB181_126:                            ;   Parent Loop BB181_123 Depth=1
                                        ; =>  This Inner Loop Header: Depth=2
	global_load_dword v3, v[7:8], off glc
	s_waitcnt vmcnt(0)
	v_cmp_lt_u32_e64 s[0:1], s13, v3
	s_or_b64 s[10:11], s[0:1], s[10:11]
	s_andn2_b64 exec, exec, s[10:11]
	s_cbranch_execnz .LBB181_126
	s_branch .LBB181_121
.LBB181_127:                            ;   in Loop: Header=BB181_123 Depth=1
                                        ; implicit-def: $sgpr14
	s_and_b64 s[8:9], exec, s[0:1]
	s_or_b64 s[4:5], s[8:9], s[4:5]
	s_andn2_b64 exec, exec, s[4:5]
	s_cbranch_execnz .LBB181_123
.LBB181_128:
	s_or_b64 exec, exec, s[4:5]
	v_add_u32_e32 v3, v19, v11
	v_or_b32_e32 v3, 0x80000000, v3
	global_store_dword v[5:6], v3, off
	global_load_dwordx2 v[3:4], v12, s[44:45]
	v_sub_co_u32_e64 v5, s[0:1], v19, v1
	v_subb_co_u32_e64 v6, s[0:1], 0, v2, s[0:1]
	s_waitcnt vmcnt(0)
	v_add_co_u32_e64 v3, s[0:1], v5, v3
	v_addc_co_u32_e64 v4, s[0:1], v6, v4, s[0:1]
	ds_write_b64 v12, v[3:4]
.LBB181_129:
	s_or_b64 exec, exec, s[2:3]
	s_waitcnt lgkmcnt(0)
	s_barrier
	ds_read_u8 v13, v0 offset:2048
	ds_read_u8 v32, v0 offset:2560
	;; [unrolled: 1-line block ×6, first 2 shown]
	s_waitcnt lgkmcnt(5)
	v_and_b32_e32 v3, 1, v13
	v_lshrrev_b32_e32 v3, s48, v3
	v_and_b32_e32 v3, s12, v3
	v_lshlrev_b32_e32 v37, 3, v3
	s_waitcnt lgkmcnt(4)
	v_and_b32_e32 v3, 1, v32
	v_lshrrev_b32_e32 v3, s48, v3
	v_and_b32_e32 v3, s12, v3
	v_lshlrev_b32_e32 v39, 3, v3
	;; [unrolled: 5-line block ×3, first 2 shown]
	s_waitcnt lgkmcnt(2)
	v_and_b32_e32 v3, 1, v34
	v_lshrrev_b32_e32 v3, s48, v3
	s_lshl_b64 s[0:1], s[30:31], 3
	v_and_b32_e32 v3, s12, v3
	s_add_u32 s0, s40, s0
	v_lshlrev_b32_e32 v41, 3, v3
	s_addc_u32 s1, s41, s1
	v_lshlrev_b32_e32 v3, 3, v10
	v_mov_b32_e32 v4, s1
	v_add_co_u32_e64 v3, s[0:1], s0, v3
	v_addc_co_u32_e64 v4, s[0:1], 0, v4, s[0:1]
	v_lshlrev_b32_e32 v5, 3, v9
	v_add_co_u32_e64 v3, s[0:1], v3, v5
	v_addc_co_u32_e64 v4, s[0:1], 0, v4, s[0:1]
	global_load_dwordx2 v[5:6], v[3:4], off
	ds_read_b64 v[7:8], v37
	ds_read_b64 v[9:10], v39
	;; [unrolled: 1-line block ×4, first 2 shown]
	global_load_dwordx2 v[24:25], v[3:4], off offset:512
	global_load_dwordx2 v[26:27], v[3:4], off offset:1024
	;; [unrolled: 1-line block ×4, first 2 shown]
	v_mov_b32_e32 v38, s39
	global_load_dwordx2 v[3:4], v[3:4], off offset:2560
	s_waitcnt lgkmcnt(3)
	v_add_co_u32_e64 v7, s[0:1], s38, v7
	v_addc_co_u32_e64 v8, s[0:1], v38, v8, s[0:1]
	v_add_co_u32_e64 v7, s[0:1], v7, v0
	v_addc_co_u32_e64 v8, s[0:1], 0, v8, s[0:1]
	global_store_byte v[7:8], v13, off
	v_mov_b32_e32 v7, s39
	s_waitcnt lgkmcnt(2)
	v_add_co_u32_e64 v8, s[0:1], s38, v9
	v_addc_co_u32_e64 v9, s[0:1], v7, v10, s[0:1]
	v_add_co_u32_e64 v7, s[0:1], v8, v0
	v_addc_co_u32_e64 v8, s[0:1], 0, v9, s[0:1]
	global_store_byte v[7:8], v32, off offset:512
	v_mov_b32_e32 v7, s39
	s_waitcnt lgkmcnt(1)
	v_add_co_u32_e64 v8, s[0:1], s38, v19
	v_addc_co_u32_e64 v9, s[0:1], v7, v20, s[0:1]
	v_add_co_u32_e64 v7, s[0:1], v8, v0
	v_addc_co_u32_e64 v8, s[0:1], 0, v9, s[0:1]
	global_store_byte v[7:8], v33, off offset:1024
	v_mov_b32_e32 v7, s39
	s_waitcnt lgkmcnt(0)
	v_add_co_u32_e64 v8, s[0:1], s38, v22
	v_addc_co_u32_e64 v9, s[0:1], v7, v23, s[0:1]
	v_add_co_u32_e64 v7, s[0:1], v8, v0
	v_addc_co_u32_e64 v8, s[0:1], 0, v9, s[0:1]
	global_store_byte v[7:8], v34, off offset:1536
	v_and_b32_e32 v7, 1, v35
	v_lshrrev_b32_e32 v7, s48, v7
	v_and_b32_e32 v7, s12, v7
	v_lshlrev_b32_e32 v19, 3, v7
	ds_read_b64 v[7:8], v19
	v_and_b32_e32 v9, 1, v36
	v_lshrrev_b32_e32 v9, s48, v9
	v_and_b32_e32 v9, s12, v9
	v_lshlrev_b32_e32 v20, 3, v9
	ds_read_b64 v[9:10], v20
	v_mov_b32_e32 v13, s39
	s_waitcnt lgkmcnt(1)
	v_add_co_u32_e64 v7, s[0:1], s38, v7
	v_addc_co_u32_e64 v8, s[0:1], v13, v8, s[0:1]
	v_add_co_u32_e64 v7, s[0:1], v7, v0
	v_addc_co_u32_e64 v8, s[0:1], 0, v8, s[0:1]
	global_store_byte v[7:8], v35, off offset:2048
	v_mov_b32_e32 v7, s39
	s_waitcnt lgkmcnt(0)
	v_add_co_u32_e64 v8, s[0:1], s38, v9
	v_addc_co_u32_e64 v9, s[0:1], v7, v10, s[0:1]
	v_add_co_u32_e64 v7, s[0:1], v8, v0
	v_addc_co_u32_e64 v8, s[0:1], 0, v9, s[0:1]
	global_store_byte v[7:8], v36, off offset:2560
	v_lshlrev_b32_e32 v7, 3, v21
	s_waitcnt vmcnt(0)
	s_barrier
	v_mad_u32_u24 v0, v0, 7, v0
	s_add_i32 s7, s7, -1
	ds_write_b64 v7, v[5:6] offset:2048
	v_lshlrev_b32_e32 v5, 3, v18
	ds_write_b64 v5, v[24:25] offset:2048
	v_lshlrev_b32_e32 v5, 3, v17
	;; [unrolled: 2-line block ×5, first 2 shown]
	ds_write_b64 v5, v[3:4] offset:2048
	s_waitcnt lgkmcnt(0)
	s_barrier
	ds_read_b64 v[7:8], v37
	ds_read2st64_b64 v[3:6], v0 offset0:4 offset1:12
	ds_read_b64 v[9:10], v39
	ds_read_b64 v[13:14], v40
	;; [unrolled: 1-line block ×3, first 2 shown]
	s_waitcnt lgkmcnt(4)
	v_lshlrev_b64 v[7:8], 3, v[7:8]
	v_mov_b32_e32 v17, s43
	v_add_co_u32_e64 v7, s[0:1], s42, v7
	v_addc_co_u32_e64 v8, s[0:1], v17, v8, s[0:1]
	v_add_co_u32_e64 v7, s[0:1], v7, v12
	v_addc_co_u32_e64 v8, s[0:1], 0, v8, s[0:1]
	s_waitcnt lgkmcnt(3)
	global_store_dwordx2 v[7:8], v[3:4], off
	s_waitcnt lgkmcnt(2)
	v_lshlrev_b64 v[3:4], 3, v[9:10]
	v_mov_b32_e32 v7, s43
	v_add_co_u32_e64 v3, s[0:1], s42, v3
	v_addc_co_u32_e64 v4, s[0:1], v7, v4, s[0:1]
	v_or_b32_e32 v7, 0x1000, v12
	v_add_co_u32_e64 v3, s[0:1], v3, v7
	v_addc_co_u32_e64 v4, s[0:1], 0, v4, s[0:1]
	s_waitcnt lgkmcnt(1)
	v_lshlrev_b64 v[7:8], 3, v[13:14]
	global_store_dwordx2 v[3:4], v[5:6], off
	ds_read2st64_b64 v[3:6], v0 offset0:20 offset1:28
	v_mov_b32_e32 v9, s43
	v_add_co_u32_e64 v7, s[0:1], s42, v7
	v_addc_co_u32_e64 v8, s[0:1], v9, v8, s[0:1]
	v_or_b32_e32 v9, 0x2000, v12
	v_add_co_u32_e64 v7, s[0:1], v7, v9
	v_addc_co_u32_e64 v8, s[0:1], 0, v8, s[0:1]
	s_waitcnt lgkmcnt(0)
	global_store_dwordx2 v[7:8], v[3:4], off
	v_lshlrev_b64 v[3:4], 3, v[15:16]
	v_mov_b32_e32 v7, s43
	v_add_co_u32_e64 v3, s[0:1], s42, v3
	v_addc_co_u32_e64 v4, s[0:1], v7, v4, s[0:1]
	ds_read_b64 v[7:8], v19
	v_or_b32_e32 v9, 0x3000, v12
	v_add_co_u32_e64 v3, s[0:1], v3, v9
	v_addc_co_u32_e64 v4, s[0:1], 0, v4, s[0:1]
	global_store_dwordx2 v[3:4], v[5:6], off
	s_waitcnt lgkmcnt(0)
	v_lshlrev_b64 v[7:8], 3, v[7:8]
	ds_read2st64_b64 v[3:6], v0 offset0:36 offset1:44
	ds_read_b64 v[9:10], v20
	v_mov_b32_e32 v0, s43
	v_add_co_u32_e64 v7, s[0:1], s42, v7
	v_addc_co_u32_e64 v0, s[0:1], v0, v8, s[0:1]
	v_or_b32_e32 v8, 0x4000, v12
	v_add_co_u32_e64 v7, s[0:1], v7, v8
	v_addc_co_u32_e64 v8, s[0:1], 0, v0, s[0:1]
	s_waitcnt lgkmcnt(1)
	global_store_dwordx2 v[7:8], v[3:4], off
	s_waitcnt lgkmcnt(0)
	v_lshlrev_b64 v[3:4], 3, v[9:10]
	v_mov_b32_e32 v0, s43
	v_add_co_u32_e64 v3, s[0:1], s42, v3
	v_addc_co_u32_e64 v0, s[0:1], v0, v4, s[0:1]
	v_or_b32_e32 v4, 0x5000, v12
	v_add_co_u32_e64 v3, s[0:1], v3, v4
	v_addc_co_u32_e64 v4, s[0:1], 0, v0, s[0:1]
	s_cmp_eq_u32 s6, s7
	s_cselect_b64 s[0:1], -1, 0
	s_xor_b64 s[2:3], vcc, -1
	s_and_b64 s[0:1], s[2:3], s[0:1]
	global_store_dwordx2 v[3:4], v[5:6], off
	s_and_saveexec_b64 s[2:3], s[0:1]
	s_cbranch_execz .LBB181_131
; %bb.130:
	ds_read_b64 v[3:4], v12
	v_add_co_u32_e32 v0, vcc, v1, v11
	v_addc_co_u32_e32 v1, vcc, 0, v2, vcc
	s_waitcnt lgkmcnt(0)
	v_add_co_u32_e32 v0, vcc, v0, v3
	v_addc_co_u32_e32 v1, vcc, v1, v4, vcc
	global_store_dwordx2 v12, v[0:1], s[46:47]
.LBB181_131:
	s_endpgm
	.section	.rodata,"a",@progbits
	.p2align	6, 0x0
	.amdhsa_kernel _ZN7rocprim17ROCPRIM_304000_NS6detail25onesweep_iteration_kernelINS1_34wrapped_radix_sort_onesweep_configINS0_14default_configEbN2at4cuda3cub6detail10OpaqueTypeILi8EEEEELb0EPbSC_PSA_SD_mNS0_19identity_decomposerEEEvT1_T2_T3_T4_jPT5_SK_PNS1_23onesweep_lookback_stateET6_jjj
		.amdhsa_group_segment_fixed_size 26624
		.amdhsa_private_segment_fixed_size 0
		.amdhsa_kernarg_size 336
		.amdhsa_user_sgpr_count 6
		.amdhsa_user_sgpr_private_segment_buffer 1
		.amdhsa_user_sgpr_dispatch_ptr 0
		.amdhsa_user_sgpr_queue_ptr 0
		.amdhsa_user_sgpr_kernarg_segment_ptr 1
		.amdhsa_user_sgpr_dispatch_id 0
		.amdhsa_user_sgpr_flat_scratch_init 0
		.amdhsa_user_sgpr_private_segment_size 0
		.amdhsa_uses_dynamic_stack 0
		.amdhsa_system_sgpr_private_segment_wavefront_offset 0
		.amdhsa_system_sgpr_workgroup_id_x 1
		.amdhsa_system_sgpr_workgroup_id_y 0
		.amdhsa_system_sgpr_workgroup_id_z 0
		.amdhsa_system_sgpr_workgroup_info 0
		.amdhsa_system_vgpr_workitem_id 2
		.amdhsa_next_free_vgpr 49
		.amdhsa_next_free_sgpr 98
		.amdhsa_reserve_vcc 1
		.amdhsa_reserve_flat_scratch 0
		.amdhsa_float_round_mode_32 0
		.amdhsa_float_round_mode_16_64 0
		.amdhsa_float_denorm_mode_32 3
		.amdhsa_float_denorm_mode_16_64 3
		.amdhsa_dx10_clamp 1
		.amdhsa_ieee_mode 1
		.amdhsa_fp16_overflow 0
		.amdhsa_exception_fp_ieee_invalid_op 0
		.amdhsa_exception_fp_denorm_src 0
		.amdhsa_exception_fp_ieee_div_zero 0
		.amdhsa_exception_fp_ieee_overflow 0
		.amdhsa_exception_fp_ieee_underflow 0
		.amdhsa_exception_fp_ieee_inexact 0
		.amdhsa_exception_int_div_zero 0
	.end_amdhsa_kernel
	.section	.text._ZN7rocprim17ROCPRIM_304000_NS6detail25onesweep_iteration_kernelINS1_34wrapped_radix_sort_onesweep_configINS0_14default_configEbN2at4cuda3cub6detail10OpaqueTypeILi8EEEEELb0EPbSC_PSA_SD_mNS0_19identity_decomposerEEEvT1_T2_T3_T4_jPT5_SK_PNS1_23onesweep_lookback_stateET6_jjj,"axG",@progbits,_ZN7rocprim17ROCPRIM_304000_NS6detail25onesweep_iteration_kernelINS1_34wrapped_radix_sort_onesweep_configINS0_14default_configEbN2at4cuda3cub6detail10OpaqueTypeILi8EEEEELb0EPbSC_PSA_SD_mNS0_19identity_decomposerEEEvT1_T2_T3_T4_jPT5_SK_PNS1_23onesweep_lookback_stateET6_jjj,comdat
.Lfunc_end181:
	.size	_ZN7rocprim17ROCPRIM_304000_NS6detail25onesweep_iteration_kernelINS1_34wrapped_radix_sort_onesweep_configINS0_14default_configEbN2at4cuda3cub6detail10OpaqueTypeILi8EEEEELb0EPbSC_PSA_SD_mNS0_19identity_decomposerEEEvT1_T2_T3_T4_jPT5_SK_PNS1_23onesweep_lookback_stateET6_jjj, .Lfunc_end181-_ZN7rocprim17ROCPRIM_304000_NS6detail25onesweep_iteration_kernelINS1_34wrapped_radix_sort_onesweep_configINS0_14default_configEbN2at4cuda3cub6detail10OpaqueTypeILi8EEEEELb0EPbSC_PSA_SD_mNS0_19identity_decomposerEEEvT1_T2_T3_T4_jPT5_SK_PNS1_23onesweep_lookback_stateET6_jjj
                                        ; -- End function
	.set _ZN7rocprim17ROCPRIM_304000_NS6detail25onesweep_iteration_kernelINS1_34wrapped_radix_sort_onesweep_configINS0_14default_configEbN2at4cuda3cub6detail10OpaqueTypeILi8EEEEELb0EPbSC_PSA_SD_mNS0_19identity_decomposerEEEvT1_T2_T3_T4_jPT5_SK_PNS1_23onesweep_lookback_stateET6_jjj.num_vgpr, 42
	.set _ZN7rocprim17ROCPRIM_304000_NS6detail25onesweep_iteration_kernelINS1_34wrapped_radix_sort_onesweep_configINS0_14default_configEbN2at4cuda3cub6detail10OpaqueTypeILi8EEEEELb0EPbSC_PSA_SD_mNS0_19identity_decomposerEEEvT1_T2_T3_T4_jPT5_SK_PNS1_23onesweep_lookback_stateET6_jjj.num_agpr, 0
	.set _ZN7rocprim17ROCPRIM_304000_NS6detail25onesweep_iteration_kernelINS1_34wrapped_radix_sort_onesweep_configINS0_14default_configEbN2at4cuda3cub6detail10OpaqueTypeILi8EEEEELb0EPbSC_PSA_SD_mNS0_19identity_decomposerEEEvT1_T2_T3_T4_jPT5_SK_PNS1_23onesweep_lookback_stateET6_jjj.numbered_sgpr, 52
	.set _ZN7rocprim17ROCPRIM_304000_NS6detail25onesweep_iteration_kernelINS1_34wrapped_radix_sort_onesweep_configINS0_14default_configEbN2at4cuda3cub6detail10OpaqueTypeILi8EEEEELb0EPbSC_PSA_SD_mNS0_19identity_decomposerEEEvT1_T2_T3_T4_jPT5_SK_PNS1_23onesweep_lookback_stateET6_jjj.num_named_barrier, 0
	.set _ZN7rocprim17ROCPRIM_304000_NS6detail25onesweep_iteration_kernelINS1_34wrapped_radix_sort_onesweep_configINS0_14default_configEbN2at4cuda3cub6detail10OpaqueTypeILi8EEEEELb0EPbSC_PSA_SD_mNS0_19identity_decomposerEEEvT1_T2_T3_T4_jPT5_SK_PNS1_23onesweep_lookback_stateET6_jjj.private_seg_size, 0
	.set _ZN7rocprim17ROCPRIM_304000_NS6detail25onesweep_iteration_kernelINS1_34wrapped_radix_sort_onesweep_configINS0_14default_configEbN2at4cuda3cub6detail10OpaqueTypeILi8EEEEELb0EPbSC_PSA_SD_mNS0_19identity_decomposerEEEvT1_T2_T3_T4_jPT5_SK_PNS1_23onesweep_lookback_stateET6_jjj.uses_vcc, 1
	.set _ZN7rocprim17ROCPRIM_304000_NS6detail25onesweep_iteration_kernelINS1_34wrapped_radix_sort_onesweep_configINS0_14default_configEbN2at4cuda3cub6detail10OpaqueTypeILi8EEEEELb0EPbSC_PSA_SD_mNS0_19identity_decomposerEEEvT1_T2_T3_T4_jPT5_SK_PNS1_23onesweep_lookback_stateET6_jjj.uses_flat_scratch, 0
	.set _ZN7rocprim17ROCPRIM_304000_NS6detail25onesweep_iteration_kernelINS1_34wrapped_radix_sort_onesweep_configINS0_14default_configEbN2at4cuda3cub6detail10OpaqueTypeILi8EEEEELb0EPbSC_PSA_SD_mNS0_19identity_decomposerEEEvT1_T2_T3_T4_jPT5_SK_PNS1_23onesweep_lookback_stateET6_jjj.has_dyn_sized_stack, 0
	.set _ZN7rocprim17ROCPRIM_304000_NS6detail25onesweep_iteration_kernelINS1_34wrapped_radix_sort_onesweep_configINS0_14default_configEbN2at4cuda3cub6detail10OpaqueTypeILi8EEEEELb0EPbSC_PSA_SD_mNS0_19identity_decomposerEEEvT1_T2_T3_T4_jPT5_SK_PNS1_23onesweep_lookback_stateET6_jjj.has_recursion, 0
	.set _ZN7rocprim17ROCPRIM_304000_NS6detail25onesweep_iteration_kernelINS1_34wrapped_radix_sort_onesweep_configINS0_14default_configEbN2at4cuda3cub6detail10OpaqueTypeILi8EEEEELb0EPbSC_PSA_SD_mNS0_19identity_decomposerEEEvT1_T2_T3_T4_jPT5_SK_PNS1_23onesweep_lookback_stateET6_jjj.has_indirect_call, 0
	.section	.AMDGPU.csdata,"",@progbits
; Kernel info:
; codeLenInByte = 7972
; TotalNumSgprs: 56
; NumVgprs: 42
; ScratchSize: 0
; MemoryBound: 0
; FloatMode: 240
; IeeeMode: 1
; LDSByteSize: 26624 bytes/workgroup (compile time only)
; SGPRBlocks: 12
; VGPRBlocks: 12
; NumSGPRsForWavesPerEU: 102
; NumVGPRsForWavesPerEU: 49
; Occupancy: 4
; WaveLimiterHint : 1
; COMPUTE_PGM_RSRC2:SCRATCH_EN: 0
; COMPUTE_PGM_RSRC2:USER_SGPR: 6
; COMPUTE_PGM_RSRC2:TRAP_HANDLER: 0
; COMPUTE_PGM_RSRC2:TGID_X_EN: 1
; COMPUTE_PGM_RSRC2:TGID_Y_EN: 0
; COMPUTE_PGM_RSRC2:TGID_Z_EN: 0
; COMPUTE_PGM_RSRC2:TIDIG_COMP_CNT: 2
	.section	.text._ZN7rocprim17ROCPRIM_304000_NS6detail28radix_sort_block_sort_kernelINS1_36wrapped_radix_sort_block_sort_configINS0_13kernel_configILj256ELj4ELj4294967295EEE6__halfN2at4cuda3cub6detail10OpaqueTypeILi8EEEEELb1EPKS6_PS6_PKSC_PSC_NS0_19identity_decomposerEEEvT1_T2_T3_T4_jT5_jj,"axG",@progbits,_ZN7rocprim17ROCPRIM_304000_NS6detail28radix_sort_block_sort_kernelINS1_36wrapped_radix_sort_block_sort_configINS0_13kernel_configILj256ELj4ELj4294967295EEE6__halfN2at4cuda3cub6detail10OpaqueTypeILi8EEEEELb1EPKS6_PS6_PKSC_PSC_NS0_19identity_decomposerEEEvT1_T2_T3_T4_jT5_jj,comdat
	.protected	_ZN7rocprim17ROCPRIM_304000_NS6detail28radix_sort_block_sort_kernelINS1_36wrapped_radix_sort_block_sort_configINS0_13kernel_configILj256ELj4ELj4294967295EEE6__halfN2at4cuda3cub6detail10OpaqueTypeILi8EEEEELb1EPKS6_PS6_PKSC_PSC_NS0_19identity_decomposerEEEvT1_T2_T3_T4_jT5_jj ; -- Begin function _ZN7rocprim17ROCPRIM_304000_NS6detail28radix_sort_block_sort_kernelINS1_36wrapped_radix_sort_block_sort_configINS0_13kernel_configILj256ELj4ELj4294967295EEE6__halfN2at4cuda3cub6detail10OpaqueTypeILi8EEEEELb1EPKS6_PS6_PKSC_PSC_NS0_19identity_decomposerEEEvT1_T2_T3_T4_jT5_jj
	.globl	_ZN7rocprim17ROCPRIM_304000_NS6detail28radix_sort_block_sort_kernelINS1_36wrapped_radix_sort_block_sort_configINS0_13kernel_configILj256ELj4ELj4294967295EEE6__halfN2at4cuda3cub6detail10OpaqueTypeILi8EEEEELb1EPKS6_PS6_PKSC_PSC_NS0_19identity_decomposerEEEvT1_T2_T3_T4_jT5_jj
	.p2align	8
	.type	_ZN7rocprim17ROCPRIM_304000_NS6detail28radix_sort_block_sort_kernelINS1_36wrapped_radix_sort_block_sort_configINS0_13kernel_configILj256ELj4ELj4294967295EEE6__halfN2at4cuda3cub6detail10OpaqueTypeILi8EEEEELb1EPKS6_PS6_PKSC_PSC_NS0_19identity_decomposerEEEvT1_T2_T3_T4_jT5_jj,@function
_ZN7rocprim17ROCPRIM_304000_NS6detail28radix_sort_block_sort_kernelINS1_36wrapped_radix_sort_block_sort_configINS0_13kernel_configILj256ELj4ELj4294967295EEE6__halfN2at4cuda3cub6detail10OpaqueTypeILi8EEEEELb1EPKS6_PS6_PKSC_PSC_NS0_19identity_decomposerEEEvT1_T2_T3_T4_jT5_jj: ; @_ZN7rocprim17ROCPRIM_304000_NS6detail28radix_sort_block_sort_kernelINS1_36wrapped_radix_sort_block_sort_configINS0_13kernel_configILj256ELj4ELj4294967295EEE6__halfN2at4cuda3cub6detail10OpaqueTypeILi8EEEEELb1EPKS6_PS6_PKSC_PSC_NS0_19identity_decomposerEEEvT1_T2_T3_T4_jT5_jj
; %bb.0:
	s_load_dword s2, s[4:5], 0x20
	s_load_dwordx8 s[36:43], s[4:5], 0x0
	s_lshl_b32 s28, s6, 10
	s_mov_b32 s29, 0
	v_mbcnt_lo_u32_b32 v3, -1, 0
	s_waitcnt lgkmcnt(0)
	s_lshr_b32 s0, s2, 10
	s_cmp_lg_u32 s6, s0
	s_cselect_b64 s[30:31], -1, 0
	s_lshl_b64 s[34:35], s[28:29], 1
	s_add_u32 s1, s36, s34
	v_mbcnt_hi_u32_b32 v7, -1, v3
	s_addc_u32 s3, s37, s35
	v_lshlrev_b32_e32 v8, 2, v0
	v_lshlrev_b32_e32 v3, 1, v7
	v_and_b32_e32 v9, 0x300, v8
	v_mov_b32_e32 v4, s3
	v_add_co_u32_e32 v3, vcc, s1, v3
	v_addc_co_u32_e32 v4, vcc, 0, v4, vcc
	v_lshlrev_b32_e32 v5, 1, v9
	v_add_co_u32_e32 v5, vcc, v3, v5
	s_cmp_eq_u32 s6, s0
	v_addc_co_u32_e32 v6, vcc, 0, v4, vcc
	v_lshlrev_b32_e32 v24, 3, v7
	v_lshlrev_b32_e32 v17, 3, v9
	v_add_u32_e32 v16, v7, v9
	s_cbranch_scc1 .LBB182_2
; %bb.1:
	s_lshl_b64 s[0:1], s[28:29], 3
	s_add_u32 s0, s40, s0
	s_addc_u32 s1, s41, s1
	v_mov_b32_e32 v3, s1
	v_add_co_u32_e32 v4, vcc, s0, v24
	v_addc_co_u32_e32 v3, vcc, 0, v3, vcc
	v_add_co_u32_e32 v12, vcc, v4, v17
	v_addc_co_u32_e32 v13, vcc, 0, v3, vcc
	global_load_ushort v11, v[5:6], off
	global_load_ushort v10, v[5:6], off offset:128
	global_load_ushort v15, v[5:6], off offset:256
	;; [unrolled: 1-line block ×3, first 2 shown]
	global_load_dwordx2 v[3:4], v[12:13], off
	global_load_dwordx2 v[18:19], v[12:13], off offset:512
	global_load_dwordx2 v[20:21], v[12:13], off offset:1024
	;; [unrolled: 1-line block ×3, first 2 shown]
	v_add_u32_e32 v25, v7, v9
	v_add_u32_e32 v9, 64, v25
	;; [unrolled: 1-line block ×4, first 2 shown]
	s_sub_i32 s33, s2, s28
	s_cbranch_execz .LBB182_3
	s_branch .LBB182_17
.LBB182_2:
                                        ; implicit-def: $vgpr3_vgpr4
                                        ; implicit-def: $vgpr18_vgpr19
                                        ; implicit-def: $vgpr20_vgpr21
                                        ; implicit-def: $vgpr22_vgpr23
                                        ; implicit-def: $vgpr11
                                        ; implicit-def: $vgpr10
                                        ; implicit-def: $vgpr15
                                        ; implicit-def: $vgpr14
                                        ; implicit-def: $vgpr25
                                        ; implicit-def: $vgpr9
                                        ; implicit-def: $vgpr12
                                        ; implicit-def: $vgpr13
	s_sub_i32 s33, s2, s28
.LBB182_3:
	v_cmp_gt_u32_e32 vcc, s33, v16
	s_waitcnt vmcnt(6)
	v_mov_b32_e32 v10, -1
	v_mov_b32_e32 v11, -1
	s_and_saveexec_b64 s[0:1], vcc
	s_cbranch_execz .LBB182_5
; %bb.4:
	global_load_ushort v11, v[5:6], off
.LBB182_5:
	s_or_b64 exec, exec, s[0:1]
	v_add_u32_e32 v9, 64, v16
	v_cmp_gt_u32_e64 s[0:1], s33, v9
	s_and_saveexec_b64 s[2:3], s[0:1]
	s_cbranch_execz .LBB182_7
; %bb.6:
	global_load_ushort v10, v[5:6], off offset:128
.LBB182_7:
	s_or_b64 exec, exec, s[2:3]
	v_add_u32_e32 v12, 0x80, v16
	v_cmp_gt_u32_e64 s[2:3], s33, v12
	s_waitcnt vmcnt(4)
	v_mov_b32_e32 v14, -1
	v_mov_b32_e32 v15, -1
	s_and_saveexec_b64 s[6:7], s[2:3]
	s_cbranch_execz .LBB182_9
; %bb.8:
	global_load_ushort v15, v[5:6], off offset:256
.LBB182_9:
	s_or_b64 exec, exec, s[6:7]
	v_add_u32_e32 v13, 0xc0, v16
	v_cmp_gt_u32_e64 s[6:7], s33, v13
	s_and_saveexec_b64 s[8:9], s[6:7]
	s_cbranch_execz .LBB182_11
; %bb.10:
	global_load_ushort v14, v[5:6], off offset:384
.LBB182_11:
	s_or_b64 exec, exec, s[8:9]
	s_lshl_b64 s[8:9], s[28:29], 3
	s_add_u32 s8, s40, s8
	s_addc_u32 s9, s41, s9
	s_waitcnt vmcnt(3)
	v_mov_b32_e32 v3, s9
	v_add_co_u32_e64 v4, s[8:9], s8, v24
	v_addc_co_u32_e64 v3, s[8:9], 0, v3, s[8:9]
	v_add_co_u32_e64 v5, s[8:9], v4, v17
	v_addc_co_u32_e64 v6, s[8:9], 0, v3, s[8:9]
                                        ; implicit-def: $vgpr3_vgpr4
	s_and_saveexec_b64 s[8:9], vcc
	s_cbranch_execnz .LBB182_54
; %bb.12:
	s_or_b64 exec, exec, s[8:9]
                                        ; implicit-def: $vgpr18_vgpr19
	s_and_saveexec_b64 s[8:9], s[0:1]
	s_cbranch_execnz .LBB182_55
.LBB182_13:
	s_or_b64 exec, exec, s[8:9]
                                        ; implicit-def: $vgpr20_vgpr21
	s_and_saveexec_b64 s[0:1], s[2:3]
	s_cbranch_execnz .LBB182_56
.LBB182_14:
	s_or_b64 exec, exec, s[0:1]
                                        ; implicit-def: $vgpr22_vgpr23
	s_and_saveexec_b64 s[0:1], s[6:7]
	s_cbranch_execz .LBB182_16
.LBB182_15:
	global_load_dwordx2 v[22:23], v[5:6], off offset:1536
.LBB182_16:
	s_or_b64 exec, exec, s[0:1]
	v_mov_b32_e32 v25, v16
.LBB182_17:
	s_load_dwordx2 s[36:37], s[4:5], 0x28
	s_load_dword s0, s[4:5], 0x3c
	v_mov_b32_e32 v26, 0x7fff
	s_waitcnt vmcnt(0)
	v_cmp_gt_i16_e32 vcc, 0, v11
	v_cndmask_b32_e64 v5, v26, 0, vcc
	v_cmp_gt_i16_e32 vcc, 0, v10
	s_waitcnt lgkmcnt(0)
	s_lshr_b32 s1, s0, 16
	s_and_b32 s0, s0, 0xffff
	v_mad_u32_u24 v1, v2, s1, v1
	v_mad_u64_u32 v[1:2], s[0:1], v1, s0, v[0:1]
	v_xor_b32_e32 v45, v5, v11
	v_cndmask_b32_e64 v5, v26, 0, vcc
	v_lshrrev_b32_e32 v1, 4, v1
	v_cmp_gt_i16_e32 vcc, 0, v15
	v_and_b32_e32 v28, 0xffffffc, v1
	v_and_b32_e32 v1, 15, v7
	v_xor_b32_e32 v46, v5, v10
	v_cndmask_b32_e64 v5, v26, 0, vcc
	v_cmp_gt_i16_e32 vcc, 0, v14
	v_cmp_eq_u32_e64 s[0:1], 0, v1
	v_cmp_lt_u32_e64 s[2:3], 1, v1
	v_cmp_lt_u32_e64 s[4:5], 3, v1
	;; [unrolled: 1-line block ×3, first 2 shown]
	v_and_b32_e32 v1, 16, v7
	v_cndmask_b32_e64 v2, v26, 0, vcc
	v_cmp_eq_u32_e64 s[8:9], 0, v1
	v_or_b32_e32 v1, 63, v0
	v_xor_b32_e32 v48, v2, v14
	v_cmp_eq_u32_e64 s[12:13], v0, v1
	v_subrev_co_u32_e64 v1, s[18:19], 1, v7
	v_and_b32_e32 v2, 64, v7
	v_cmp_lt_i32_e32 vcc, v1, v2
	v_and_b32_e32 v2, 3, v7
	v_xor_b32_e32 v47, v5, v15
	v_cmp_lt_u32_e64 s[10:11], 31, v7
	v_cndmask_b32_e32 v1, v1, v7, vcc
	v_cmp_eq_u32_e64 s[22:23], 0, v2
	v_cmp_lt_u32_e64 s[24:25], 1, v2
	v_mul_lo_u32 v2, v25, 6
	v_mul_lo_u32 v5, v9, 6
	;; [unrolled: 1-line block ×4, first 2 shown]
	s_mov_b32 s26, 0
	v_lshlrev_b32_e32 v29, 2, v1
	v_lshrrev_b32_e32 v1, 4, v0
	s_mov_b32 s44, s26
	v_lshlrev_b32_e32 v27, 2, v8
	v_and_b32_e32 v30, 12, v1
	v_mul_i32_i24_e32 v1, -12, v0
	v_lshlrev_b32_e32 v32, 1, v25
	v_lshlrev_b32_e32 v33, 1, v9
	;; [unrolled: 1-line block ×4, first 2 shown]
	s_mov_b32 s27, s26
	s_mov_b32 s45, s26
	v_mov_b32_e32 v13, s26
	v_mov_b32_e32 v15, s44
	s_add_i32 s40, s37, s36
	v_cmp_gt_u32_e64 s[14:15], 4, v0
	v_cmp_lt_u32_e64 s[16:17], 63, v0
	v_cmp_eq_u32_e64 s[20:21], 0, v0
	v_add_u32_e32 v31, -4, v30
	v_mov_b32_e32 v14, s27
	v_mov_b32_e32 v16, s45
	s_movk_i32 s41, 0x8000
	v_mov_b32_e32 v17, 0
	v_add_u32_e32 v36, v27, v1
	v_add_u32_e32 v37, v32, v2
	;; [unrolled: 1-line block ×5, first 2 shown]
	s_branch .LBB182_19
.LBB182_18:                             ;   in Loop: Header=BB182_19 Depth=1
	s_andn2_b64 vcc, exec, s[26:27]
	s_cbranch_vccz .LBB182_35
.LBB182_19:                             ; =>This Inner Loop Header: Depth=1
	v_mov_b32_e32 v44, v45
	s_min_u32 s26, s37, 8
	v_cmp_ne_u16_e32 vcc, s41, v44
	s_lshl_b32 s26, -1, s26
	v_cndmask_b32_e32 v1, v26, v44, vcc
	s_not_b32 s44, s26
	v_lshrrev_b32_sdwa v1, s36, v1 dst_sel:DWORD dst_unused:UNUSED_PAD src0_sel:DWORD src1_sel:WORD_0
	v_and_b32_e32 v1, s44, v1
	v_mov_b32_e32 v12, v4
	v_and_b32_e32 v2, 1, v1
	v_mov_b32_e32 v11, v3
	v_mov_b32_e32 v9, v18
	v_add_co_u32_e32 v4, vcc, -1, v2
	v_mov_b32_e32 v10, v19
	v_addc_co_u32_e64 v18, s[26:27], 0, -1, vcc
	v_cmp_ne_u32_e32 vcc, 0, v2
	v_xor_b32_e32 v2, vcc_hi, v18
	v_lshlrev_b32_e32 v18, 30, v1
	v_xor_b32_e32 v4, vcc_lo, v4
	v_cmp_gt_i64_e32 vcc, 0, v[17:18]
	v_not_b32_e32 v18, v18
	v_ashrrev_i32_e32 v18, 31, v18
	v_and_b32_e32 v4, exec_lo, v4
	v_xor_b32_e32 v19, vcc_hi, v18
	v_xor_b32_e32 v18, vcc_lo, v18
	v_and_b32_e32 v4, v4, v18
	v_lshlrev_b32_e32 v18, 29, v1
	v_cmp_gt_i64_e32 vcc, 0, v[17:18]
	v_not_b32_e32 v18, v18
	v_and_b32_e32 v2, exec_hi, v2
	v_ashrrev_i32_e32 v18, 31, v18
	v_and_b32_e32 v2, v2, v19
	v_xor_b32_e32 v19, vcc_hi, v18
	v_xor_b32_e32 v18, vcc_lo, v18
	v_and_b32_e32 v4, v4, v18
	v_lshlrev_b32_e32 v18, 28, v1
	v_cmp_gt_i64_e32 vcc, 0, v[17:18]
	v_not_b32_e32 v18, v18
	v_ashrrev_i32_e32 v18, 31, v18
	v_and_b32_e32 v2, v2, v19
	v_xor_b32_e32 v19, vcc_hi, v18
	v_xor_b32_e32 v18, vcc_lo, v18
	v_and_b32_e32 v4, v4, v18
	v_lshlrev_b32_e32 v18, 27, v1
	v_cmp_gt_i64_e32 vcc, 0, v[17:18]
	v_not_b32_e32 v18, v18
	;; [unrolled: 8-line block ×4, first 2 shown]
	v_ashrrev_i32_e32 v18, 31, v18
	v_and_b32_e32 v2, v2, v19
	v_xor_b32_e32 v19, vcc_hi, v18
	v_xor_b32_e32 v18, vcc_lo, v18
	v_and_b32_e32 v4, v4, v18
	v_lshlrev_b32_e32 v18, 24, v1
	v_lshlrev_b32_e32 v3, 4, v1
	v_cmp_gt_i64_e32 vcc, 0, v[17:18]
	v_not_b32_e32 v1, v18
	v_ashrrev_i32_e32 v1, 31, v1
	v_xor_b32_e32 v18, vcc_hi, v1
	v_xor_b32_e32 v1, vcc_lo, v1
	v_and_b32_e32 v2, v2, v19
	v_and_b32_e32 v1, v4, v1
	;; [unrolled: 1-line block ×3, first 2 shown]
	v_mbcnt_lo_u32_b32 v4, v1, 0
	v_mbcnt_hi_u32_b32 v19, v2, v4
	v_cmp_ne_u64_e32 vcc, 0, v[1:2]
	v_mov_b32_e32 v7, v20
	v_mov_b32_e32 v5, v22
	v_cmp_eq_u32_e64 s[26:27], 0, v19
	v_mov_b32_e32 v8, v21
	v_mov_b32_e32 v6, v23
	;; [unrolled: 1-line block ×5, first 2 shown]
	s_and_b64 s[46:47], vcc, s[26:27]
	v_add_u32_e32 v20, v28, v3
	ds_write2_b64 v27, v[13:14], v[15:16] offset0:2 offset1:3
	s_waitcnt lgkmcnt(0)
	s_barrier
	; wave barrier
	s_and_saveexec_b64 s[26:27], s[46:47]
; %bb.20:                               ;   in Loop: Header=BB182_19 Depth=1
	v_bcnt_u32_b32 v1, v1, 0
	v_bcnt_u32_b32 v1, v2, v1
	ds_write_b32 v20, v1 offset:16
; %bb.21:                               ;   in Loop: Header=BB182_19 Depth=1
	s_or_b64 exec, exec, s[26:27]
	v_cmp_ne_u16_e32 vcc, s41, v43
	v_cndmask_b32_e32 v1, v26, v43, vcc
	v_lshrrev_b32_sdwa v1, s36, v1 dst_sel:DWORD dst_unused:UNUSED_PAD src0_sel:DWORD src1_sel:WORD_0
	v_and_b32_e32 v1, s44, v1
	v_lshlrev_b32_e32 v2, 4, v1
	v_add_u32_e32 v22, v28, v2
	v_and_b32_e32 v2, 1, v1
	v_add_co_u32_e32 v3, vcc, -1, v2
	v_addc_co_u32_e64 v4, s[26:27], 0, -1, vcc
	v_cmp_ne_u32_e32 vcc, 0, v2
	v_lshlrev_b32_e32 v18, 30, v1
	v_xor_b32_e32 v2, vcc_hi, v4
	v_xor_b32_e32 v3, vcc_lo, v3
	v_cmp_gt_i64_e32 vcc, 0, v[17:18]
	v_not_b32_e32 v4, v18
	v_ashrrev_i32_e32 v4, 31, v4
	v_and_b32_e32 v2, exec_hi, v2
	v_xor_b32_e32 v18, vcc_hi, v4
	v_and_b32_e32 v3, exec_lo, v3
	v_xor_b32_e32 v4, vcc_lo, v4
	v_and_b32_e32 v2, v2, v18
	v_lshlrev_b32_e32 v18, 29, v1
	v_and_b32_e32 v3, v3, v4
	v_cmp_gt_i64_e32 vcc, 0, v[17:18]
	v_not_b32_e32 v4, v18
	v_ashrrev_i32_e32 v4, 31, v4
	v_xor_b32_e32 v18, vcc_hi, v4
	v_xor_b32_e32 v4, vcc_lo, v4
	v_and_b32_e32 v2, v2, v18
	v_lshlrev_b32_e32 v18, 28, v1
	v_and_b32_e32 v3, v3, v4
	v_cmp_gt_i64_e32 vcc, 0, v[17:18]
	v_not_b32_e32 v4, v18
	v_ashrrev_i32_e32 v4, 31, v4
	v_xor_b32_e32 v18, vcc_hi, v4
	;; [unrolled: 8-line block ×5, first 2 shown]
	v_and_b32_e32 v2, v2, v18
	v_lshlrev_b32_e32 v18, 24, v1
	v_xor_b32_e32 v4, vcc_lo, v4
	v_cmp_gt_i64_e32 vcc, 0, v[17:18]
	v_not_b32_e32 v1, v18
	v_ashrrev_i32_e32 v1, 31, v1
	v_and_b32_e32 v3, v3, v4
	v_xor_b32_e32 v4, vcc_hi, v1
	v_xor_b32_e32 v1, vcc_lo, v1
	; wave barrier
	ds_read_b32 v21, v22 offset:16
	v_and_b32_e32 v1, v3, v1
	v_and_b32_e32 v2, v2, v4
	v_mbcnt_lo_u32_b32 v3, v1, 0
	v_mbcnt_hi_u32_b32 v23, v2, v3
	v_cmp_ne_u64_e32 vcc, 0, v[1:2]
	v_cmp_eq_u32_e64 s[26:27], 0, v23
	s_and_b64 s[46:47], vcc, s[26:27]
	; wave barrier
	s_and_saveexec_b64 s[26:27], s[46:47]
	s_cbranch_execz .LBB182_23
; %bb.22:                               ;   in Loop: Header=BB182_19 Depth=1
	v_bcnt_u32_b32 v1, v1, 0
	v_bcnt_u32_b32 v1, v2, v1
	s_waitcnt lgkmcnt(0)
	v_add_u32_e32 v1, v21, v1
	ds_write_b32 v22, v1 offset:16
.LBB182_23:                             ;   in Loop: Header=BB182_19 Depth=1
	s_or_b64 exec, exec, s[26:27]
	v_cmp_ne_u16_e32 vcc, s41, v42
	v_cndmask_b32_e32 v1, v26, v42, vcc
	v_lshrrev_b32_sdwa v1, s36, v1 dst_sel:DWORD dst_unused:UNUSED_PAD src0_sel:DWORD src1_sel:WORD_0
	v_and_b32_e32 v1, s44, v1
	v_lshlrev_b32_e32 v2, 4, v1
	v_add_u32_e32 v25, v28, v2
	v_and_b32_e32 v2, 1, v1
	v_add_co_u32_e32 v3, vcc, -1, v2
	v_addc_co_u32_e64 v4, s[26:27], 0, -1, vcc
	v_cmp_ne_u32_e32 vcc, 0, v2
	v_lshlrev_b32_e32 v18, 30, v1
	v_xor_b32_e32 v2, vcc_hi, v4
	v_xor_b32_e32 v3, vcc_lo, v3
	v_cmp_gt_i64_e32 vcc, 0, v[17:18]
	v_not_b32_e32 v4, v18
	v_ashrrev_i32_e32 v4, 31, v4
	v_and_b32_e32 v2, exec_hi, v2
	v_xor_b32_e32 v18, vcc_hi, v4
	v_and_b32_e32 v3, exec_lo, v3
	v_xor_b32_e32 v4, vcc_lo, v4
	v_and_b32_e32 v2, v2, v18
	v_lshlrev_b32_e32 v18, 29, v1
	v_and_b32_e32 v3, v3, v4
	v_cmp_gt_i64_e32 vcc, 0, v[17:18]
	v_not_b32_e32 v4, v18
	v_ashrrev_i32_e32 v4, 31, v4
	v_xor_b32_e32 v18, vcc_hi, v4
	v_xor_b32_e32 v4, vcc_lo, v4
	v_and_b32_e32 v2, v2, v18
	v_lshlrev_b32_e32 v18, 28, v1
	v_and_b32_e32 v3, v3, v4
	v_cmp_gt_i64_e32 vcc, 0, v[17:18]
	v_not_b32_e32 v4, v18
	v_ashrrev_i32_e32 v4, 31, v4
	v_xor_b32_e32 v18, vcc_hi, v4
	;; [unrolled: 8-line block ×5, first 2 shown]
	v_and_b32_e32 v2, v2, v18
	v_lshlrev_b32_e32 v18, 24, v1
	v_xor_b32_e32 v4, vcc_lo, v4
	v_cmp_gt_i64_e32 vcc, 0, v[17:18]
	v_not_b32_e32 v1, v18
	v_ashrrev_i32_e32 v1, 31, v1
	v_and_b32_e32 v3, v3, v4
	v_xor_b32_e32 v4, vcc_hi, v1
	v_xor_b32_e32 v1, vcc_lo, v1
	; wave barrier
	ds_read_b32 v24, v25 offset:16
	v_and_b32_e32 v1, v3, v1
	v_and_b32_e32 v2, v2, v4
	v_mbcnt_lo_u32_b32 v3, v1, 0
	v_mbcnt_hi_u32_b32 v45, v2, v3
	v_cmp_ne_u64_e32 vcc, 0, v[1:2]
	v_cmp_eq_u32_e64 s[26:27], 0, v45
	s_and_b64 s[46:47], vcc, s[26:27]
	; wave barrier
	s_and_saveexec_b64 s[26:27], s[46:47]
	s_cbranch_execz .LBB182_25
; %bb.24:                               ;   in Loop: Header=BB182_19 Depth=1
	v_bcnt_u32_b32 v1, v1, 0
	v_bcnt_u32_b32 v1, v2, v1
	s_waitcnt lgkmcnt(0)
	v_add_u32_e32 v1, v24, v1
	ds_write_b32 v25, v1 offset:16
.LBB182_25:                             ;   in Loop: Header=BB182_19 Depth=1
	s_or_b64 exec, exec, s[26:27]
	v_cmp_ne_u16_e32 vcc, s41, v41
	v_cndmask_b32_e32 v1, v26, v41, vcc
	v_lshrrev_b32_sdwa v1, s36, v1 dst_sel:DWORD dst_unused:UNUSED_PAD src0_sel:DWORD src1_sel:WORD_0
	v_and_b32_e32 v1, s44, v1
	v_lshlrev_b32_e32 v2, 4, v1
	v_add_u32_e32 v47, v28, v2
	v_and_b32_e32 v2, 1, v1
	v_add_co_u32_e32 v3, vcc, -1, v2
	v_addc_co_u32_e64 v4, s[26:27], 0, -1, vcc
	v_cmp_ne_u32_e32 vcc, 0, v2
	v_lshlrev_b32_e32 v18, 30, v1
	v_xor_b32_e32 v2, vcc_hi, v4
	v_xor_b32_e32 v3, vcc_lo, v3
	v_cmp_gt_i64_e32 vcc, 0, v[17:18]
	v_not_b32_e32 v4, v18
	v_ashrrev_i32_e32 v4, 31, v4
	v_and_b32_e32 v2, exec_hi, v2
	v_xor_b32_e32 v18, vcc_hi, v4
	v_and_b32_e32 v3, exec_lo, v3
	v_xor_b32_e32 v4, vcc_lo, v4
	v_and_b32_e32 v2, v2, v18
	v_lshlrev_b32_e32 v18, 29, v1
	v_and_b32_e32 v3, v3, v4
	v_cmp_gt_i64_e32 vcc, 0, v[17:18]
	v_not_b32_e32 v4, v18
	v_ashrrev_i32_e32 v4, 31, v4
	v_xor_b32_e32 v18, vcc_hi, v4
	v_xor_b32_e32 v4, vcc_lo, v4
	v_and_b32_e32 v2, v2, v18
	v_lshlrev_b32_e32 v18, 28, v1
	v_and_b32_e32 v3, v3, v4
	v_cmp_gt_i64_e32 vcc, 0, v[17:18]
	v_not_b32_e32 v4, v18
	v_ashrrev_i32_e32 v4, 31, v4
	v_xor_b32_e32 v18, vcc_hi, v4
	;; [unrolled: 8-line block ×5, first 2 shown]
	v_and_b32_e32 v2, v2, v18
	v_lshlrev_b32_e32 v18, 24, v1
	v_xor_b32_e32 v4, vcc_lo, v4
	v_cmp_gt_i64_e32 vcc, 0, v[17:18]
	v_not_b32_e32 v1, v18
	v_ashrrev_i32_e32 v1, 31, v1
	v_and_b32_e32 v3, v3, v4
	v_xor_b32_e32 v4, vcc_hi, v1
	v_xor_b32_e32 v1, vcc_lo, v1
	; wave barrier
	ds_read_b32 v46, v47 offset:16
	v_and_b32_e32 v1, v3, v1
	v_and_b32_e32 v2, v2, v4
	v_mbcnt_lo_u32_b32 v3, v1, 0
	v_mbcnt_hi_u32_b32 v18, v2, v3
	v_cmp_ne_u64_e32 vcc, 0, v[1:2]
	v_cmp_eq_u32_e64 s[26:27], 0, v18
	s_and_b64 s[44:45], vcc, s[26:27]
	; wave barrier
	s_and_saveexec_b64 s[26:27], s[44:45]
	s_cbranch_execz .LBB182_27
; %bb.26:                               ;   in Loop: Header=BB182_19 Depth=1
	v_bcnt_u32_b32 v1, v1, 0
	v_bcnt_u32_b32 v1, v2, v1
	s_waitcnt lgkmcnt(0)
	v_add_u32_e32 v1, v46, v1
	ds_write_b32 v47, v1 offset:16
.LBB182_27:                             ;   in Loop: Header=BB182_19 Depth=1
	s_or_b64 exec, exec, s[26:27]
	; wave barrier
	s_waitcnt lgkmcnt(0)
	s_barrier
	ds_read2_b64 v[1:4], v27 offset0:2 offset1:3
	s_waitcnt lgkmcnt(0)
	v_add_u32_e32 v48, v2, v1
	v_add3_u32 v4, v48, v3, v4
	s_nop 1
	v_mov_b32_dpp v48, v4 row_shr:1 row_mask:0xf bank_mask:0xf
	v_cndmask_b32_e64 v48, v48, 0, s[0:1]
	v_add_u32_e32 v4, v48, v4
	s_nop 1
	v_mov_b32_dpp v48, v4 row_shr:2 row_mask:0xf bank_mask:0xf
	v_cndmask_b32_e64 v48, 0, v48, s[2:3]
	v_add_u32_e32 v4, v4, v48
	;; [unrolled: 4-line block ×4, first 2 shown]
	s_nop 1
	v_mov_b32_dpp v48, v4 row_bcast:15 row_mask:0xf bank_mask:0xf
	v_cndmask_b32_e64 v48, v48, 0, s[8:9]
	v_add_u32_e32 v4, v4, v48
	s_nop 1
	v_mov_b32_dpp v48, v4 row_bcast:31 row_mask:0xf bank_mask:0xf
	v_cndmask_b32_e64 v48, 0, v48, s[10:11]
	v_add_u32_e32 v4, v4, v48
	s_and_saveexec_b64 s[26:27], s[12:13]
; %bb.28:                               ;   in Loop: Header=BB182_19 Depth=1
	ds_write_b32 v30, v4
; %bb.29:                               ;   in Loop: Header=BB182_19 Depth=1
	s_or_b64 exec, exec, s[26:27]
	s_waitcnt lgkmcnt(0)
	s_barrier
	s_and_saveexec_b64 s[26:27], s[14:15]
	s_cbranch_execz .LBB182_31
; %bb.30:                               ;   in Loop: Header=BB182_19 Depth=1
	ds_read_b32 v48, v36
	s_waitcnt lgkmcnt(0)
	s_nop 0
	v_mov_b32_dpp v49, v48 row_shr:1 row_mask:0xf bank_mask:0xf
	v_cndmask_b32_e64 v49, v49, 0, s[22:23]
	v_add_u32_e32 v48, v49, v48
	s_nop 1
	v_mov_b32_dpp v49, v48 row_shr:2 row_mask:0xf bank_mask:0xf
	v_cndmask_b32_e64 v49, 0, v49, s[24:25]
	v_add_u32_e32 v48, v48, v49
	ds_write_b32 v36, v48
.LBB182_31:                             ;   in Loop: Header=BB182_19 Depth=1
	s_or_b64 exec, exec, s[26:27]
	v_mov_b32_e32 v48, 0
	s_waitcnt lgkmcnt(0)
	s_barrier
	s_and_saveexec_b64 s[26:27], s[16:17]
; %bb.32:                               ;   in Loop: Header=BB182_19 Depth=1
	ds_read_b32 v48, v31
; %bb.33:                               ;   in Loop: Header=BB182_19 Depth=1
	s_or_b64 exec, exec, s[26:27]
	s_waitcnt lgkmcnt(0)
	v_add_u32_e32 v4, v48, v4
	ds_bpermute_b32 v4, v29, v4
	s_add_i32 s36, s36, 8
	s_cmp_ge_u32 s36, s40
	s_mov_b64 s[26:27], -1
	s_waitcnt lgkmcnt(0)
	v_cndmask_b32_e64 v4, v4, v48, s[18:19]
	v_cndmask_b32_e64 v48, v4, 0, s[20:21]
	v_add_u32_e32 v49, v48, v1
	v_add_u32_e32 v1, v49, v2
	;; [unrolled: 1-line block ×3, first 2 shown]
	ds_write2_b64 v27, v[48:49], v[1:2] offset0:2 offset1:3
	s_waitcnt lgkmcnt(0)
	s_barrier
	ds_read_b32 v1, v20 offset:16
	ds_read_b32 v2, v22 offset:16
	;; [unrolled: 1-line block ×4, first 2 shown]
	s_waitcnt lgkmcnt(0)
	v_add_u32_e32 v52, v1, v19
	v_add3_u32 v51, v23, v21, v2
	v_add3_u32 v50, v45, v24, v3
	;; [unrolled: 1-line block ×3, first 2 shown]
	v_lshlrev_b32_e32 v25, 1, v52
	v_lshlrev_b32_e32 v24, 1, v51
	;; [unrolled: 1-line block ×4, first 2 shown]
                                        ; implicit-def: $vgpr3_vgpr4
                                        ; implicit-def: $vgpr18_vgpr19
                                        ; implicit-def: $vgpr20_vgpr21
                                        ; implicit-def: $vgpr22_vgpr23
                                        ; implicit-def: $vgpr45
                                        ; implicit-def: $vgpr46
                                        ; implicit-def: $vgpr47
                                        ; implicit-def: $vgpr48
	s_cbranch_scc1 .LBB182_18
; %bb.34:                               ;   in Loop: Header=BB182_19 Depth=1
	v_mad_u64_u32 v[3:4], s[26:27], v52, 6, v[25:26]
	v_mad_u64_u32 v[18:19], s[26:27], v51, 6, v[24:25]
	;; [unrolled: 1-line block ×4, first 2 shown]
	s_barrier
	ds_write_b16 v25, v44
	ds_write_b16 v24, v43
	;; [unrolled: 1-line block ×4, first 2 shown]
	s_waitcnt lgkmcnt(0)
	s_barrier
	ds_read_u16 v45, v32
	ds_read_u16 v46, v33
	;; [unrolled: 1-line block ×4, first 2 shown]
	s_waitcnt lgkmcnt(0)
	s_barrier
	ds_write_b64 v3, v[11:12]
	ds_write_b64 v18, v[9:10]
	;; [unrolled: 1-line block ×4, first 2 shown]
	s_waitcnt lgkmcnt(0)
	s_barrier
	ds_read_b64 v[3:4], v37
	ds_read_b64 v[18:19], v38
	;; [unrolled: 1-line block ×4, first 2 shown]
	s_add_i32 s37, s37, -8
	s_mov_b64 s[26:27], 0
	s_waitcnt lgkmcnt(0)
	s_barrier
	s_branch .LBB182_18
.LBB182_35:
	v_mad_u64_u32 v[3:4], s[0:1], v52, 6, v[25:26]
	v_lshlrev_b32_e32 v16, 1, v0
	v_mad_u64_u32 v[13:14], s[0:1], v51, 6, v[24:25]
	s_barrier
	ds_write_b16 v25, v44
	ds_write_b16 v24, v43
	;; [unrolled: 1-line block ×4, first 2 shown]
	s_waitcnt lgkmcnt(0)
	s_barrier
	ds_read_u16 v17, v16
	ds_read_u16 v18, v16 offset:512
	ds_read_u16 v19, v16 offset:1024
	;; [unrolled: 1-line block ×3, first 2 shown]
	v_mad_u64_u32 v[14:15], s[0:1], v50, 6, v[2:3]
	v_mad_u64_u32 v[1:2], s[0:1], v49, 6, v[1:2]
	s_waitcnt lgkmcnt(0)
	s_barrier
	ds_write_b64 v3, v[11:12]
	ds_write_b64 v13, v[9:10]
	;; [unrolled: 1-line block ×4, first 2 shown]
	v_mov_b32_e32 v9, 0x7fff
	v_cmp_gt_i16_e32 vcc, 0, v17
	v_cndmask_b32_e64 v10, v9, 0, vcc
	v_cmp_gt_i16_e32 vcc, 0, v18
	v_mad_u32_u24 v1, v0, 6, v16
	v_xor_b32_e32 v15, v10, v17
	v_cndmask_b32_e64 v10, v9, 0, vcc
	v_cmp_gt_i16_e32 vcc, 0, v19
	s_waitcnt lgkmcnt(0)
	s_barrier
	ds_read2st64_b64 v[5:8], v1 offset1:4
	ds_read2st64_b64 v[1:4], v1 offset0:8 offset1:12
	v_xor_b32_e32 v14, v10, v18
	v_cndmask_b32_e64 v10, v9, 0, vcc
	v_cmp_gt_i16_e32 vcc, 0, v20
	s_add_u32 s0, s38, s34
	v_cndmask_b32_e64 v9, v9, 0, vcc
	s_addc_u32 s1, s39, s35
	v_xor_b32_e32 v13, v10, v19
	v_xor_b32_e32 v12, v9, v20
	v_mov_b32_e32 v10, s1
	v_add_co_u32_e32 v9, vcc, s0, v16
	v_addc_co_u32_e32 v10, vcc, 0, v10, vcc
	s_andn2_b64 vcc, exec, s[30:31]
	v_lshlrev_b32_e32 v11, 3, v0
	s_cbranch_vccnz .LBB182_37
; %bb.36:
	s_lshl_b64 s[0:1], s[28:29], 3
	s_add_u32 s0, s42, s0
	s_addc_u32 s1, s43, s1
	v_mov_b32_e32 v16, s1
	v_add_co_u32_e32 v17, vcc, s0, v11
	v_addc_co_u32_e32 v18, vcc, 0, v16, vcc
	v_add_co_u32_e32 v16, vcc, 0x1000, v17
	global_store_short v[9:10], v15, off
	global_store_short v[9:10], v14, off offset:512
	global_store_short v[9:10], v13, off offset:1024
	;; [unrolled: 1-line block ×3, first 2 shown]
	s_waitcnt lgkmcnt(1)
	global_store_dwordx2 v11, v[5:6], s[0:1]
	global_store_dwordx2 v11, v[7:8], s[0:1] offset:2048
	v_addc_co_u32_e32 v17, vcc, 0, v18, vcc
	s_mov_b64 s[6:7], -1
	s_waitcnt lgkmcnt(0)
	global_store_dwordx2 v[16:17], v[1:2], off
	s_cbranch_execz .LBB182_38
	s_branch .LBB182_51
.LBB182_37:
	s_mov_b64 s[6:7], 0
.LBB182_38:
	v_cmp_gt_u32_e32 vcc, s33, v0
	s_and_saveexec_b64 s[0:1], vcc
	s_cbranch_execz .LBB182_40
; %bb.39:
	global_store_short v[9:10], v15, off
.LBB182_40:
	s_or_b64 exec, exec, s[0:1]
	v_or_b32_e32 v15, 0x100, v0
	v_cmp_gt_u32_e64 s[0:1], s33, v15
	s_and_saveexec_b64 s[2:3], s[0:1]
	s_cbranch_execz .LBB182_42
; %bb.41:
	global_store_short v[9:10], v14, off offset:512
.LBB182_42:
	s_or_b64 exec, exec, s[2:3]
	v_or_b32_e32 v14, 0x200, v0
	v_cmp_gt_u32_e64 s[2:3], s33, v14
	s_and_saveexec_b64 s[4:5], s[2:3]
	s_cbranch_execz .LBB182_44
; %bb.43:
	global_store_short v[9:10], v13, off offset:1024
.LBB182_44:
	;; [unrolled: 8-line block ×3, first 2 shown]
	s_or_b64 exec, exec, s[4:5]
	s_lshl_b64 s[4:5], s[28:29], 3
	s_add_u32 s4, s42, s4
	s_addc_u32 s5, s43, s5
	v_mov_b32_e32 v0, s5
	v_add_co_u32_e64 v9, s[4:5], s4, v11
	v_addc_co_u32_e64 v10, s[4:5], 0, v0, s[4:5]
	s_and_saveexec_b64 s[4:5], vcc
	s_cbranch_execnz .LBB182_57
; %bb.47:
	s_or_b64 exec, exec, s[4:5]
	s_and_saveexec_b64 s[4:5], s[0:1]
	s_cbranch_execnz .LBB182_58
.LBB182_48:
	s_or_b64 exec, exec, s[4:5]
	s_and_saveexec_b64 s[0:1], s[2:3]
	s_cbranch_execz .LBB182_50
.LBB182_49:
	s_waitcnt lgkmcnt(1)
	v_add_co_u32_e32 v5, vcc, 0x1000, v9
	v_addc_co_u32_e32 v6, vcc, 0, v10, vcc
	s_waitcnt lgkmcnt(0)
	global_store_dwordx2 v[5:6], v[1:2], off
.LBB182_50:
	s_or_b64 exec, exec, s[0:1]
.LBB182_51:
	s_and_saveexec_b64 s[0:1], s[6:7]
	s_cbranch_execnz .LBB182_53
; %bb.52:
	s_endpgm
.LBB182_53:
	s_lshl_b64 s[0:1], s[28:29], 3
	s_add_u32 s0, s42, s0
	s_addc_u32 s1, s43, s1
	v_mov_b32_e32 v0, s1
	s_waitcnt lgkmcnt(0)
	v_add_co_u32_e32 v1, vcc, s0, v11
	v_addc_co_u32_e32 v2, vcc, 0, v0, vcc
	v_add_co_u32_e32 v0, vcc, 0x1000, v1
	v_addc_co_u32_e32 v1, vcc, 0, v2, vcc
	global_store_dwordx2 v[0:1], v[3:4], off offset:2048
	s_endpgm
.LBB182_54:
	global_load_dwordx2 v[3:4], v[5:6], off
	s_or_b64 exec, exec, s[8:9]
                                        ; implicit-def: $vgpr18_vgpr19
	s_and_saveexec_b64 s[8:9], s[0:1]
	s_cbranch_execz .LBB182_13
.LBB182_55:
	global_load_dwordx2 v[18:19], v[5:6], off offset:512
	s_or_b64 exec, exec, s[8:9]
                                        ; implicit-def: $vgpr20_vgpr21
	s_and_saveexec_b64 s[0:1], s[2:3]
	s_cbranch_execz .LBB182_14
.LBB182_56:
	global_load_dwordx2 v[20:21], v[5:6], off offset:1024
	s_or_b64 exec, exec, s[0:1]
                                        ; implicit-def: $vgpr22_vgpr23
	s_and_saveexec_b64 s[0:1], s[6:7]
	s_cbranch_execnz .LBB182_15
	s_branch .LBB182_16
.LBB182_57:
	s_waitcnt lgkmcnt(1)
	global_store_dwordx2 v[9:10], v[5:6], off
	s_or_b64 exec, exec, s[4:5]
	s_and_saveexec_b64 s[4:5], s[0:1]
	s_cbranch_execz .LBB182_48
.LBB182_58:
	s_waitcnt lgkmcnt(1)
	global_store_dwordx2 v[9:10], v[7:8], off offset:2048
	s_or_b64 exec, exec, s[4:5]
	s_and_saveexec_b64 s[0:1], s[2:3]
	s_cbranch_execnz .LBB182_49
	s_branch .LBB182_50
	.section	.rodata,"a",@progbits
	.p2align	6, 0x0
	.amdhsa_kernel _ZN7rocprim17ROCPRIM_304000_NS6detail28radix_sort_block_sort_kernelINS1_36wrapped_radix_sort_block_sort_configINS0_13kernel_configILj256ELj4ELj4294967295EEE6__halfN2at4cuda3cub6detail10OpaqueTypeILi8EEEEELb1EPKS6_PS6_PKSC_PSC_NS0_19identity_decomposerEEEvT1_T2_T3_T4_jT5_jj
		.amdhsa_group_segment_fixed_size 8192
		.amdhsa_private_segment_fixed_size 0
		.amdhsa_kernarg_size 304
		.amdhsa_user_sgpr_count 6
		.amdhsa_user_sgpr_private_segment_buffer 1
		.amdhsa_user_sgpr_dispatch_ptr 0
		.amdhsa_user_sgpr_queue_ptr 0
		.amdhsa_user_sgpr_kernarg_segment_ptr 1
		.amdhsa_user_sgpr_dispatch_id 0
		.amdhsa_user_sgpr_flat_scratch_init 0
		.amdhsa_user_sgpr_private_segment_size 0
		.amdhsa_uses_dynamic_stack 0
		.amdhsa_system_sgpr_private_segment_wavefront_offset 0
		.amdhsa_system_sgpr_workgroup_id_x 1
		.amdhsa_system_sgpr_workgroup_id_y 0
		.amdhsa_system_sgpr_workgroup_id_z 0
		.amdhsa_system_sgpr_workgroup_info 0
		.amdhsa_system_vgpr_workitem_id 2
		.amdhsa_next_free_vgpr 53
		.amdhsa_next_free_sgpr 61
		.amdhsa_reserve_vcc 1
		.amdhsa_reserve_flat_scratch 0
		.amdhsa_float_round_mode_32 0
		.amdhsa_float_round_mode_16_64 0
		.amdhsa_float_denorm_mode_32 3
		.amdhsa_float_denorm_mode_16_64 3
		.amdhsa_dx10_clamp 1
		.amdhsa_ieee_mode 1
		.amdhsa_fp16_overflow 0
		.amdhsa_exception_fp_ieee_invalid_op 0
		.amdhsa_exception_fp_denorm_src 0
		.amdhsa_exception_fp_ieee_div_zero 0
		.amdhsa_exception_fp_ieee_overflow 0
		.amdhsa_exception_fp_ieee_underflow 0
		.amdhsa_exception_fp_ieee_inexact 0
		.amdhsa_exception_int_div_zero 0
	.end_amdhsa_kernel
	.section	.text._ZN7rocprim17ROCPRIM_304000_NS6detail28radix_sort_block_sort_kernelINS1_36wrapped_radix_sort_block_sort_configINS0_13kernel_configILj256ELj4ELj4294967295EEE6__halfN2at4cuda3cub6detail10OpaqueTypeILi8EEEEELb1EPKS6_PS6_PKSC_PSC_NS0_19identity_decomposerEEEvT1_T2_T3_T4_jT5_jj,"axG",@progbits,_ZN7rocprim17ROCPRIM_304000_NS6detail28radix_sort_block_sort_kernelINS1_36wrapped_radix_sort_block_sort_configINS0_13kernel_configILj256ELj4ELj4294967295EEE6__halfN2at4cuda3cub6detail10OpaqueTypeILi8EEEEELb1EPKS6_PS6_PKSC_PSC_NS0_19identity_decomposerEEEvT1_T2_T3_T4_jT5_jj,comdat
.Lfunc_end182:
	.size	_ZN7rocprim17ROCPRIM_304000_NS6detail28radix_sort_block_sort_kernelINS1_36wrapped_radix_sort_block_sort_configINS0_13kernel_configILj256ELj4ELj4294967295EEE6__halfN2at4cuda3cub6detail10OpaqueTypeILi8EEEEELb1EPKS6_PS6_PKSC_PSC_NS0_19identity_decomposerEEEvT1_T2_T3_T4_jT5_jj, .Lfunc_end182-_ZN7rocprim17ROCPRIM_304000_NS6detail28radix_sort_block_sort_kernelINS1_36wrapped_radix_sort_block_sort_configINS0_13kernel_configILj256ELj4ELj4294967295EEE6__halfN2at4cuda3cub6detail10OpaqueTypeILi8EEEEELb1EPKS6_PS6_PKSC_PSC_NS0_19identity_decomposerEEEvT1_T2_T3_T4_jT5_jj
                                        ; -- End function
	.set _ZN7rocprim17ROCPRIM_304000_NS6detail28radix_sort_block_sort_kernelINS1_36wrapped_radix_sort_block_sort_configINS0_13kernel_configILj256ELj4ELj4294967295EEE6__halfN2at4cuda3cub6detail10OpaqueTypeILi8EEEEELb1EPKS6_PS6_PKSC_PSC_NS0_19identity_decomposerEEEvT1_T2_T3_T4_jT5_jj.num_vgpr, 53
	.set _ZN7rocprim17ROCPRIM_304000_NS6detail28radix_sort_block_sort_kernelINS1_36wrapped_radix_sort_block_sort_configINS0_13kernel_configILj256ELj4ELj4294967295EEE6__halfN2at4cuda3cub6detail10OpaqueTypeILi8EEEEELb1EPKS6_PS6_PKSC_PSC_NS0_19identity_decomposerEEEvT1_T2_T3_T4_jT5_jj.num_agpr, 0
	.set _ZN7rocprim17ROCPRIM_304000_NS6detail28radix_sort_block_sort_kernelINS1_36wrapped_radix_sort_block_sort_configINS0_13kernel_configILj256ELj4ELj4294967295EEE6__halfN2at4cuda3cub6detail10OpaqueTypeILi8EEEEELb1EPKS6_PS6_PKSC_PSC_NS0_19identity_decomposerEEEvT1_T2_T3_T4_jT5_jj.numbered_sgpr, 48
	.set _ZN7rocprim17ROCPRIM_304000_NS6detail28radix_sort_block_sort_kernelINS1_36wrapped_radix_sort_block_sort_configINS0_13kernel_configILj256ELj4ELj4294967295EEE6__halfN2at4cuda3cub6detail10OpaqueTypeILi8EEEEELb1EPKS6_PS6_PKSC_PSC_NS0_19identity_decomposerEEEvT1_T2_T3_T4_jT5_jj.num_named_barrier, 0
	.set _ZN7rocprim17ROCPRIM_304000_NS6detail28radix_sort_block_sort_kernelINS1_36wrapped_radix_sort_block_sort_configINS0_13kernel_configILj256ELj4ELj4294967295EEE6__halfN2at4cuda3cub6detail10OpaqueTypeILi8EEEEELb1EPKS6_PS6_PKSC_PSC_NS0_19identity_decomposerEEEvT1_T2_T3_T4_jT5_jj.private_seg_size, 0
	.set _ZN7rocprim17ROCPRIM_304000_NS6detail28radix_sort_block_sort_kernelINS1_36wrapped_radix_sort_block_sort_configINS0_13kernel_configILj256ELj4ELj4294967295EEE6__halfN2at4cuda3cub6detail10OpaqueTypeILi8EEEEELb1EPKS6_PS6_PKSC_PSC_NS0_19identity_decomposerEEEvT1_T2_T3_T4_jT5_jj.uses_vcc, 1
	.set _ZN7rocprim17ROCPRIM_304000_NS6detail28radix_sort_block_sort_kernelINS1_36wrapped_radix_sort_block_sort_configINS0_13kernel_configILj256ELj4ELj4294967295EEE6__halfN2at4cuda3cub6detail10OpaqueTypeILi8EEEEELb1EPKS6_PS6_PKSC_PSC_NS0_19identity_decomposerEEEvT1_T2_T3_T4_jT5_jj.uses_flat_scratch, 0
	.set _ZN7rocprim17ROCPRIM_304000_NS6detail28radix_sort_block_sort_kernelINS1_36wrapped_radix_sort_block_sort_configINS0_13kernel_configILj256ELj4ELj4294967295EEE6__halfN2at4cuda3cub6detail10OpaqueTypeILi8EEEEELb1EPKS6_PS6_PKSC_PSC_NS0_19identity_decomposerEEEvT1_T2_T3_T4_jT5_jj.has_dyn_sized_stack, 0
	.set _ZN7rocprim17ROCPRIM_304000_NS6detail28radix_sort_block_sort_kernelINS1_36wrapped_radix_sort_block_sort_configINS0_13kernel_configILj256ELj4ELj4294967295EEE6__halfN2at4cuda3cub6detail10OpaqueTypeILi8EEEEELb1EPKS6_PS6_PKSC_PSC_NS0_19identity_decomposerEEEvT1_T2_T3_T4_jT5_jj.has_recursion, 0
	.set _ZN7rocprim17ROCPRIM_304000_NS6detail28radix_sort_block_sort_kernelINS1_36wrapped_radix_sort_block_sort_configINS0_13kernel_configILj256ELj4ELj4294967295EEE6__halfN2at4cuda3cub6detail10OpaqueTypeILi8EEEEELb1EPKS6_PS6_PKSC_PSC_NS0_19identity_decomposerEEEvT1_T2_T3_T4_jT5_jj.has_indirect_call, 0
	.section	.AMDGPU.csdata,"",@progbits
; Kernel info:
; codeLenInByte = 3976
; TotalNumSgprs: 52
; NumVgprs: 53
; ScratchSize: 0
; MemoryBound: 0
; FloatMode: 240
; IeeeMode: 1
; LDSByteSize: 8192 bytes/workgroup (compile time only)
; SGPRBlocks: 8
; VGPRBlocks: 13
; NumSGPRsForWavesPerEU: 65
; NumVGPRsForWavesPerEU: 53
; Occupancy: 4
; WaveLimiterHint : 1
; COMPUTE_PGM_RSRC2:SCRATCH_EN: 0
; COMPUTE_PGM_RSRC2:USER_SGPR: 6
; COMPUTE_PGM_RSRC2:TRAP_HANDLER: 0
; COMPUTE_PGM_RSRC2:TGID_X_EN: 1
; COMPUTE_PGM_RSRC2:TGID_Y_EN: 0
; COMPUTE_PGM_RSRC2:TGID_Z_EN: 0
; COMPUTE_PGM_RSRC2:TIDIG_COMP_CNT: 2
	.section	.text._ZN7rocprim17ROCPRIM_304000_NS6detail39device_merge_sort_compile_time_verifierINS1_36wrapped_merge_sort_block_sort_configINS1_28merge_sort_block_sort_configILj256ELj4ELNS0_20block_sort_algorithmE0EEE6__halfN2at4cuda3cub6detail10OpaqueTypeILi8EEEEENS1_37wrapped_merge_sort_block_merge_configINS0_14default_configES7_SD_EEEEvv,"axG",@progbits,_ZN7rocprim17ROCPRIM_304000_NS6detail39device_merge_sort_compile_time_verifierINS1_36wrapped_merge_sort_block_sort_configINS1_28merge_sort_block_sort_configILj256ELj4ELNS0_20block_sort_algorithmE0EEE6__halfN2at4cuda3cub6detail10OpaqueTypeILi8EEEEENS1_37wrapped_merge_sort_block_merge_configINS0_14default_configES7_SD_EEEEvv,comdat
	.protected	_ZN7rocprim17ROCPRIM_304000_NS6detail39device_merge_sort_compile_time_verifierINS1_36wrapped_merge_sort_block_sort_configINS1_28merge_sort_block_sort_configILj256ELj4ELNS0_20block_sort_algorithmE0EEE6__halfN2at4cuda3cub6detail10OpaqueTypeILi8EEEEENS1_37wrapped_merge_sort_block_merge_configINS0_14default_configES7_SD_EEEEvv ; -- Begin function _ZN7rocprim17ROCPRIM_304000_NS6detail39device_merge_sort_compile_time_verifierINS1_36wrapped_merge_sort_block_sort_configINS1_28merge_sort_block_sort_configILj256ELj4ELNS0_20block_sort_algorithmE0EEE6__halfN2at4cuda3cub6detail10OpaqueTypeILi8EEEEENS1_37wrapped_merge_sort_block_merge_configINS0_14default_configES7_SD_EEEEvv
	.globl	_ZN7rocprim17ROCPRIM_304000_NS6detail39device_merge_sort_compile_time_verifierINS1_36wrapped_merge_sort_block_sort_configINS1_28merge_sort_block_sort_configILj256ELj4ELNS0_20block_sort_algorithmE0EEE6__halfN2at4cuda3cub6detail10OpaqueTypeILi8EEEEENS1_37wrapped_merge_sort_block_merge_configINS0_14default_configES7_SD_EEEEvv
	.p2align	8
	.type	_ZN7rocprim17ROCPRIM_304000_NS6detail39device_merge_sort_compile_time_verifierINS1_36wrapped_merge_sort_block_sort_configINS1_28merge_sort_block_sort_configILj256ELj4ELNS0_20block_sort_algorithmE0EEE6__halfN2at4cuda3cub6detail10OpaqueTypeILi8EEEEENS1_37wrapped_merge_sort_block_merge_configINS0_14default_configES7_SD_EEEEvv,@function
_ZN7rocprim17ROCPRIM_304000_NS6detail39device_merge_sort_compile_time_verifierINS1_36wrapped_merge_sort_block_sort_configINS1_28merge_sort_block_sort_configILj256ELj4ELNS0_20block_sort_algorithmE0EEE6__halfN2at4cuda3cub6detail10OpaqueTypeILi8EEEEENS1_37wrapped_merge_sort_block_merge_configINS0_14default_configES7_SD_EEEEvv: ; @_ZN7rocprim17ROCPRIM_304000_NS6detail39device_merge_sort_compile_time_verifierINS1_36wrapped_merge_sort_block_sort_configINS1_28merge_sort_block_sort_configILj256ELj4ELNS0_20block_sort_algorithmE0EEE6__halfN2at4cuda3cub6detail10OpaqueTypeILi8EEEEENS1_37wrapped_merge_sort_block_merge_configINS0_14default_configES7_SD_EEEEvv
; %bb.0:
	s_endpgm
	.section	.rodata,"a",@progbits
	.p2align	6, 0x0
	.amdhsa_kernel _ZN7rocprim17ROCPRIM_304000_NS6detail39device_merge_sort_compile_time_verifierINS1_36wrapped_merge_sort_block_sort_configINS1_28merge_sort_block_sort_configILj256ELj4ELNS0_20block_sort_algorithmE0EEE6__halfN2at4cuda3cub6detail10OpaqueTypeILi8EEEEENS1_37wrapped_merge_sort_block_merge_configINS0_14default_configES7_SD_EEEEvv
		.amdhsa_group_segment_fixed_size 0
		.amdhsa_private_segment_fixed_size 0
		.amdhsa_kernarg_size 0
		.amdhsa_user_sgpr_count 4
		.amdhsa_user_sgpr_private_segment_buffer 1
		.amdhsa_user_sgpr_dispatch_ptr 0
		.amdhsa_user_sgpr_queue_ptr 0
		.amdhsa_user_sgpr_kernarg_segment_ptr 0
		.amdhsa_user_sgpr_dispatch_id 0
		.amdhsa_user_sgpr_flat_scratch_init 0
		.amdhsa_user_sgpr_private_segment_size 0
		.amdhsa_uses_dynamic_stack 0
		.amdhsa_system_sgpr_private_segment_wavefront_offset 0
		.amdhsa_system_sgpr_workgroup_id_x 1
		.amdhsa_system_sgpr_workgroup_id_y 0
		.amdhsa_system_sgpr_workgroup_id_z 0
		.amdhsa_system_sgpr_workgroup_info 0
		.amdhsa_system_vgpr_workitem_id 0
		.amdhsa_next_free_vgpr 1
		.amdhsa_next_free_sgpr 0
		.amdhsa_reserve_vcc 0
		.amdhsa_reserve_flat_scratch 0
		.amdhsa_float_round_mode_32 0
		.amdhsa_float_round_mode_16_64 0
		.amdhsa_float_denorm_mode_32 3
		.amdhsa_float_denorm_mode_16_64 3
		.amdhsa_dx10_clamp 1
		.amdhsa_ieee_mode 1
		.amdhsa_fp16_overflow 0
		.amdhsa_exception_fp_ieee_invalid_op 0
		.amdhsa_exception_fp_denorm_src 0
		.amdhsa_exception_fp_ieee_div_zero 0
		.amdhsa_exception_fp_ieee_overflow 0
		.amdhsa_exception_fp_ieee_underflow 0
		.amdhsa_exception_fp_ieee_inexact 0
		.amdhsa_exception_int_div_zero 0
	.end_amdhsa_kernel
	.section	.text._ZN7rocprim17ROCPRIM_304000_NS6detail39device_merge_sort_compile_time_verifierINS1_36wrapped_merge_sort_block_sort_configINS1_28merge_sort_block_sort_configILj256ELj4ELNS0_20block_sort_algorithmE0EEE6__halfN2at4cuda3cub6detail10OpaqueTypeILi8EEEEENS1_37wrapped_merge_sort_block_merge_configINS0_14default_configES7_SD_EEEEvv,"axG",@progbits,_ZN7rocprim17ROCPRIM_304000_NS6detail39device_merge_sort_compile_time_verifierINS1_36wrapped_merge_sort_block_sort_configINS1_28merge_sort_block_sort_configILj256ELj4ELNS0_20block_sort_algorithmE0EEE6__halfN2at4cuda3cub6detail10OpaqueTypeILi8EEEEENS1_37wrapped_merge_sort_block_merge_configINS0_14default_configES7_SD_EEEEvv,comdat
.Lfunc_end183:
	.size	_ZN7rocprim17ROCPRIM_304000_NS6detail39device_merge_sort_compile_time_verifierINS1_36wrapped_merge_sort_block_sort_configINS1_28merge_sort_block_sort_configILj256ELj4ELNS0_20block_sort_algorithmE0EEE6__halfN2at4cuda3cub6detail10OpaqueTypeILi8EEEEENS1_37wrapped_merge_sort_block_merge_configINS0_14default_configES7_SD_EEEEvv, .Lfunc_end183-_ZN7rocprim17ROCPRIM_304000_NS6detail39device_merge_sort_compile_time_verifierINS1_36wrapped_merge_sort_block_sort_configINS1_28merge_sort_block_sort_configILj256ELj4ELNS0_20block_sort_algorithmE0EEE6__halfN2at4cuda3cub6detail10OpaqueTypeILi8EEEEENS1_37wrapped_merge_sort_block_merge_configINS0_14default_configES7_SD_EEEEvv
                                        ; -- End function
	.set _ZN7rocprim17ROCPRIM_304000_NS6detail39device_merge_sort_compile_time_verifierINS1_36wrapped_merge_sort_block_sort_configINS1_28merge_sort_block_sort_configILj256ELj4ELNS0_20block_sort_algorithmE0EEE6__halfN2at4cuda3cub6detail10OpaqueTypeILi8EEEEENS1_37wrapped_merge_sort_block_merge_configINS0_14default_configES7_SD_EEEEvv.num_vgpr, 0
	.set _ZN7rocprim17ROCPRIM_304000_NS6detail39device_merge_sort_compile_time_verifierINS1_36wrapped_merge_sort_block_sort_configINS1_28merge_sort_block_sort_configILj256ELj4ELNS0_20block_sort_algorithmE0EEE6__halfN2at4cuda3cub6detail10OpaqueTypeILi8EEEEENS1_37wrapped_merge_sort_block_merge_configINS0_14default_configES7_SD_EEEEvv.num_agpr, 0
	.set _ZN7rocprim17ROCPRIM_304000_NS6detail39device_merge_sort_compile_time_verifierINS1_36wrapped_merge_sort_block_sort_configINS1_28merge_sort_block_sort_configILj256ELj4ELNS0_20block_sort_algorithmE0EEE6__halfN2at4cuda3cub6detail10OpaqueTypeILi8EEEEENS1_37wrapped_merge_sort_block_merge_configINS0_14default_configES7_SD_EEEEvv.numbered_sgpr, 0
	.set _ZN7rocprim17ROCPRIM_304000_NS6detail39device_merge_sort_compile_time_verifierINS1_36wrapped_merge_sort_block_sort_configINS1_28merge_sort_block_sort_configILj256ELj4ELNS0_20block_sort_algorithmE0EEE6__halfN2at4cuda3cub6detail10OpaqueTypeILi8EEEEENS1_37wrapped_merge_sort_block_merge_configINS0_14default_configES7_SD_EEEEvv.num_named_barrier, 0
	.set _ZN7rocprim17ROCPRIM_304000_NS6detail39device_merge_sort_compile_time_verifierINS1_36wrapped_merge_sort_block_sort_configINS1_28merge_sort_block_sort_configILj256ELj4ELNS0_20block_sort_algorithmE0EEE6__halfN2at4cuda3cub6detail10OpaqueTypeILi8EEEEENS1_37wrapped_merge_sort_block_merge_configINS0_14default_configES7_SD_EEEEvv.private_seg_size, 0
	.set _ZN7rocprim17ROCPRIM_304000_NS6detail39device_merge_sort_compile_time_verifierINS1_36wrapped_merge_sort_block_sort_configINS1_28merge_sort_block_sort_configILj256ELj4ELNS0_20block_sort_algorithmE0EEE6__halfN2at4cuda3cub6detail10OpaqueTypeILi8EEEEENS1_37wrapped_merge_sort_block_merge_configINS0_14default_configES7_SD_EEEEvv.uses_vcc, 0
	.set _ZN7rocprim17ROCPRIM_304000_NS6detail39device_merge_sort_compile_time_verifierINS1_36wrapped_merge_sort_block_sort_configINS1_28merge_sort_block_sort_configILj256ELj4ELNS0_20block_sort_algorithmE0EEE6__halfN2at4cuda3cub6detail10OpaqueTypeILi8EEEEENS1_37wrapped_merge_sort_block_merge_configINS0_14default_configES7_SD_EEEEvv.uses_flat_scratch, 0
	.set _ZN7rocprim17ROCPRIM_304000_NS6detail39device_merge_sort_compile_time_verifierINS1_36wrapped_merge_sort_block_sort_configINS1_28merge_sort_block_sort_configILj256ELj4ELNS0_20block_sort_algorithmE0EEE6__halfN2at4cuda3cub6detail10OpaqueTypeILi8EEEEENS1_37wrapped_merge_sort_block_merge_configINS0_14default_configES7_SD_EEEEvv.has_dyn_sized_stack, 0
	.set _ZN7rocprim17ROCPRIM_304000_NS6detail39device_merge_sort_compile_time_verifierINS1_36wrapped_merge_sort_block_sort_configINS1_28merge_sort_block_sort_configILj256ELj4ELNS0_20block_sort_algorithmE0EEE6__halfN2at4cuda3cub6detail10OpaqueTypeILi8EEEEENS1_37wrapped_merge_sort_block_merge_configINS0_14default_configES7_SD_EEEEvv.has_recursion, 0
	.set _ZN7rocprim17ROCPRIM_304000_NS6detail39device_merge_sort_compile_time_verifierINS1_36wrapped_merge_sort_block_sort_configINS1_28merge_sort_block_sort_configILj256ELj4ELNS0_20block_sort_algorithmE0EEE6__halfN2at4cuda3cub6detail10OpaqueTypeILi8EEEEENS1_37wrapped_merge_sort_block_merge_configINS0_14default_configES7_SD_EEEEvv.has_indirect_call, 0
	.section	.AMDGPU.csdata,"",@progbits
; Kernel info:
; codeLenInByte = 4
; TotalNumSgprs: 4
; NumVgprs: 0
; ScratchSize: 0
; MemoryBound: 0
; FloatMode: 240
; IeeeMode: 1
; LDSByteSize: 0 bytes/workgroup (compile time only)
; SGPRBlocks: 0
; VGPRBlocks: 0
; NumSGPRsForWavesPerEU: 4
; NumVGPRsForWavesPerEU: 1
; Occupancy: 10
; WaveLimiterHint : 0
; COMPUTE_PGM_RSRC2:SCRATCH_EN: 0
; COMPUTE_PGM_RSRC2:USER_SGPR: 4
; COMPUTE_PGM_RSRC2:TRAP_HANDLER: 0
; COMPUTE_PGM_RSRC2:TGID_X_EN: 1
; COMPUTE_PGM_RSRC2:TGID_Y_EN: 0
; COMPUTE_PGM_RSRC2:TGID_Z_EN: 0
; COMPUTE_PGM_RSRC2:TIDIG_COMP_CNT: 0
	.section	.text._ZN7rocprim17ROCPRIM_304000_NS6detail45device_block_merge_mergepath_partition_kernelINS1_37wrapped_merge_sort_block_merge_configINS0_14default_configE6__halfN2at4cuda3cub6detail10OpaqueTypeILi8EEEEEPS5_jNS1_19radix_merge_compareILb1ELb0ES5_NS0_19identity_decomposerEEEEEvT0_T1_jPSI_T2_SI_,"axG",@progbits,_ZN7rocprim17ROCPRIM_304000_NS6detail45device_block_merge_mergepath_partition_kernelINS1_37wrapped_merge_sort_block_merge_configINS0_14default_configE6__halfN2at4cuda3cub6detail10OpaqueTypeILi8EEEEEPS5_jNS1_19radix_merge_compareILb1ELb0ES5_NS0_19identity_decomposerEEEEEvT0_T1_jPSI_T2_SI_,comdat
	.protected	_ZN7rocprim17ROCPRIM_304000_NS6detail45device_block_merge_mergepath_partition_kernelINS1_37wrapped_merge_sort_block_merge_configINS0_14default_configE6__halfN2at4cuda3cub6detail10OpaqueTypeILi8EEEEEPS5_jNS1_19radix_merge_compareILb1ELb0ES5_NS0_19identity_decomposerEEEEEvT0_T1_jPSI_T2_SI_ ; -- Begin function _ZN7rocprim17ROCPRIM_304000_NS6detail45device_block_merge_mergepath_partition_kernelINS1_37wrapped_merge_sort_block_merge_configINS0_14default_configE6__halfN2at4cuda3cub6detail10OpaqueTypeILi8EEEEEPS5_jNS1_19radix_merge_compareILb1ELb0ES5_NS0_19identity_decomposerEEEEEvT0_T1_jPSI_T2_SI_
	.globl	_ZN7rocprim17ROCPRIM_304000_NS6detail45device_block_merge_mergepath_partition_kernelINS1_37wrapped_merge_sort_block_merge_configINS0_14default_configE6__halfN2at4cuda3cub6detail10OpaqueTypeILi8EEEEEPS5_jNS1_19radix_merge_compareILb1ELb0ES5_NS0_19identity_decomposerEEEEEvT0_T1_jPSI_T2_SI_
	.p2align	8
	.type	_ZN7rocprim17ROCPRIM_304000_NS6detail45device_block_merge_mergepath_partition_kernelINS1_37wrapped_merge_sort_block_merge_configINS0_14default_configE6__halfN2at4cuda3cub6detail10OpaqueTypeILi8EEEEEPS5_jNS1_19radix_merge_compareILb1ELb0ES5_NS0_19identity_decomposerEEEEEvT0_T1_jPSI_T2_SI_,@function
_ZN7rocprim17ROCPRIM_304000_NS6detail45device_block_merge_mergepath_partition_kernelINS1_37wrapped_merge_sort_block_merge_configINS0_14default_configE6__halfN2at4cuda3cub6detail10OpaqueTypeILi8EEEEEPS5_jNS1_19radix_merge_compareILb1ELb0ES5_NS0_19identity_decomposerEEEEEvT0_T1_jPSI_T2_SI_: ; @_ZN7rocprim17ROCPRIM_304000_NS6detail45device_block_merge_mergepath_partition_kernelINS1_37wrapped_merge_sort_block_merge_configINS0_14default_configE6__halfN2at4cuda3cub6detail10OpaqueTypeILi8EEEEEPS5_jNS1_19radix_merge_compareILb1ELb0ES5_NS0_19identity_decomposerEEEEEvT0_T1_jPSI_T2_SI_
; %bb.0:
	s_load_dwordx2 s[0:1], s[4:5], 0x8
	v_lshl_or_b32 v0, s6, 7, v0
	s_waitcnt lgkmcnt(0)
	v_cmp_gt_u32_e32 vcc, s1, v0
	s_and_saveexec_b64 s[2:3], vcc
	s_cbranch_execz .LBB184_6
; %bb.1:
	s_load_dword s1, s[4:5], 0x1c
	s_waitcnt lgkmcnt(0)
	s_lshr_b32 s2, s1, 9
	s_and_b32 s2, s2, 0x7ffffe
	s_add_i32 s3, s2, -1
	s_sub_i32 s2, 0, s2
	v_and_b32_e32 v1, s2, v0
	v_lshlrev_b32_e32 v3, 10, v1
	v_min_u32_e32 v1, s0, v3
	v_add_u32_e32 v3, s1, v3
	v_min_u32_e32 v3, s0, v3
	v_add_u32_e32 v4, s1, v3
	v_and_b32_e32 v2, s3, v0
	v_min_u32_e32 v4, s0, v4
	v_lshlrev_b32_e32 v2, 10, v2
	v_sub_u32_e32 v5, v4, v1
	v_min_u32_e32 v6, v5, v2
	v_sub_u32_e32 v2, v3, v1
	v_sub_u32_e32 v4, v4, v3
	v_sub_u32_e64 v5, v6, v4 clamp
	v_min_u32_e32 v7, v6, v2
	v_cmp_lt_u32_e32 vcc, v5, v7
	s_and_saveexec_b64 s[0:1], vcc
	s_cbranch_execz .LBB184_5
; %bb.2:
	s_load_dwordx2 s[2:3], s[4:5], 0x0
	v_mov_b32_e32 v4, 0
	v_mov_b32_e32 v2, v4
	v_lshlrev_b64 v[8:9], 1, v[1:2]
	s_movk_i32 s6, 0x8000
	s_waitcnt lgkmcnt(0)
	v_mov_b32_e32 v11, s3
	v_add_co_u32_e32 v2, vcc, s2, v8
	v_addc_co_u32_e32 v8, vcc, v11, v9, vcc
	v_lshlrev_b64 v[9:10], 1, v[3:4]
	v_add_co_u32_e32 v9, vcc, s2, v9
	v_addc_co_u32_e32 v10, vcc, v11, v10, vcc
	s_mov_b64 s[2:3], 0
	v_mov_b32_e32 v11, 0xffff8000
.LBB184_3:                              ; =>This Inner Loop Header: Depth=1
	v_add_u32_e32 v3, v7, v5
	v_and_b32_e32 v12, -2, v3
	v_lshrrev_b32_e32 v14, 1, v3
	v_add_co_u32_e32 v12, vcc, v2, v12
	v_xad_u32 v3, v14, -1, v6
	v_addc_co_u32_e32 v13, vcc, 0, v8, vcc
	global_load_ushort v15, v[12:13], off
	v_lshlrev_b64 v[12:13], 1, v[3:4]
	v_add_co_u32_e32 v12, vcc, v9, v12
	v_addc_co_u32_e32 v13, vcc, v10, v13, vcc
	global_load_ushort v3, v[12:13], off
	v_add_u32_e32 v12, 1, v14
	s_waitcnt vmcnt(1)
	v_cmp_ne_u16_e32 vcc, s6, v15
	v_cndmask_b32_e32 v13, 0, v15, vcc
	v_cmp_lt_i16_e32 vcc, -1, v13
	v_cndmask_b32_e32 v15, -1, v11, vcc
	v_xor_b32_e32 v13, v15, v13
	s_waitcnt vmcnt(0)
	v_cmp_ne_u16_e32 vcc, s6, v3
	v_cndmask_b32_e32 v3, 0, v3, vcc
	v_cmp_lt_i16_e32 vcc, -1, v3
	v_cndmask_b32_e32 v15, -1, v11, vcc
	v_xor_b32_e32 v3, v15, v3
	v_cmp_gt_u16_e32 vcc, v3, v13
	v_cndmask_b32_e32 v7, v7, v14, vcc
	v_cndmask_b32_e32 v5, v12, v5, vcc
	v_cmp_ge_u32_e32 vcc, v5, v7
	s_or_b64 s[2:3], vcc, s[2:3]
	s_andn2_b64 exec, exec, s[2:3]
	s_cbranch_execnz .LBB184_3
; %bb.4:
	s_or_b64 exec, exec, s[2:3]
.LBB184_5:
	s_or_b64 exec, exec, s[0:1]
	s_load_dwordx2 s[0:1], s[4:5], 0x10
	v_add_u32_e32 v2, v5, v1
	v_mov_b32_e32 v1, 0
	v_lshlrev_b64 v[0:1], 2, v[0:1]
	s_waitcnt lgkmcnt(0)
	v_mov_b32_e32 v3, s1
	v_add_co_u32_e32 v0, vcc, s0, v0
	v_addc_co_u32_e32 v1, vcc, v3, v1, vcc
	global_store_dword v[0:1], v2, off
.LBB184_6:
	s_endpgm
	.section	.rodata,"a",@progbits
	.p2align	6, 0x0
	.amdhsa_kernel _ZN7rocprim17ROCPRIM_304000_NS6detail45device_block_merge_mergepath_partition_kernelINS1_37wrapped_merge_sort_block_merge_configINS0_14default_configE6__halfN2at4cuda3cub6detail10OpaqueTypeILi8EEEEEPS5_jNS1_19radix_merge_compareILb1ELb0ES5_NS0_19identity_decomposerEEEEEvT0_T1_jPSI_T2_SI_
		.amdhsa_group_segment_fixed_size 0
		.amdhsa_private_segment_fixed_size 0
		.amdhsa_kernarg_size 32
		.amdhsa_user_sgpr_count 6
		.amdhsa_user_sgpr_private_segment_buffer 1
		.amdhsa_user_sgpr_dispatch_ptr 0
		.amdhsa_user_sgpr_queue_ptr 0
		.amdhsa_user_sgpr_kernarg_segment_ptr 1
		.amdhsa_user_sgpr_dispatch_id 0
		.amdhsa_user_sgpr_flat_scratch_init 0
		.amdhsa_user_sgpr_private_segment_size 0
		.amdhsa_uses_dynamic_stack 0
		.amdhsa_system_sgpr_private_segment_wavefront_offset 0
		.amdhsa_system_sgpr_workgroup_id_x 1
		.amdhsa_system_sgpr_workgroup_id_y 0
		.amdhsa_system_sgpr_workgroup_id_z 0
		.amdhsa_system_sgpr_workgroup_info 0
		.amdhsa_system_vgpr_workitem_id 0
		.amdhsa_next_free_vgpr 16
		.amdhsa_next_free_sgpr 7
		.amdhsa_reserve_vcc 1
		.amdhsa_reserve_flat_scratch 0
		.amdhsa_float_round_mode_32 0
		.amdhsa_float_round_mode_16_64 0
		.amdhsa_float_denorm_mode_32 3
		.amdhsa_float_denorm_mode_16_64 3
		.amdhsa_dx10_clamp 1
		.amdhsa_ieee_mode 1
		.amdhsa_fp16_overflow 0
		.amdhsa_exception_fp_ieee_invalid_op 0
		.amdhsa_exception_fp_denorm_src 0
		.amdhsa_exception_fp_ieee_div_zero 0
		.amdhsa_exception_fp_ieee_overflow 0
		.amdhsa_exception_fp_ieee_underflow 0
		.amdhsa_exception_fp_ieee_inexact 0
		.amdhsa_exception_int_div_zero 0
	.end_amdhsa_kernel
	.section	.text._ZN7rocprim17ROCPRIM_304000_NS6detail45device_block_merge_mergepath_partition_kernelINS1_37wrapped_merge_sort_block_merge_configINS0_14default_configE6__halfN2at4cuda3cub6detail10OpaqueTypeILi8EEEEEPS5_jNS1_19radix_merge_compareILb1ELb0ES5_NS0_19identity_decomposerEEEEEvT0_T1_jPSI_T2_SI_,"axG",@progbits,_ZN7rocprim17ROCPRIM_304000_NS6detail45device_block_merge_mergepath_partition_kernelINS1_37wrapped_merge_sort_block_merge_configINS0_14default_configE6__halfN2at4cuda3cub6detail10OpaqueTypeILi8EEEEEPS5_jNS1_19radix_merge_compareILb1ELb0ES5_NS0_19identity_decomposerEEEEEvT0_T1_jPSI_T2_SI_,comdat
.Lfunc_end184:
	.size	_ZN7rocprim17ROCPRIM_304000_NS6detail45device_block_merge_mergepath_partition_kernelINS1_37wrapped_merge_sort_block_merge_configINS0_14default_configE6__halfN2at4cuda3cub6detail10OpaqueTypeILi8EEEEEPS5_jNS1_19radix_merge_compareILb1ELb0ES5_NS0_19identity_decomposerEEEEEvT0_T1_jPSI_T2_SI_, .Lfunc_end184-_ZN7rocprim17ROCPRIM_304000_NS6detail45device_block_merge_mergepath_partition_kernelINS1_37wrapped_merge_sort_block_merge_configINS0_14default_configE6__halfN2at4cuda3cub6detail10OpaqueTypeILi8EEEEEPS5_jNS1_19radix_merge_compareILb1ELb0ES5_NS0_19identity_decomposerEEEEEvT0_T1_jPSI_T2_SI_
                                        ; -- End function
	.set _ZN7rocprim17ROCPRIM_304000_NS6detail45device_block_merge_mergepath_partition_kernelINS1_37wrapped_merge_sort_block_merge_configINS0_14default_configE6__halfN2at4cuda3cub6detail10OpaqueTypeILi8EEEEEPS5_jNS1_19radix_merge_compareILb1ELb0ES5_NS0_19identity_decomposerEEEEEvT0_T1_jPSI_T2_SI_.num_vgpr, 16
	.set _ZN7rocprim17ROCPRIM_304000_NS6detail45device_block_merge_mergepath_partition_kernelINS1_37wrapped_merge_sort_block_merge_configINS0_14default_configE6__halfN2at4cuda3cub6detail10OpaqueTypeILi8EEEEEPS5_jNS1_19radix_merge_compareILb1ELb0ES5_NS0_19identity_decomposerEEEEEvT0_T1_jPSI_T2_SI_.num_agpr, 0
	.set _ZN7rocprim17ROCPRIM_304000_NS6detail45device_block_merge_mergepath_partition_kernelINS1_37wrapped_merge_sort_block_merge_configINS0_14default_configE6__halfN2at4cuda3cub6detail10OpaqueTypeILi8EEEEEPS5_jNS1_19radix_merge_compareILb1ELb0ES5_NS0_19identity_decomposerEEEEEvT0_T1_jPSI_T2_SI_.numbered_sgpr, 7
	.set _ZN7rocprim17ROCPRIM_304000_NS6detail45device_block_merge_mergepath_partition_kernelINS1_37wrapped_merge_sort_block_merge_configINS0_14default_configE6__halfN2at4cuda3cub6detail10OpaqueTypeILi8EEEEEPS5_jNS1_19radix_merge_compareILb1ELb0ES5_NS0_19identity_decomposerEEEEEvT0_T1_jPSI_T2_SI_.num_named_barrier, 0
	.set _ZN7rocprim17ROCPRIM_304000_NS6detail45device_block_merge_mergepath_partition_kernelINS1_37wrapped_merge_sort_block_merge_configINS0_14default_configE6__halfN2at4cuda3cub6detail10OpaqueTypeILi8EEEEEPS5_jNS1_19radix_merge_compareILb1ELb0ES5_NS0_19identity_decomposerEEEEEvT0_T1_jPSI_T2_SI_.private_seg_size, 0
	.set _ZN7rocprim17ROCPRIM_304000_NS6detail45device_block_merge_mergepath_partition_kernelINS1_37wrapped_merge_sort_block_merge_configINS0_14default_configE6__halfN2at4cuda3cub6detail10OpaqueTypeILi8EEEEEPS5_jNS1_19radix_merge_compareILb1ELb0ES5_NS0_19identity_decomposerEEEEEvT0_T1_jPSI_T2_SI_.uses_vcc, 1
	.set _ZN7rocprim17ROCPRIM_304000_NS6detail45device_block_merge_mergepath_partition_kernelINS1_37wrapped_merge_sort_block_merge_configINS0_14default_configE6__halfN2at4cuda3cub6detail10OpaqueTypeILi8EEEEEPS5_jNS1_19radix_merge_compareILb1ELb0ES5_NS0_19identity_decomposerEEEEEvT0_T1_jPSI_T2_SI_.uses_flat_scratch, 0
	.set _ZN7rocprim17ROCPRIM_304000_NS6detail45device_block_merge_mergepath_partition_kernelINS1_37wrapped_merge_sort_block_merge_configINS0_14default_configE6__halfN2at4cuda3cub6detail10OpaqueTypeILi8EEEEEPS5_jNS1_19radix_merge_compareILb1ELb0ES5_NS0_19identity_decomposerEEEEEvT0_T1_jPSI_T2_SI_.has_dyn_sized_stack, 0
	.set _ZN7rocprim17ROCPRIM_304000_NS6detail45device_block_merge_mergepath_partition_kernelINS1_37wrapped_merge_sort_block_merge_configINS0_14default_configE6__halfN2at4cuda3cub6detail10OpaqueTypeILi8EEEEEPS5_jNS1_19radix_merge_compareILb1ELb0ES5_NS0_19identity_decomposerEEEEEvT0_T1_jPSI_T2_SI_.has_recursion, 0
	.set _ZN7rocprim17ROCPRIM_304000_NS6detail45device_block_merge_mergepath_partition_kernelINS1_37wrapped_merge_sort_block_merge_configINS0_14default_configE6__halfN2at4cuda3cub6detail10OpaqueTypeILi8EEEEEPS5_jNS1_19radix_merge_compareILb1ELb0ES5_NS0_19identity_decomposerEEEEEvT0_T1_jPSI_T2_SI_.has_indirect_call, 0
	.section	.AMDGPU.csdata,"",@progbits
; Kernel info:
; codeLenInByte = 412
; TotalNumSgprs: 11
; NumVgprs: 16
; ScratchSize: 0
; MemoryBound: 0
; FloatMode: 240
; IeeeMode: 1
; LDSByteSize: 0 bytes/workgroup (compile time only)
; SGPRBlocks: 1
; VGPRBlocks: 3
; NumSGPRsForWavesPerEU: 11
; NumVGPRsForWavesPerEU: 16
; Occupancy: 10
; WaveLimiterHint : 0
; COMPUTE_PGM_RSRC2:SCRATCH_EN: 0
; COMPUTE_PGM_RSRC2:USER_SGPR: 6
; COMPUTE_PGM_RSRC2:TRAP_HANDLER: 0
; COMPUTE_PGM_RSRC2:TGID_X_EN: 1
; COMPUTE_PGM_RSRC2:TGID_Y_EN: 0
; COMPUTE_PGM_RSRC2:TGID_Z_EN: 0
; COMPUTE_PGM_RSRC2:TIDIG_COMP_CNT: 0
	.section	.text._ZN7rocprim17ROCPRIM_304000_NS6detail35device_block_merge_mergepath_kernelINS1_37wrapped_merge_sort_block_merge_configINS0_14default_configE6__halfN2at4cuda3cub6detail10OpaqueTypeILi8EEEEEPS5_SD_PSB_SE_jNS1_19radix_merge_compareILb1ELb0ES5_NS0_19identity_decomposerEEEEEvT0_T1_T2_T3_T4_SM_jT5_PKSM_NS1_7vsmem_tE,"axG",@progbits,_ZN7rocprim17ROCPRIM_304000_NS6detail35device_block_merge_mergepath_kernelINS1_37wrapped_merge_sort_block_merge_configINS0_14default_configE6__halfN2at4cuda3cub6detail10OpaqueTypeILi8EEEEEPS5_SD_PSB_SE_jNS1_19radix_merge_compareILb1ELb0ES5_NS0_19identity_decomposerEEEEEvT0_T1_T2_T3_T4_SM_jT5_PKSM_NS1_7vsmem_tE,comdat
	.protected	_ZN7rocprim17ROCPRIM_304000_NS6detail35device_block_merge_mergepath_kernelINS1_37wrapped_merge_sort_block_merge_configINS0_14default_configE6__halfN2at4cuda3cub6detail10OpaqueTypeILi8EEEEEPS5_SD_PSB_SE_jNS1_19radix_merge_compareILb1ELb0ES5_NS0_19identity_decomposerEEEEEvT0_T1_T2_T3_T4_SM_jT5_PKSM_NS1_7vsmem_tE ; -- Begin function _ZN7rocprim17ROCPRIM_304000_NS6detail35device_block_merge_mergepath_kernelINS1_37wrapped_merge_sort_block_merge_configINS0_14default_configE6__halfN2at4cuda3cub6detail10OpaqueTypeILi8EEEEEPS5_SD_PSB_SE_jNS1_19radix_merge_compareILb1ELb0ES5_NS0_19identity_decomposerEEEEEvT0_T1_T2_T3_T4_SM_jT5_PKSM_NS1_7vsmem_tE
	.globl	_ZN7rocprim17ROCPRIM_304000_NS6detail35device_block_merge_mergepath_kernelINS1_37wrapped_merge_sort_block_merge_configINS0_14default_configE6__halfN2at4cuda3cub6detail10OpaqueTypeILi8EEEEEPS5_SD_PSB_SE_jNS1_19radix_merge_compareILb1ELb0ES5_NS0_19identity_decomposerEEEEEvT0_T1_T2_T3_T4_SM_jT5_PKSM_NS1_7vsmem_tE
	.p2align	8
	.type	_ZN7rocprim17ROCPRIM_304000_NS6detail35device_block_merge_mergepath_kernelINS1_37wrapped_merge_sort_block_merge_configINS0_14default_configE6__halfN2at4cuda3cub6detail10OpaqueTypeILi8EEEEEPS5_SD_PSB_SE_jNS1_19radix_merge_compareILb1ELb0ES5_NS0_19identity_decomposerEEEEEvT0_T1_T2_T3_T4_SM_jT5_PKSM_NS1_7vsmem_tE,@function
_ZN7rocprim17ROCPRIM_304000_NS6detail35device_block_merge_mergepath_kernelINS1_37wrapped_merge_sort_block_merge_configINS0_14default_configE6__halfN2at4cuda3cub6detail10OpaqueTypeILi8EEEEEPS5_SD_PSB_SE_jNS1_19radix_merge_compareILb1ELb0ES5_NS0_19identity_decomposerEEEEEvT0_T1_T2_T3_T4_SM_jT5_PKSM_NS1_7vsmem_tE: ; @_ZN7rocprim17ROCPRIM_304000_NS6detail35device_block_merge_mergepath_kernelINS1_37wrapped_merge_sort_block_merge_configINS0_14default_configE6__halfN2at4cuda3cub6detail10OpaqueTypeILi8EEEEEPS5_SD_PSB_SE_jNS1_19radix_merge_compareILb1ELb0ES5_NS0_19identity_decomposerEEEEEvT0_T1_T2_T3_T4_SM_jT5_PKSM_NS1_7vsmem_tE
; %bb.0:
	s_load_dwordx2 s[26:27], s[4:5], 0x40
	s_load_dwordx4 s[16:19], s[4:5], 0x20
	s_add_u32 s2, s4, 64
	s_addc_u32 s3, s5, 0
	s_waitcnt lgkmcnt(0)
	s_mul_i32 s0, s27, s8
	s_add_i32 s0, s0, s7
	s_mul_i32 s0, s0, s26
	s_add_i32 s0, s0, s6
	s_cmp_ge_u32 s0, s18
	s_cbranch_scc1 .LBB185_83
; %bb.1:
	s_load_dwordx8 s[8:15], s[4:5], 0x0
	s_load_dwordx2 s[18:19], s[4:5], 0x30
	s_lshr_b32 s27, s16, 10
	s_cmp_lg_u32 s0, s27
	s_mov_b32 s1, 0
	s_cselect_b64 s[20:21], -1, 0
	s_lshl_b64 s[4:5], s[0:1], 2
	s_waitcnt lgkmcnt(0)
	s_add_u32 s4, s18, s4
	s_addc_u32 s5, s19, s5
	s_load_dwordx2 s[22:23], s[4:5], 0x0
	s_lshr_b32 s4, s17, 9
	s_and_b32 s4, s4, 0x7ffffe
	s_sub_i32 s4, 0, s4
	s_and_b32 s5, s0, s4
	s_lshl_b32 s7, s5, 10
	s_lshl_b32 s18, s0, 10
	;; [unrolled: 1-line block ×3, first 2 shown]
	s_sub_i32 s19, s18, s7
	s_add_i32 s5, s5, s17
	s_add_i32 s19, s5, s19
	s_waitcnt lgkmcnt(0)
	s_sub_i32 s24, s19, s22
	s_sub_i32 s19, s19, s23
	;; [unrolled: 1-line block ×3, first 2 shown]
	s_min_u32 s24, s16, s24
	s_addk_i32 s19, 0x400
	s_or_b32 s4, s0, s4
	s_min_u32 s7, s16, s5
	s_add_i32 s5, s5, s17
	s_cmp_eq_u32 s4, -1
	s_cselect_b32 s4, s5, s19
	s_cselect_b32 s5, s7, s23
	s_min_u32 s4, s4, s16
	s_mov_b32 s23, s1
	s_sub_i32 s19, s5, s22
	s_sub_i32 s30, s4, s24
	s_lshl_b64 s[28:29], s[22:23], 1
	s_add_u32 s5, s8, s28
	s_mov_b32 s25, s1
	s_addc_u32 s7, s9, s29
	s_lshl_b64 s[28:29], s[24:25], 1
	s_add_u32 s4, s8, s28
	v_mov_b32_e32 v2, 0
	global_load_dword v1, v2, s[2:3] offset:14
	s_addc_u32 s8, s9, s29
	s_cmp_lt_u32 s6, s26
	s_cselect_b32 s1, 12, 18
	s_add_u32 s2, s2, s1
	s_addc_u32 s3, s3, 0
	global_load_ushort v3, v2, s[2:3]
	s_cmp_eq_u32 s0, s27
	v_cmp_gt_u32_e32 vcc, s19, v0
	v_lshlrev_b32_e32 v5, 1, v0
	s_waitcnt vmcnt(1)
	v_lshrrev_b32_e32 v4, 16, v1
	v_and_b32_e32 v1, 0xffff, v1
	v_mul_lo_u32 v1, v1, v4
	s_waitcnt vmcnt(0)
	v_mul_lo_u32 v3, v1, v3
	v_add_u32_e32 v1, v3, v0
	s_cbranch_scc1 .LBB185_3
; %bb.2:
	v_mov_b32_e32 v4, s7
	v_add_co_u32_e64 v6, s[0:1], s5, v5
	v_subrev_u32_e32 v7, s19, v0
	v_addc_co_u32_e64 v4, s[0:1], 0, v4, s[0:1]
	v_lshlrev_b32_e32 v7, 1, v7
	v_mov_b32_e32 v8, s8
	v_add_co_u32_e64 v9, s[0:1], s4, v7
	v_addc_co_u32_e64 v7, s[0:1], 0, v8, s[0:1]
	v_cndmask_b32_e32 v7, v7, v4, vcc
	v_cndmask_b32_e32 v6, v9, v6, vcc
	global_load_ushort v6, v[6:7], off
	v_lshlrev_b64 v[7:8], 1, v[1:2]
	v_mov_b32_e32 v4, s7
	v_add_co_u32_e32 v9, vcc, s5, v7
	v_addc_co_u32_e32 v4, vcc, v4, v8, vcc
	v_subrev_co_u32_e32 v7, vcc, s19, v1
	v_mov_b32_e32 v8, v2
	v_lshlrev_b64 v[7:8], 1, v[7:8]
	v_mov_b32_e32 v10, s8
	v_add_co_u32_e64 v7, s[0:1], s4, v7
	v_addc_co_u32_e64 v8, s[0:1], v10, v8, s[0:1]
	v_add_u32_e32 v10, v1, v3
	v_mov_b32_e32 v11, v2
	v_lshlrev_b64 v[11:12], 1, v[10:11]
	v_cndmask_b32_e32 v8, v8, v4, vcc
	v_cndmask_b32_e32 v7, v7, v9, vcc
	global_load_ushort v8, v[7:8], off
	v_mov_b32_e32 v4, s7
	v_add_co_u32_e32 v7, vcc, s5, v11
	v_addc_co_u32_e32 v4, vcc, v4, v12, vcc
	v_subrev_co_u32_e32 v11, vcc, s19, v10
	v_mov_b32_e32 v12, v2
	v_lshlrev_b64 v[11:12], 1, v[11:12]
	v_mov_b32_e32 v9, s8
	v_add_co_u32_e64 v11, s[0:1], s4, v11
	v_addc_co_u32_e64 v9, s[0:1], v9, v12, s[0:1]
	v_cndmask_b32_e32 v12, v9, v4, vcc
	v_cndmask_b32_e32 v11, v11, v7, vcc
	global_load_ushort v9, v[11:12], off
	v_add_u32_e32 v10, v10, v3
	v_mov_b32_e32 v11, v2
	v_lshlrev_b64 v[11:12], 1, v[10:11]
	v_mov_b32_e32 v4, s7
	v_add_co_u32_e32 v7, vcc, s5, v11
	v_addc_co_u32_e32 v4, vcc, v4, v12, vcc
	v_subrev_co_u32_e32 v10, vcc, s19, v10
	v_mov_b32_e32 v11, v2
	v_lshlrev_b64 v[10:11], 1, v[10:11]
	v_mov_b32_e32 v2, s8
	v_add_co_u32_e64 v10, s[0:1], s4, v10
	v_addc_co_u32_e64 v2, s[0:1], v2, v11, s[0:1]
	v_cndmask_b32_e32 v11, v2, v4, vcc
	v_cndmask_b32_e32 v10, v10, v7, vcc
	global_load_ushort v10, v[10:11], off
	s_add_i32 s17, s30, s19
	s_cbranch_execz .LBB185_4
	s_branch .LBB185_13
.LBB185_3:
                                        ; implicit-def: $vgpr10
                                        ; implicit-def: $vgpr9
                                        ; implicit-def: $vgpr8
                                        ; implicit-def: $vgpr6
                                        ; implicit-def: $sgpr17
.LBB185_4:
	s_add_i32 s17, s30, s19
	v_cmp_gt_u32_e32 vcc, s17, v0
                                        ; implicit-def: $vgpr6
	s_and_saveexec_b64 s[0:1], vcc
	s_cbranch_execz .LBB185_6
; %bb.5:
	v_mov_b32_e32 v2, s7
	v_add_co_u32_e32 v4, vcc, s5, v5
	s_waitcnt vmcnt(3)
	v_subrev_u32_e32 v6, s19, v0
	v_addc_co_u32_e32 v2, vcc, 0, v2, vcc
	v_lshlrev_b32_e32 v6, 1, v6
	v_mov_b32_e32 v7, s8
	v_add_co_u32_e32 v6, vcc, s4, v6
	v_addc_co_u32_e32 v7, vcc, 0, v7, vcc
	v_cmp_gt_u32_e32 vcc, s19, v0
	v_cndmask_b32_e32 v7, v7, v2, vcc
	v_cndmask_b32_e32 v6, v6, v4, vcc
	global_load_ushort v6, v[6:7], off
.LBB185_6:
	s_or_b64 exec, exec, s[0:1]
	v_cmp_gt_u32_e32 vcc, s17, v1
                                        ; implicit-def: $vgpr8
	s_and_saveexec_b64 s[2:3], vcc
	s_cbranch_execz .LBB185_8
; %bb.7:
	v_mov_b32_e32 v2, 0
	s_waitcnt vmcnt(2)
	v_lshlrev_b64 v[7:8], 1, v[1:2]
	v_mov_b32_e32 v4, s7
	s_waitcnt vmcnt(1)
	v_add_co_u32_e32 v9, vcc, s5, v7
	v_addc_co_u32_e32 v4, vcc, v4, v8, vcc
	v_subrev_co_u32_e32 v7, vcc, s19, v1
	v_mov_b32_e32 v8, v2
	v_lshlrev_b64 v[7:8], 1, v[7:8]
	v_mov_b32_e32 v2, s8
	v_add_co_u32_e64 v7, s[0:1], s4, v7
	v_addc_co_u32_e64 v2, s[0:1], v2, v8, s[0:1]
	v_cndmask_b32_e32 v8, v2, v4, vcc
	v_cndmask_b32_e32 v7, v7, v9, vcc
	global_load_ushort v8, v[7:8], off
.LBB185_8:
	s_or_b64 exec, exec, s[2:3]
	v_add_u32_e32 v1, v1, v3
	v_cmp_gt_u32_e32 vcc, s17, v1
                                        ; implicit-def: $vgpr9
	s_and_saveexec_b64 s[2:3], vcc
	s_cbranch_execz .LBB185_10
; %bb.9:
	v_mov_b32_e32 v2, 0
	s_waitcnt vmcnt(0)
	v_lshlrev_b64 v[9:10], 1, v[1:2]
	v_mov_b32_e32 v4, s7
	v_add_co_u32_e32 v7, vcc, s5, v9
	v_addc_co_u32_e32 v4, vcc, v4, v10, vcc
	v_subrev_co_u32_e32 v9, vcc, s19, v1
	v_mov_b32_e32 v10, v2
	v_lshlrev_b64 v[9:10], 1, v[9:10]
	v_mov_b32_e32 v2, s8
	v_add_co_u32_e64 v9, s[0:1], s4, v9
	v_addc_co_u32_e64 v2, s[0:1], v2, v10, s[0:1]
	v_cndmask_b32_e32 v10, v2, v4, vcc
	v_cndmask_b32_e32 v9, v9, v7, vcc
	global_load_ushort v9, v[9:10], off
.LBB185_10:
	s_or_b64 exec, exec, s[2:3]
	v_add_u32_e32 v1, v1, v3
	v_cmp_gt_u32_e32 vcc, s17, v1
                                        ; implicit-def: $vgpr10
	s_and_saveexec_b64 s[2:3], vcc
	s_cbranch_execz .LBB185_12
; %bb.11:
	v_mov_b32_e32 v2, 0
	v_lshlrev_b64 v[3:4], 1, v[1:2]
	v_mov_b32_e32 v7, s7
	v_add_co_u32_e32 v3, vcc, s5, v3
	v_addc_co_u32_e32 v4, vcc, v7, v4, vcc
	v_subrev_co_u32_e32 v1, vcc, s19, v1
	v_lshlrev_b64 v[1:2], 1, v[1:2]
	v_mov_b32_e32 v7, s8
	v_add_co_u32_e64 v1, s[0:1], s4, v1
	v_addc_co_u32_e64 v2, s[0:1], v7, v2, s[0:1]
	v_cndmask_b32_e32 v2, v2, v4, vcc
	v_cndmask_b32_e32 v1, v1, v3, vcc
	global_load_ushort v10, v[1:2], off
.LBB185_12:
	s_or_b64 exec, exec, s[2:3]
.LBB185_13:
	v_lshlrev_b32_e32 v7, 2, v0
	v_min_u32_e32 v1, s17, v7
	v_sub_u32_e64 v3, v1, s30 clamp
	v_min_u32_e32 v2, s19, v1
	v_cmp_lt_u32_e32 vcc, v3, v2
	s_waitcnt vmcnt(0)
	ds_write_b16 v5, v6
	ds_write_b16 v5, v8 offset:512
	ds_write_b16 v5, v9 offset:1024
	;; [unrolled: 1-line block ×3, first 2 shown]
	s_waitcnt lgkmcnt(0)
	s_barrier
	s_and_saveexec_b64 s[0:1], vcc
	s_cbranch_execz .LBB185_17
; %bb.14:
	v_lshlrev_b32_e32 v4, 1, v1
	v_lshl_add_u32 v4, s19, 1, v4
	s_mov_b64 s[2:3], 0
	s_movk_i32 s4, 0x8000
	v_mov_b32_e32 v11, 0xffff8000
.LBB185_15:                             ; =>This Inner Loop Header: Depth=1
	v_add_u32_e32 v12, v2, v3
	v_lshrrev_b32_e32 v13, 1, v12
	v_and_b32_e32 v12, -2, v12
	ds_read_u16 v12, v12
	v_not_b32_e32 v14, v13
	v_lshl_add_u32 v14, v14, 1, v4
	ds_read_u16 v14, v14
	v_add_u32_e32 v15, 1, v13
	s_waitcnt lgkmcnt(1)
	v_cmp_ne_u16_e32 vcc, s4, v12
	v_cndmask_b32_e32 v12, 0, v12, vcc
	v_cmp_lt_i16_e32 vcc, -1, v12
	v_cndmask_b32_e32 v16, -1, v11, vcc
	s_waitcnt lgkmcnt(0)
	v_cmp_ne_u16_e32 vcc, s4, v14
	v_cndmask_b32_e32 v14, 0, v14, vcc
	v_cmp_lt_i16_e32 vcc, -1, v14
	v_xor_b32_e32 v12, v16, v12
	v_cndmask_b32_e32 v16, -1, v11, vcc
	v_xor_b32_e32 v14, v16, v14
	v_cmp_gt_u16_e32 vcc, v14, v12
	v_cndmask_b32_e32 v2, v2, v13, vcc
	v_cndmask_b32_e32 v3, v15, v3, vcc
	v_cmp_ge_u32_e32 vcc, v3, v2
	s_or_b64 s[2:3], vcc, s[2:3]
	s_andn2_b64 exec, exec, s[2:3]
	s_cbranch_execnz .LBB185_15
; %bb.16:
	s_or_b64 exec, exec, s[2:3]
.LBB185_17:
	s_or_b64 exec, exec, s[0:1]
	v_sub_u32_e32 v1, v1, v3
	v_add_u32_e32 v15, s19, v1
	v_cmp_ge_u32_e32 vcc, s19, v3
	v_cmp_ge_u32_e64 s[0:1], s17, v15
	s_or_b64 s[0:1], vcc, s[0:1]
	v_mov_b32_e32 v14, 0
	v_mov_b32_e32 v13, 0
	;; [unrolled: 1-line block ×4, first 2 shown]
	s_and_saveexec_b64 s[2:3], s[0:1]
	s_cbranch_execz .LBB185_37
; %bb.18:
	v_cmp_le_u32_e32 vcc, s19, v3
	v_cmp_gt_u32_e64 s[0:1], s19, v3
                                        ; implicit-def: $vgpr1
	s_and_saveexec_b64 s[4:5], s[0:1]
; %bb.19:
	v_lshlrev_b32_e32 v1, 1, v3
	ds_read_u16 v1, v1
; %bb.20:
	s_or_b64 exec, exec, s[4:5]
	v_cmp_le_u32_e64 s[4:5], s17, v15
	v_cmp_gt_u32_e64 s[0:1], s17, v15
                                        ; implicit-def: $vgpr2
	s_and_saveexec_b64 s[6:7], s[0:1]
; %bb.21:
	v_lshlrev_b32_e32 v2, 1, v15
	ds_read_u16 v2, v2
; %bb.22:
	s_or_b64 exec, exec, s[6:7]
	s_nor_b64 s[6:7], vcc, s[4:5]
	s_and_saveexec_b64 s[0:1], s[6:7]
	s_cbranch_execz .LBB185_24
; %bb.23:
	s_movk_i32 s6, 0x8000
	s_waitcnt lgkmcnt(0)
	v_cmp_ne_u16_e32 vcc, s6, v2
	v_cndmask_b32_e32 v4, 0, v2, vcc
	v_cmp_ne_u16_e32 vcc, s6, v1
	v_cndmask_b32_e32 v6, 0, v1, vcc
	v_mov_b32_e32 v8, 0xffff8000
	v_cmp_lt_i16_e32 vcc, -1, v4
	v_cndmask_b32_e32 v9, -1, v8, vcc
	v_cmp_lt_i16_e32 vcc, -1, v6
	v_cndmask_b32_e32 v8, -1, v8, vcc
	v_xor_b32_e32 v4, v9, v4
	v_xor_b32_e32 v6, v8, v6
	v_cmp_le_u16_e32 vcc, v4, v6
	s_andn2_b64 s[4:5], s[4:5], exec
	s_and_b64 s[6:7], vcc, exec
	s_or_b64 s[4:5], s[4:5], s[6:7]
.LBB185_24:
	s_or_b64 exec, exec, s[0:1]
	v_mov_b32_e32 v4, s17
	v_mov_b32_e32 v6, s19
	v_cndmask_b32_e64 v11, v15, v3, s[4:5]
	v_cndmask_b32_e64 v4, v4, v6, s[4:5]
	v_add_u32_e32 v8, 1, v11
	v_add_u32_e32 v4, -1, v4
	v_min_u32_e32 v4, v8, v4
	v_lshlrev_b32_e32 v4, 1, v4
	ds_read_u16 v6, v4
	v_cndmask_b32_e64 v9, v8, v15, s[4:5]
	v_cndmask_b32_e64 v10, v3, v8, s[4:5]
	v_cmp_gt_u32_e32 vcc, s17, v9
	s_mov_b64 s[6:7], -1
	s_waitcnt lgkmcnt(0)
	v_cndmask_b32_e64 v4, v6, v2, s[4:5]
	v_cndmask_b32_e64 v6, v1, v6, s[4:5]
	s_mov_b64 s[0:1], -1
	s_and_saveexec_b64 s[8:9], vcc
	s_cbranch_execz .LBB185_28
; %bb.25:
	v_cmp_gt_u32_e32 vcc, s19, v10
	s_mov_b64 s[26:27], 0
	s_and_saveexec_b64 s[0:1], vcc
	s_cbranch_execz .LBB185_27
; %bb.26:
	s_movk_i32 s26, 0x8000
	v_cmp_ne_u16_e32 vcc, s26, v4
	v_cndmask_b32_e32 v3, 0, v4, vcc
	v_cmp_ne_u16_e32 vcc, s26, v6
	v_cndmask_b32_e32 v8, 0, v6, vcc
	v_mov_b32_e32 v12, 0xffff8000
	v_cmp_lt_i16_e32 vcc, -1, v3
	v_cndmask_b32_e32 v13, -1, v12, vcc
	v_cmp_lt_i16_e32 vcc, -1, v8
	v_cndmask_b32_e32 v12, -1, v12, vcc
	v_xor_b32_e32 v3, v13, v3
	v_xor_b32_e32 v8, v12, v8
	v_cmp_le_u16_e32 vcc, v3, v8
	s_and_b64 s[26:27], vcc, exec
.LBB185_27:
	s_or_b64 exec, exec, s[0:1]
	s_orn2_b64 s[0:1], s[26:27], exec
.LBB185_28:
	s_or_b64 exec, exec, s[8:9]
	v_mov_b32_e32 v3, s17
	v_mov_b32_e32 v8, s19
	v_cndmask_b32_e64 v12, v9, v10, s[0:1]
	v_cndmask_b32_e64 v3, v3, v8, s[0:1]
	v_add_u32_e32 v13, 1, v12
	v_add_u32_e32 v3, -1, v3
	v_min_u32_e32 v3, v13, v3
	v_lshlrev_b32_e32 v3, 1, v3
	ds_read_u16 v8, v3
	v_cndmask_b32_e64 v9, v13, v9, s[0:1]
	v_cndmask_b32_e64 v10, v10, v13, s[0:1]
	v_cmp_gt_u32_e32 vcc, s17, v9
	s_waitcnt lgkmcnt(0)
	v_cndmask_b32_e64 v3, v8, v4, s[0:1]
	v_cndmask_b32_e64 v8, v6, v8, s[0:1]
	s_and_saveexec_b64 s[8:9], vcc
	s_cbranch_execz .LBB185_32
; %bb.29:
	v_cmp_gt_u32_e32 vcc, s19, v10
	s_mov_b64 s[26:27], 0
	s_and_saveexec_b64 s[6:7], vcc
	s_cbranch_execz .LBB185_31
; %bb.30:
	s_movk_i32 s26, 0x8000
	v_cmp_ne_u16_e32 vcc, s26, v3
	v_cndmask_b32_e32 v13, 0, v3, vcc
	v_cmp_ne_u16_e32 vcc, s26, v8
	v_cndmask_b32_e32 v14, 0, v8, vcc
	v_mov_b32_e32 v15, 0xffff8000
	v_cmp_lt_i16_e32 vcc, -1, v13
	v_cndmask_b32_e32 v16, -1, v15, vcc
	v_cmp_lt_i16_e32 vcc, -1, v14
	v_cndmask_b32_e32 v15, -1, v15, vcc
	v_xor_b32_e32 v13, v16, v13
	v_xor_b32_e32 v14, v15, v14
	v_cmp_le_u16_e32 vcc, v13, v14
	s_and_b64 s[26:27], vcc, exec
.LBB185_31:
	s_or_b64 exec, exec, s[6:7]
	s_orn2_b64 s[6:7], s[26:27], exec
.LBB185_32:
	s_or_b64 exec, exec, s[8:9]
	v_mov_b32_e32 v14, s17
	v_mov_b32_e32 v15, s19
	v_cndmask_b32_e64 v13, v9, v10, s[6:7]
	v_cndmask_b32_e64 v14, v14, v15, s[6:7]
	v_add_u32_e32 v17, 1, v13
	v_add_u32_e32 v14, -1, v14
	v_min_u32_e32 v14, v17, v14
	v_lshlrev_b32_e32 v14, 1, v14
	ds_read_u16 v14, v14
	v_cndmask_b32_e64 v10, v10, v17, s[6:7]
	s_mov_b64 s[26:27], -1
	s_waitcnt lgkmcnt(0)
	v_cndmask_b32_e64 v15, v14, v3, s[6:7]
	v_cndmask_b32_e64 v16, v8, v14, s[6:7]
	;; [unrolled: 1-line block ×3, first 2 shown]
	v_cmp_gt_u32_e32 vcc, s17, v14
	s_and_saveexec_b64 s[8:9], vcc
	s_cbranch_execz .LBB185_36
; %bb.33:
	v_cmp_gt_u32_e32 vcc, s19, v10
	s_mov_b64 s[28:29], 0
	s_and_saveexec_b64 s[26:27], vcc
	s_cbranch_execz .LBB185_35
; %bb.34:
	s_movk_i32 s28, 0x8000
	v_cmp_ne_u16_e32 vcc, s28, v15
	v_cndmask_b32_e32 v9, 0, v15, vcc
	v_cmp_ne_u16_e32 vcc, s28, v16
	v_cndmask_b32_e32 v17, 0, v16, vcc
	v_mov_b32_e32 v18, 0xffff8000
	v_cmp_lt_i16_e32 vcc, -1, v9
	v_cndmask_b32_e32 v19, -1, v18, vcc
	v_cmp_lt_i16_e32 vcc, -1, v17
	v_cndmask_b32_e32 v18, -1, v18, vcc
	v_xor_b32_e32 v9, v19, v9
	v_xor_b32_e32 v17, v18, v17
	v_cmp_le_u16_e32 vcc, v9, v17
	s_and_b64 s[28:29], vcc, exec
.LBB185_35:
	s_or_b64 exec, exec, s[26:27]
	s_orn2_b64 s[26:27], s[28:29], exec
.LBB185_36:
	s_or_b64 exec, exec, s[8:9]
	v_cndmask_b32_e64 v9, v3, v8, s[6:7]
	v_cndmask_b32_e64 v8, v4, v6, s[0:1]
	;; [unrolled: 1-line block ×5, first 2 shown]
.LBB185_37:
	s_or_b64 exec, exec, s[2:3]
	s_lshl_b64 s[0:1], s[22:23], 3
	s_add_u32 s8, s12, s0
	s_addc_u32 s9, s13, s1
	s_lshl_b64 s[0:1], s[24:25], 3
	s_add_u32 s6, s12, s0
	v_cndmask_b32_e64 v1, 0, 1, s[20:21]
	s_addc_u32 s7, s13, s1
	v_cmp_gt_u32_e64 s[4:5], s19, v0
	v_cmp_ne_u32_e64 s[0:1], 1, v1
	s_andn2_b64 vcc, exec, s[20:21]
	v_cmp_le_u32_e64 s[2:3], s19, v0
	s_barrier
	s_cbranch_vccnz .LBB185_39
; %bb.38:
	v_lshlrev_b32_e32 v4, 3, v0
	v_mov_b32_e32 v1, s9
	v_add_co_u32_e32 v3, vcc, s8, v4
	v_subrev_u32_e32 v2, s19, v0
	v_addc_co_u32_e32 v1, vcc, 0, v1, vcc
	v_lshlrev_b32_e32 v2, 3, v2
	v_mov_b32_e32 v15, s7
	v_add_co_u32_e32 v16, vcc, s6, v2
	v_addc_co_u32_e32 v2, vcc, 0, v15, vcc
	v_cndmask_b32_e64 v2, v2, v1, s[4:5]
	v_cndmask_b32_e64 v1, v16, v3, s[4:5]
	global_load_dwordx2 v[16:17], v[1:2], off
	v_or_b32_e32 v1, 0x100, v0
	v_subrev_u32_e32 v2, s19, v1
	v_min_u32_e32 v2, v1, v2
	v_cmp_gt_u32_e32 vcc, s19, v1
	v_mov_b32_e32 v23, s6
	v_mov_b32_e32 v24, s8
	;; [unrolled: 1-line block ×4, first 2 shown]
	v_cndmask_b32_e32 v1, v23, v24, vcc
	v_lshlrev_b32_e32 v2, 3, v2
	v_cndmask_b32_e32 v15, v3, v22, vcc
	v_add_co_u32_e32 v1, vcc, v1, v2
	v_addc_co_u32_e32 v2, vcc, 0, v15, vcc
	global_load_dwordx2 v[18:19], v[1:2], off
	v_or_b32_e32 v1, 0x200, v0
	v_subrev_u32_e32 v2, s19, v1
	v_min_u32_e32 v2, v1, v2
	v_cmp_gt_u32_e32 vcc, s19, v1
	v_cndmask_b32_e32 v1, v23, v24, vcc
	v_lshlrev_b32_e32 v2, 3, v2
	v_cndmask_b32_e32 v15, v3, v22, vcc
	v_add_co_u32_e32 v1, vcc, v1, v2
	v_addc_co_u32_e32 v2, vcc, 0, v15, vcc
	global_load_dwordx2 v[20:21], v[1:2], off
	v_or_b32_e32 v15, 0x300, v0
	v_subrev_u32_e32 v1, s19, v15
	v_cmp_gt_u32_e32 vcc, s19, v15
	v_cndmask_b32_e32 v2, v3, v22, vcc
	v_min_u32_e32 v3, v15, v1
	v_cndmask_b32_e32 v1, v23, v24, vcc
	s_mov_b64 s[4:5], -1
	s_waitcnt vmcnt(1)
	ds_write2st64_b64 v4, v[16:17], v[18:19] offset1:4
	s_waitcnt vmcnt(0)
	ds_write_b64 v4, v[20:21] offset:4096
	s_cbranch_execz .LBB185_40
	s_branch .LBB185_57
.LBB185_39:
	s_mov_b64 s[4:5], 0
                                        ; implicit-def: $vgpr15
                                        ; implicit-def: $vgpr1_vgpr2
                                        ; implicit-def: $vgpr3
.LBB185_40:
	s_and_saveexec_b64 s[4:5], s[2:3]
	s_xor_b64 s[2:3], exec, s[4:5]
	s_cbranch_execz .LBB185_44
; %bb.41:
	v_subrev_u32_e32 v1, s19, v0
	v_cmp_gt_u32_e32 vcc, s30, v1
	s_and_saveexec_b64 s[4:5], vcc
	s_cbranch_execz .LBB185_43
; %bb.42:
	v_lshlrev_b32_e32 v1, 3, v1
	global_load_dwordx2 v[1:2], v1, s[6:7]
	v_mad_u32_u24 v3, v0, 6, v5
	s_waitcnt vmcnt(0)
	ds_write_b64 v3, v[1:2]
.LBB185_43:
	s_or_b64 exec, exec, s[4:5]
.LBB185_44:
	s_or_saveexec_b64 s[2:3], s[2:3]
	v_mad_u32_u24 v3, v0, 6, v5
	s_xor_b64 exec, exec, s[2:3]
	s_cbranch_execz .LBB185_46
; %bb.45:
	v_lshlrev_b32_e32 v1, 3, v0
	global_load_dwordx2 v[1:2], v1, s[8:9]
	s_waitcnt vmcnt(0)
	ds_write_b64 v3, v[1:2]
.LBB185_46:
	s_or_b64 exec, exec, s[2:3]
	v_or_b32_e32 v4, 0x100, v0
	v_mov_b32_e32 v1, s22
	v_cmp_le_u32_e32 vcc, s19, v4
	s_mov_b64 s[2:3], -1
	v_mov_b32_e32 v2, s23
	s_and_saveexec_b64 s[4:5], vcc
; %bb.47:
	v_subrev_u32_e32 v4, s19, v4
	v_cmp_gt_u32_e32 vcc, s30, v4
	v_mov_b32_e32 v1, s24
	v_mov_b32_e32 v2, s25
	s_orn2_b64 s[2:3], vcc, exec
; %bb.48:
	s_or_b64 exec, exec, s[4:5]
	s_and_saveexec_b64 s[4:5], s[2:3]
	s_cbranch_execz .LBB185_50
; %bb.49:
	v_lshlrev_b64 v[1:2], 3, v[1:2]
	v_mov_b32_e32 v15, s13
	v_add_co_u32_e32 v1, vcc, s12, v1
	v_addc_co_u32_e32 v2, vcc, v15, v2, vcc
	v_lshlrev_b32_e32 v4, 3, v4
	v_add_co_u32_e32 v1, vcc, v1, v4
	v_addc_co_u32_e32 v2, vcc, 0, v2, vcc
	global_load_dwordx2 v[1:2], v[1:2], off
	s_waitcnt vmcnt(0)
	ds_write_b64 v3, v[1:2] offset:2048
.LBB185_50:
	s_or_b64 exec, exec, s[4:5]
	v_or_b32_e32 v4, 0x200, v0
	v_mov_b32_e32 v1, s22
	v_cmp_le_u32_e32 vcc, s19, v4
	s_mov_b64 s[2:3], -1
	v_mov_b32_e32 v2, s23
	s_and_saveexec_b64 s[4:5], vcc
; %bb.51:
	v_subrev_u32_e32 v4, s19, v4
	v_cmp_gt_u32_e32 vcc, s30, v4
	v_mov_b32_e32 v1, s24
	v_mov_b32_e32 v2, s25
	s_orn2_b64 s[2:3], vcc, exec
; %bb.52:
	s_or_b64 exec, exec, s[4:5]
	s_and_saveexec_b64 s[4:5], s[2:3]
	s_cbranch_execz .LBB185_54
; %bb.53:
	v_lshlrev_b64 v[1:2], 3, v[1:2]
	v_mov_b32_e32 v15, s13
	v_add_co_u32_e32 v1, vcc, s12, v1
	v_addc_co_u32_e32 v2, vcc, v15, v2, vcc
	v_lshlrev_b32_e32 v4, 3, v4
	v_add_co_u32_e32 v1, vcc, v1, v4
	v_addc_co_u32_e32 v2, vcc, 0, v2, vcc
	global_load_dwordx2 v[1:2], v[1:2], off
	s_waitcnt vmcnt(0)
	ds_write_b64 v3, v[1:2] offset:4096
.LBB185_54:
	s_or_b64 exec, exec, s[4:5]
	v_or_b32_e32 v15, 0x300, v0
	v_mov_b32_e32 v1, s8
	v_cmp_le_u32_e32 vcc, s19, v15
	s_mov_b64 s[4:5], -1
	v_mov_b32_e32 v2, s9
	v_mov_b32_e32 v3, v15
	s_and_saveexec_b64 s[2:3], vcc
; %bb.55:
	v_subrev_u32_e32 v3, s19, v15
	v_cmp_gt_u32_e32 vcc, s30, v3
	v_mov_b32_e32 v1, s6
	v_mov_b32_e32 v2, s7
	s_orn2_b64 s[4:5], vcc, exec
; %bb.56:
	s_or_b64 exec, exec, s[2:3]
.LBB185_57:
	s_and_saveexec_b64 s[2:3], s[4:5]
	s_cbranch_execz .LBB185_59
; %bb.58:
	v_mov_b32_e32 v4, 0
	v_lshlrev_b64 v[3:4], 3, v[3:4]
	v_add_co_u32_e32 v1, vcc, v1, v3
	v_addc_co_u32_e32 v2, vcc, v2, v4, vcc
	global_load_dwordx2 v[1:2], v[1:2], off
	v_lshlrev_b32_e32 v3, 3, v15
	s_waitcnt vmcnt(0)
	ds_write_b64 v3, v[1:2]
.LBB185_59:
	s_or_b64 exec, exec, s[2:3]
	s_and_b64 vcc, exec, s[0:1]
	v_add_u32_e32 v1, s18, v7
	s_waitcnt lgkmcnt(0)
	s_barrier
	s_cbranch_vccnz .LBB185_61
; %bb.60:
	v_lshlrev_b32_e32 v15, 3, v11
	v_lshlrev_b32_e32 v17, 3, v12
	v_lshlrev_b32_e32 v19, 3, v13
	v_mov_b32_e32 v2, 0
	ds_read_b64 v[15:16], v15
	ds_read_b64 v[17:18], v17
	;; [unrolled: 1-line block ×3, first 2 shown]
	v_lshlrev_b64 v[3:4], 3, v[1:2]
	v_mov_b32_e32 v21, s15
	v_add_co_u32_e32 v3, vcc, s14, v3
	v_addc_co_u32_e32 v4, vcc, v21, v4, vcc
	s_mov_b64 s[0:1], -1
	s_waitcnt lgkmcnt(1)
	global_store_dwordx4 v[3:4], v[15:18], off
	s_waitcnt lgkmcnt(0)
	global_store_dwordx2 v[3:4], v[19:20], off offset:16
	s_cbranch_execz .LBB185_62
	s_branch .LBB185_71
.LBB185_61:
	s_mov_b64 s[0:1], 0
.LBB185_62:
	v_cmp_gt_u32_e32 vcc, s17, v7
	s_and_saveexec_b64 s[2:3], vcc
	s_cbranch_execz .LBB185_64
; %bb.63:
	v_lshlrev_b32_e32 v4, 3, v11
	v_mov_b32_e32 v2, 0
	ds_read_b64 v[15:16], v4
	v_lshlrev_b64 v[2:3], 3, v[1:2]
	v_mov_b32_e32 v11, s15
	v_add_co_u32_e32 v2, vcc, s14, v2
	v_addc_co_u32_e32 v3, vcc, v11, v3, vcc
	s_waitcnt lgkmcnt(0)
	global_store_dwordx2 v[2:3], v[15:16], off
.LBB185_64:
	s_or_b64 exec, exec, s[2:3]
	v_or_b32_e32 v2, 1, v7
	v_cmp_gt_u32_e32 vcc, s17, v2
	s_and_saveexec_b64 s[2:3], vcc
	s_cbranch_execz .LBB185_66
; %bb.65:
	v_lshlrev_b32_e32 v4, 3, v12
	v_mov_b32_e32 v2, 0
	ds_read_b64 v[11:12], v4
	v_lshlrev_b64 v[2:3], 3, v[1:2]
	v_mov_b32_e32 v15, s15
	v_add_co_u32_e32 v2, vcc, s14, v2
	v_addc_co_u32_e32 v3, vcc, v15, v3, vcc
	s_waitcnt lgkmcnt(0)
	global_store_dwordx2 v[2:3], v[11:12], off offset:8
.LBB185_66:
	s_or_b64 exec, exec, s[2:3]
	v_or_b32_e32 v2, 2, v7
	v_cmp_gt_u32_e32 vcc, s17, v2
	s_and_saveexec_b64 s[2:3], vcc
	s_cbranch_execz .LBB185_68
; %bb.67:
	v_lshlrev_b32_e32 v4, 3, v13
	v_mov_b32_e32 v2, 0
	ds_read_b64 v[11:12], v4
	v_lshlrev_b64 v[2:3], 3, v[1:2]
	v_mov_b32_e32 v13, s15
	v_add_co_u32_e32 v2, vcc, s14, v2
	v_addc_co_u32_e32 v3, vcc, v13, v3, vcc
	s_waitcnt lgkmcnt(0)
	global_store_dwordx2 v[2:3], v[11:12], off offset:16
.LBB185_68:
	s_or_b64 exec, exec, s[2:3]
	v_or_b32_e32 v2, 3, v7
	v_cmp_gt_u32_e32 vcc, s17, v2
	s_and_saveexec_b64 s[2:3], vcc
; %bb.69:
	v_mov_b32_e32 v2, 0
	s_or_b64 s[0:1], s[0:1], exec
; %bb.70:
	s_or_b64 exec, exec, s[2:3]
.LBB185_71:
	s_and_saveexec_b64 s[2:3], s[0:1]
	s_cbranch_execz .LBB185_73
; %bb.72:
	v_lshlrev_b32_e32 v3, 3, v14
	ds_read_b64 v[3:4], v3
	v_lshlrev_b64 v[1:2], 3, v[1:2]
	v_mov_b32_e32 v11, s15
	v_add_co_u32_e32 v1, vcc, s14, v1
	v_addc_co_u32_e32 v2, vcc, v11, v2, vcc
	s_waitcnt lgkmcnt(0)
	global_store_dwordx2 v[1:2], v[3:4], off offset:24
.LBB185_73:
	s_or_b64 exec, exec, s[2:3]
	v_lshrrev_b32_e32 v1, 2, v0
	v_and_b32_e32 v1, 60, v1
	s_mov_b32 s2, 0x5040100
	v_lshl_add_u32 v1, v7, 1, v1
	v_perm_b32 v2, v10, v9, s2
	v_perm_b32 v3, v8, v6, s2
	s_waitcnt vmcnt(0)
	s_barrier
	s_barrier
	ds_write2_b32 v1, v3, v2 offset1:1
	v_lshrrev_b32_e32 v1, 4, v0
	v_and_b32_e32 v1, 12, v1
	v_or_b32_e32 v6, 0x100, v0
	v_add_u32_e32 v7, v1, v5
	v_lshrrev_b32_e32 v1, 4, v6
	v_and_b32_e32 v1, 28, v1
	v_or_b32_e32 v4, 0x200, v0
	s_mov_b32 s19, 0
	v_add_u32_e32 v8, v1, v5
	v_lshrrev_b32_e32 v1, 4, v4
	s_lshl_b64 s[0:1], s[18:19], 1
	v_and_b32_e32 v1, 44, v1
	v_or_b32_e32 v3, 0x300, v0
	s_add_u32 s0, s10, s0
	v_add_u32_e32 v9, v1, v5
	v_lshrrev_b32_e32 v1, 4, v3
	s_addc_u32 s1, s11, s1
	v_and_b32_e32 v1, 60, v1
	v_add_u32_e32 v10, v1, v5
	v_mov_b32_e32 v2, s1
	v_add_co_u32_e32 v1, vcc, s0, v5
	v_addc_co_u32_e32 v2, vcc, 0, v2, vcc
	s_and_b64 vcc, exec, s[20:21]
	s_waitcnt lgkmcnt(0)
	s_cbranch_vccz .LBB185_75
; %bb.74:
	s_barrier
	ds_read_u16 v11, v7
	ds_read_u16 v12, v8 offset:512
	ds_read_u16 v13, v9 offset:1024
	;; [unrolled: 1-line block ×3, first 2 shown]
	s_waitcnt lgkmcnt(3)
	global_store_short v[1:2], v11, off
	s_waitcnt lgkmcnt(2)
	global_store_short v[1:2], v12, off offset:512
	s_waitcnt lgkmcnt(1)
	global_store_short v[1:2], v13, off offset:1024
	s_mov_b64 s[0:1], -1
	s_cbranch_execz .LBB185_76
	s_branch .LBB185_81
.LBB185_75:
	s_mov_b64 s[0:1], 0
                                        ; implicit-def: $vgpr5
.LBB185_76:
	s_waitcnt vmcnt(0) lgkmcnt(0)
	s_barrier
	ds_read_u16 v11, v8 offset:512
	ds_read_u16 v8, v9 offset:1024
	;; [unrolled: 1-line block ×3, first 2 shown]
	s_sub_i32 s2, s16, s18
	v_cmp_gt_u32_e32 vcc, s2, v0
	s_and_saveexec_b64 s[0:1], vcc
	s_cbranch_execnz .LBB185_84
; %bb.77:
	s_or_b64 exec, exec, s[0:1]
	v_cmp_gt_u32_e32 vcc, s2, v6
	s_and_saveexec_b64 s[0:1], vcc
	s_cbranch_execnz .LBB185_85
.LBB185_78:
	s_or_b64 exec, exec, s[0:1]
	v_cmp_gt_u32_e32 vcc, s2, v4
	s_and_saveexec_b64 s[0:1], vcc
	s_cbranch_execz .LBB185_80
.LBB185_79:
	s_waitcnt lgkmcnt(1)
	global_store_short v[1:2], v8, off offset:1024
.LBB185_80:
	s_or_b64 exec, exec, s[0:1]
	v_cmp_gt_u32_e64 s[0:1], s2, v3
.LBB185_81:
	s_and_saveexec_b64 s[2:3], s[0:1]
	s_cbranch_execz .LBB185_83
; %bb.82:
	s_waitcnt lgkmcnt(0)
	global_store_short v[1:2], v5, off offset:1536
.LBB185_83:
	s_endpgm
.LBB185_84:
	ds_read_u16 v0, v7
	s_waitcnt lgkmcnt(0)
	global_store_short v[1:2], v0, off
	s_or_b64 exec, exec, s[0:1]
	v_cmp_gt_u32_e32 vcc, s2, v6
	s_and_saveexec_b64 s[0:1], vcc
	s_cbranch_execz .LBB185_78
.LBB185_85:
	s_waitcnt lgkmcnt(2)
	global_store_short v[1:2], v11, off offset:512
	s_or_b64 exec, exec, s[0:1]
	v_cmp_gt_u32_e32 vcc, s2, v4
	s_and_saveexec_b64 s[0:1], vcc
	s_cbranch_execnz .LBB185_79
	s_branch .LBB185_80
	.section	.rodata,"a",@progbits
	.p2align	6, 0x0
	.amdhsa_kernel _ZN7rocprim17ROCPRIM_304000_NS6detail35device_block_merge_mergepath_kernelINS1_37wrapped_merge_sort_block_merge_configINS0_14default_configE6__halfN2at4cuda3cub6detail10OpaqueTypeILi8EEEEEPS5_SD_PSB_SE_jNS1_19radix_merge_compareILb1ELb0ES5_NS0_19identity_decomposerEEEEEvT0_T1_T2_T3_T4_SM_jT5_PKSM_NS1_7vsmem_tE
		.amdhsa_group_segment_fixed_size 8208
		.amdhsa_private_segment_fixed_size 0
		.amdhsa_kernarg_size 320
		.amdhsa_user_sgpr_count 6
		.amdhsa_user_sgpr_private_segment_buffer 1
		.amdhsa_user_sgpr_dispatch_ptr 0
		.amdhsa_user_sgpr_queue_ptr 0
		.amdhsa_user_sgpr_kernarg_segment_ptr 1
		.amdhsa_user_sgpr_dispatch_id 0
		.amdhsa_user_sgpr_flat_scratch_init 0
		.amdhsa_user_sgpr_private_segment_size 0
		.amdhsa_uses_dynamic_stack 0
		.amdhsa_system_sgpr_private_segment_wavefront_offset 0
		.amdhsa_system_sgpr_workgroup_id_x 1
		.amdhsa_system_sgpr_workgroup_id_y 1
		.amdhsa_system_sgpr_workgroup_id_z 1
		.amdhsa_system_sgpr_workgroup_info 0
		.amdhsa_system_vgpr_workitem_id 0
		.amdhsa_next_free_vgpr 33
		.amdhsa_next_free_sgpr 77
		.amdhsa_reserve_vcc 1
		.amdhsa_reserve_flat_scratch 0
		.amdhsa_float_round_mode_32 0
		.amdhsa_float_round_mode_16_64 0
		.amdhsa_float_denorm_mode_32 3
		.amdhsa_float_denorm_mode_16_64 3
		.amdhsa_dx10_clamp 1
		.amdhsa_ieee_mode 1
		.amdhsa_fp16_overflow 0
		.amdhsa_exception_fp_ieee_invalid_op 0
		.amdhsa_exception_fp_denorm_src 0
		.amdhsa_exception_fp_ieee_div_zero 0
		.amdhsa_exception_fp_ieee_overflow 0
		.amdhsa_exception_fp_ieee_underflow 0
		.amdhsa_exception_fp_ieee_inexact 0
		.amdhsa_exception_int_div_zero 0
	.end_amdhsa_kernel
	.section	.text._ZN7rocprim17ROCPRIM_304000_NS6detail35device_block_merge_mergepath_kernelINS1_37wrapped_merge_sort_block_merge_configINS0_14default_configE6__halfN2at4cuda3cub6detail10OpaqueTypeILi8EEEEEPS5_SD_PSB_SE_jNS1_19radix_merge_compareILb1ELb0ES5_NS0_19identity_decomposerEEEEEvT0_T1_T2_T3_T4_SM_jT5_PKSM_NS1_7vsmem_tE,"axG",@progbits,_ZN7rocprim17ROCPRIM_304000_NS6detail35device_block_merge_mergepath_kernelINS1_37wrapped_merge_sort_block_merge_configINS0_14default_configE6__halfN2at4cuda3cub6detail10OpaqueTypeILi8EEEEEPS5_SD_PSB_SE_jNS1_19radix_merge_compareILb1ELb0ES5_NS0_19identity_decomposerEEEEEvT0_T1_T2_T3_T4_SM_jT5_PKSM_NS1_7vsmem_tE,comdat
.Lfunc_end185:
	.size	_ZN7rocprim17ROCPRIM_304000_NS6detail35device_block_merge_mergepath_kernelINS1_37wrapped_merge_sort_block_merge_configINS0_14default_configE6__halfN2at4cuda3cub6detail10OpaqueTypeILi8EEEEEPS5_SD_PSB_SE_jNS1_19radix_merge_compareILb1ELb0ES5_NS0_19identity_decomposerEEEEEvT0_T1_T2_T3_T4_SM_jT5_PKSM_NS1_7vsmem_tE, .Lfunc_end185-_ZN7rocprim17ROCPRIM_304000_NS6detail35device_block_merge_mergepath_kernelINS1_37wrapped_merge_sort_block_merge_configINS0_14default_configE6__halfN2at4cuda3cub6detail10OpaqueTypeILi8EEEEEPS5_SD_PSB_SE_jNS1_19radix_merge_compareILb1ELb0ES5_NS0_19identity_decomposerEEEEEvT0_T1_T2_T3_T4_SM_jT5_PKSM_NS1_7vsmem_tE
                                        ; -- End function
	.set _ZN7rocprim17ROCPRIM_304000_NS6detail35device_block_merge_mergepath_kernelINS1_37wrapped_merge_sort_block_merge_configINS0_14default_configE6__halfN2at4cuda3cub6detail10OpaqueTypeILi8EEEEEPS5_SD_PSB_SE_jNS1_19radix_merge_compareILb1ELb0ES5_NS0_19identity_decomposerEEEEEvT0_T1_T2_T3_T4_SM_jT5_PKSM_NS1_7vsmem_tE.num_vgpr, 25
	.set _ZN7rocprim17ROCPRIM_304000_NS6detail35device_block_merge_mergepath_kernelINS1_37wrapped_merge_sort_block_merge_configINS0_14default_configE6__halfN2at4cuda3cub6detail10OpaqueTypeILi8EEEEEPS5_SD_PSB_SE_jNS1_19radix_merge_compareILb1ELb0ES5_NS0_19identity_decomposerEEEEEvT0_T1_T2_T3_T4_SM_jT5_PKSM_NS1_7vsmem_tE.num_agpr, 0
	.set _ZN7rocprim17ROCPRIM_304000_NS6detail35device_block_merge_mergepath_kernelINS1_37wrapped_merge_sort_block_merge_configINS0_14default_configE6__halfN2at4cuda3cub6detail10OpaqueTypeILi8EEEEEPS5_SD_PSB_SE_jNS1_19radix_merge_compareILb1ELb0ES5_NS0_19identity_decomposerEEEEEvT0_T1_T2_T3_T4_SM_jT5_PKSM_NS1_7vsmem_tE.numbered_sgpr, 31
	.set _ZN7rocprim17ROCPRIM_304000_NS6detail35device_block_merge_mergepath_kernelINS1_37wrapped_merge_sort_block_merge_configINS0_14default_configE6__halfN2at4cuda3cub6detail10OpaqueTypeILi8EEEEEPS5_SD_PSB_SE_jNS1_19radix_merge_compareILb1ELb0ES5_NS0_19identity_decomposerEEEEEvT0_T1_T2_T3_T4_SM_jT5_PKSM_NS1_7vsmem_tE.num_named_barrier, 0
	.set _ZN7rocprim17ROCPRIM_304000_NS6detail35device_block_merge_mergepath_kernelINS1_37wrapped_merge_sort_block_merge_configINS0_14default_configE6__halfN2at4cuda3cub6detail10OpaqueTypeILi8EEEEEPS5_SD_PSB_SE_jNS1_19radix_merge_compareILb1ELb0ES5_NS0_19identity_decomposerEEEEEvT0_T1_T2_T3_T4_SM_jT5_PKSM_NS1_7vsmem_tE.private_seg_size, 0
	.set _ZN7rocprim17ROCPRIM_304000_NS6detail35device_block_merge_mergepath_kernelINS1_37wrapped_merge_sort_block_merge_configINS0_14default_configE6__halfN2at4cuda3cub6detail10OpaqueTypeILi8EEEEEPS5_SD_PSB_SE_jNS1_19radix_merge_compareILb1ELb0ES5_NS0_19identity_decomposerEEEEEvT0_T1_T2_T3_T4_SM_jT5_PKSM_NS1_7vsmem_tE.uses_vcc, 1
	.set _ZN7rocprim17ROCPRIM_304000_NS6detail35device_block_merge_mergepath_kernelINS1_37wrapped_merge_sort_block_merge_configINS0_14default_configE6__halfN2at4cuda3cub6detail10OpaqueTypeILi8EEEEEPS5_SD_PSB_SE_jNS1_19radix_merge_compareILb1ELb0ES5_NS0_19identity_decomposerEEEEEvT0_T1_T2_T3_T4_SM_jT5_PKSM_NS1_7vsmem_tE.uses_flat_scratch, 0
	.set _ZN7rocprim17ROCPRIM_304000_NS6detail35device_block_merge_mergepath_kernelINS1_37wrapped_merge_sort_block_merge_configINS0_14default_configE6__halfN2at4cuda3cub6detail10OpaqueTypeILi8EEEEEPS5_SD_PSB_SE_jNS1_19radix_merge_compareILb1ELb0ES5_NS0_19identity_decomposerEEEEEvT0_T1_T2_T3_T4_SM_jT5_PKSM_NS1_7vsmem_tE.has_dyn_sized_stack, 0
	.set _ZN7rocprim17ROCPRIM_304000_NS6detail35device_block_merge_mergepath_kernelINS1_37wrapped_merge_sort_block_merge_configINS0_14default_configE6__halfN2at4cuda3cub6detail10OpaqueTypeILi8EEEEEPS5_SD_PSB_SE_jNS1_19radix_merge_compareILb1ELb0ES5_NS0_19identity_decomposerEEEEEvT0_T1_T2_T3_T4_SM_jT5_PKSM_NS1_7vsmem_tE.has_recursion, 0
	.set _ZN7rocprim17ROCPRIM_304000_NS6detail35device_block_merge_mergepath_kernelINS1_37wrapped_merge_sort_block_merge_configINS0_14default_configE6__halfN2at4cuda3cub6detail10OpaqueTypeILi8EEEEEPS5_SD_PSB_SE_jNS1_19radix_merge_compareILb1ELb0ES5_NS0_19identity_decomposerEEEEEvT0_T1_T2_T3_T4_SM_jT5_PKSM_NS1_7vsmem_tE.has_indirect_call, 0
	.section	.AMDGPU.csdata,"",@progbits
; Kernel info:
; codeLenInByte = 3676
; TotalNumSgprs: 35
; NumVgprs: 25
; ScratchSize: 0
; MemoryBound: 0
; FloatMode: 240
; IeeeMode: 1
; LDSByteSize: 8208 bytes/workgroup (compile time only)
; SGPRBlocks: 10
; VGPRBlocks: 8
; NumSGPRsForWavesPerEU: 81
; NumVGPRsForWavesPerEU: 33
; Occupancy: 7
; WaveLimiterHint : 1
; COMPUTE_PGM_RSRC2:SCRATCH_EN: 0
; COMPUTE_PGM_RSRC2:USER_SGPR: 6
; COMPUTE_PGM_RSRC2:TRAP_HANDLER: 0
; COMPUTE_PGM_RSRC2:TGID_X_EN: 1
; COMPUTE_PGM_RSRC2:TGID_Y_EN: 1
; COMPUTE_PGM_RSRC2:TGID_Z_EN: 1
; COMPUTE_PGM_RSRC2:TIDIG_COMP_CNT: 0
	.section	.text._ZN7rocprim17ROCPRIM_304000_NS6detail33device_block_merge_oddeven_kernelINS1_37wrapped_merge_sort_block_merge_configINS0_14default_configE6__halfN2at4cuda3cub6detail10OpaqueTypeILi8EEEEEPS5_SD_PSB_SE_jNS1_19radix_merge_compareILb1ELb0ES5_NS0_19identity_decomposerEEEEEvT0_T1_T2_T3_T4_SM_T5_,"axG",@progbits,_ZN7rocprim17ROCPRIM_304000_NS6detail33device_block_merge_oddeven_kernelINS1_37wrapped_merge_sort_block_merge_configINS0_14default_configE6__halfN2at4cuda3cub6detail10OpaqueTypeILi8EEEEEPS5_SD_PSB_SE_jNS1_19radix_merge_compareILb1ELb0ES5_NS0_19identity_decomposerEEEEEvT0_T1_T2_T3_T4_SM_T5_,comdat
	.protected	_ZN7rocprim17ROCPRIM_304000_NS6detail33device_block_merge_oddeven_kernelINS1_37wrapped_merge_sort_block_merge_configINS0_14default_configE6__halfN2at4cuda3cub6detail10OpaqueTypeILi8EEEEEPS5_SD_PSB_SE_jNS1_19radix_merge_compareILb1ELb0ES5_NS0_19identity_decomposerEEEEEvT0_T1_T2_T3_T4_SM_T5_ ; -- Begin function _ZN7rocprim17ROCPRIM_304000_NS6detail33device_block_merge_oddeven_kernelINS1_37wrapped_merge_sort_block_merge_configINS0_14default_configE6__halfN2at4cuda3cub6detail10OpaqueTypeILi8EEEEEPS5_SD_PSB_SE_jNS1_19radix_merge_compareILb1ELb0ES5_NS0_19identity_decomposerEEEEEvT0_T1_T2_T3_T4_SM_T5_
	.globl	_ZN7rocprim17ROCPRIM_304000_NS6detail33device_block_merge_oddeven_kernelINS1_37wrapped_merge_sort_block_merge_configINS0_14default_configE6__halfN2at4cuda3cub6detail10OpaqueTypeILi8EEEEEPS5_SD_PSB_SE_jNS1_19radix_merge_compareILb1ELb0ES5_NS0_19identity_decomposerEEEEEvT0_T1_T2_T3_T4_SM_T5_
	.p2align	8
	.type	_ZN7rocprim17ROCPRIM_304000_NS6detail33device_block_merge_oddeven_kernelINS1_37wrapped_merge_sort_block_merge_configINS0_14default_configE6__halfN2at4cuda3cub6detail10OpaqueTypeILi8EEEEEPS5_SD_PSB_SE_jNS1_19radix_merge_compareILb1ELb0ES5_NS0_19identity_decomposerEEEEEvT0_T1_T2_T3_T4_SM_T5_,@function
_ZN7rocprim17ROCPRIM_304000_NS6detail33device_block_merge_oddeven_kernelINS1_37wrapped_merge_sort_block_merge_configINS0_14default_configE6__halfN2at4cuda3cub6detail10OpaqueTypeILi8EEEEEPS5_SD_PSB_SE_jNS1_19radix_merge_compareILb1ELb0ES5_NS0_19identity_decomposerEEEEEvT0_T1_T2_T3_T4_SM_T5_: ; @_ZN7rocprim17ROCPRIM_304000_NS6detail33device_block_merge_oddeven_kernelINS1_37wrapped_merge_sort_block_merge_configINS0_14default_configE6__halfN2at4cuda3cub6detail10OpaqueTypeILi8EEEEEPS5_SD_PSB_SE_jNS1_19radix_merge_compareILb1ELb0ES5_NS0_19identity_decomposerEEEEEvT0_T1_T2_T3_T4_SM_T5_
; %bb.0:
	s_load_dwordx2 s[18:19], s[4:5], 0x20
	s_waitcnt lgkmcnt(0)
	s_lshr_b32 s0, s18, 8
	s_cmp_eq_u32 s6, s0
	s_cselect_b64 s[16:17], -1, 0
	s_cmp_lg_u32 s6, s0
	s_cselect_b64 s[0:1], -1, 0
	s_lshl_b32 s20, s6, 8
	s_sub_i32 s2, s18, s20
	v_cmp_gt_u32_e64 s[2:3], s2, v0
	s_or_b64 s[0:1], s[0:1], s[2:3]
	s_and_saveexec_b64 s[8:9], s[0:1]
	s_cbranch_execz .LBB186_24
; %bb.1:
	s_load_dwordx8 s[8:15], s[4:5], 0x0
	s_mov_b32 s21, 0
	s_lshl_b64 s[0:1], s[20:21], 1
	v_lshlrev_b32_e32 v4, 3, v0
	v_lshlrev_b32_e32 v3, 1, v0
	s_waitcnt lgkmcnt(0)
	s_add_u32 s0, s8, s0
	s_addc_u32 s1, s9, s1
	s_lshl_b64 s[4:5], s[20:21], 3
	s_add_u32 s4, s12, s4
	s_addc_u32 s5, s13, s5
	global_load_dwordx2 v[1:2], v4, s[4:5]
	global_load_ushort v5, v3, s[0:1]
	s_lshr_b32 s0, s19, 8
	s_sub_i32 s1, 0, s0
	s_and_b32 s1, s6, s1
	s_and_b32 s0, s1, s0
	s_lshl_b32 s13, s1, 8
	s_sub_i32 s6, 0, s19
	s_cmp_eq_u32 s0, 0
	s_cselect_b64 s[0:1], -1, 0
	s_and_b64 s[4:5], s[0:1], exec
	s_cselect_b32 s6, s19, s6
	s_add_i32 s6, s6, s13
	s_mov_b64 s[4:5], -1
	s_cmp_gt_u32 s18, s6
	v_add_u32_e32 v3, s20, v0
	s_cbranch_scc1 .LBB186_9
; %bb.2:
	s_and_b64 vcc, exec, s[16:17]
	s_cbranch_vccz .LBB186_6
; %bb.3:
	v_cmp_gt_u32_e32 vcc, s18, v3
	s_and_saveexec_b64 s[4:5], vcc
	s_cbranch_execz .LBB186_5
; %bb.4:
	v_mov_b32_e32 v4, 0
	v_lshlrev_b64 v[6:7], 3, v[3:4]
	v_mov_b32_e32 v0, s15
	v_add_co_u32_e32 v6, vcc, s14, v6
	v_lshlrev_b64 v[8:9], 1, v[3:4]
	v_addc_co_u32_e32 v7, vcc, v0, v7, vcc
	v_mov_b32_e32 v0, s11
	v_add_co_u32_e32 v8, vcc, s10, v8
	v_addc_co_u32_e32 v9, vcc, v0, v9, vcc
	s_waitcnt vmcnt(0)
	global_store_short v[8:9], v5, off
	global_store_dwordx2 v[6:7], v[1:2], off
.LBB186_5:
	s_or_b64 exec, exec, s[4:5]
	s_mov_b64 s[4:5], 0
.LBB186_6:
	s_andn2_b64 vcc, exec, s[4:5]
	s_cbranch_vccnz .LBB186_8
; %bb.7:
	v_mov_b32_e32 v4, 0
	v_lshlrev_b64 v[6:7], 1, v[3:4]
	v_mov_b32_e32 v0, s11
	v_add_co_u32_e32 v6, vcc, s10, v6
	v_lshlrev_b64 v[8:9], 3, v[3:4]
	v_addc_co_u32_e32 v7, vcc, v0, v7, vcc
	v_mov_b32_e32 v0, s15
	v_add_co_u32_e32 v8, vcc, s14, v8
	v_addc_co_u32_e32 v9, vcc, v0, v9, vcc
	s_waitcnt vmcnt(0)
	global_store_short v[6:7], v5, off
	global_store_dwordx2 v[8:9], v[1:2], off
.LBB186_8:
	s_mov_b64 s[4:5], 0
.LBB186_9:
	s_andn2_b64 vcc, exec, s[4:5]
	s_cbranch_vccnz .LBB186_24
; %bb.10:
	s_min_u32 s7, s6, s18
	s_add_i32 s4, s7, s19
	s_min_u32 s12, s4, s18
	s_min_u32 s4, s13, s7
	s_add_i32 s13, s13, s7
	v_subrev_u32_e32 v0, s13, v3
	v_add_u32_e32 v0, s4, v0
	s_movk_i32 s4, 0x8000
	s_waitcnt vmcnt(0)
	v_cmp_ne_u16_e32 vcc, s4, v5
	v_cndmask_b32_e32 v3, 0, v5, vcc
	v_mov_b32_e32 v4, 0xffff8000
	v_cmp_lt_i16_e32 vcc, -1, v3
	v_cndmask_b32_e32 v4, -1, v4, vcc
	v_xor_b32_e32 v3, v4, v3
	s_mov_b64 s[4:5], -1
	s_and_b64 vcc, exec, s[16:17]
	s_cbranch_vccz .LBB186_18
; %bb.11:
	s_and_saveexec_b64 s[4:5], s[2:3]
	s_cbranch_execz .LBB186_17
; %bb.12:
	s_cmp_ge_u32 s6, s12
	v_mov_b32_e32 v4, s7
	s_cbranch_scc1 .LBB186_16
; %bb.13:
	s_mov_b64 s[2:3], 0
	v_mov_b32_e32 v6, s12
	v_mov_b32_e32 v4, s7
	s_movk_i32 s13, 0x8000
	v_mov_b32_e32 v7, 0xffff8000
.LBB186_14:                             ; =>This Inner Loop Header: Depth=1
	v_add_u32_e32 v8, v4, v6
	v_and_b32_e32 v9, -2, v8
	global_load_ushort v9, v9, s[8:9]
	v_lshrrev_b32_e32 v8, 1, v8
	v_add_u32_e32 v10, 1, v8
	s_waitcnt vmcnt(0)
	v_cmp_ne_u16_e32 vcc, s13, v9
	v_cndmask_b32_e32 v9, 0, v9, vcc
	v_cmp_lt_i16_e32 vcc, -1, v9
	v_cndmask_b32_e32 v11, -1, v7, vcc
	v_xor_b32_e32 v9, v11, v9
	v_cmp_gt_u16_e32 vcc, v9, v3
	v_cndmask_b32_e64 v11, 0, 1, vcc
	v_cmp_le_u16_e32 vcc, v3, v9
	v_cndmask_b32_e64 v9, 0, 1, vcc
	v_cndmask_b32_e64 v9, v9, v11, s[0:1]
	v_and_b32_e32 v9, 1, v9
	v_cmp_eq_u32_e32 vcc, 1, v9
	v_cndmask_b32_e32 v6, v8, v6, vcc
	v_cndmask_b32_e32 v4, v4, v10, vcc
	v_cmp_ge_u32_e32 vcc, v4, v6
	s_or_b64 s[2:3], vcc, s[2:3]
	s_andn2_b64 exec, exec, s[2:3]
	s_cbranch_execnz .LBB186_14
; %bb.15:
	s_or_b64 exec, exec, s[2:3]
.LBB186_16:
	v_add_u32_e32 v6, v4, v0
	v_mov_b32_e32 v7, 0
	v_lshlrev_b64 v[8:9], 1, v[6:7]
	v_mov_b32_e32 v4, s11
	v_add_co_u32_e32 v8, vcc, s10, v8
	v_lshlrev_b64 v[6:7], 3, v[6:7]
	v_addc_co_u32_e32 v9, vcc, v4, v9, vcc
	v_mov_b32_e32 v4, s15
	v_add_co_u32_e32 v6, vcc, s14, v6
	v_addc_co_u32_e32 v7, vcc, v4, v7, vcc
	global_store_short v[8:9], v5, off
	global_store_dwordx2 v[6:7], v[1:2], off
.LBB186_17:
	s_or_b64 exec, exec, s[4:5]
	s_mov_b64 s[4:5], 0
.LBB186_18:
	s_andn2_b64 vcc, exec, s[4:5]
	s_cbranch_vccnz .LBB186_24
; %bb.19:
	s_cmp_ge_u32 s6, s12
	v_mov_b32_e32 v4, s7
	s_cbranch_scc1 .LBB186_23
; %bb.20:
	s_mov_b64 s[2:3], 0
	v_mov_b32_e32 v6, s12
	v_mov_b32_e32 v4, s7
	s_movk_i32 s4, 0x8000
	v_mov_b32_e32 v7, 0xffff8000
.LBB186_21:                             ; =>This Inner Loop Header: Depth=1
	v_add_u32_e32 v8, v4, v6
	v_and_b32_e32 v9, -2, v8
	global_load_ushort v9, v9, s[8:9]
	v_lshrrev_b32_e32 v8, 1, v8
	v_add_u32_e32 v10, 1, v8
	s_waitcnt vmcnt(0)
	v_cmp_ne_u16_e32 vcc, s4, v9
	v_cndmask_b32_e32 v9, 0, v9, vcc
	v_cmp_lt_i16_e32 vcc, -1, v9
	v_cndmask_b32_e32 v11, -1, v7, vcc
	v_xor_b32_e32 v9, v11, v9
	v_cmp_gt_u16_e32 vcc, v9, v3
	v_cndmask_b32_e64 v11, 0, 1, vcc
	v_cmp_le_u16_e32 vcc, v3, v9
	v_cndmask_b32_e64 v9, 0, 1, vcc
	v_cndmask_b32_e64 v9, v9, v11, s[0:1]
	v_and_b32_e32 v9, 1, v9
	v_cmp_eq_u32_e32 vcc, 1, v9
	v_cndmask_b32_e32 v6, v8, v6, vcc
	v_cndmask_b32_e32 v4, v4, v10, vcc
	v_cmp_ge_u32_e32 vcc, v4, v6
	s_or_b64 s[2:3], vcc, s[2:3]
	s_andn2_b64 exec, exec, s[2:3]
	s_cbranch_execnz .LBB186_21
; %bb.22:
	s_or_b64 exec, exec, s[2:3]
.LBB186_23:
	v_add_u32_e32 v3, v4, v0
	v_mov_b32_e32 v4, 0
	v_lshlrev_b64 v[6:7], 1, v[3:4]
	v_mov_b32_e32 v0, s11
	v_add_co_u32_e32 v6, vcc, s10, v6
	v_lshlrev_b64 v[3:4], 3, v[3:4]
	v_addc_co_u32_e32 v7, vcc, v0, v7, vcc
	v_mov_b32_e32 v0, s15
	v_add_co_u32_e32 v3, vcc, s14, v3
	v_addc_co_u32_e32 v4, vcc, v0, v4, vcc
	global_store_short v[6:7], v5, off
	global_store_dwordx2 v[3:4], v[1:2], off
.LBB186_24:
	s_endpgm
	.section	.rodata,"a",@progbits
	.p2align	6, 0x0
	.amdhsa_kernel _ZN7rocprim17ROCPRIM_304000_NS6detail33device_block_merge_oddeven_kernelINS1_37wrapped_merge_sort_block_merge_configINS0_14default_configE6__halfN2at4cuda3cub6detail10OpaqueTypeILi8EEEEEPS5_SD_PSB_SE_jNS1_19radix_merge_compareILb1ELb0ES5_NS0_19identity_decomposerEEEEEvT0_T1_T2_T3_T4_SM_T5_
		.amdhsa_group_segment_fixed_size 0
		.amdhsa_private_segment_fixed_size 0
		.amdhsa_kernarg_size 44
		.amdhsa_user_sgpr_count 6
		.amdhsa_user_sgpr_private_segment_buffer 1
		.amdhsa_user_sgpr_dispatch_ptr 0
		.amdhsa_user_sgpr_queue_ptr 0
		.amdhsa_user_sgpr_kernarg_segment_ptr 1
		.amdhsa_user_sgpr_dispatch_id 0
		.amdhsa_user_sgpr_flat_scratch_init 0
		.amdhsa_user_sgpr_private_segment_size 0
		.amdhsa_uses_dynamic_stack 0
		.amdhsa_system_sgpr_private_segment_wavefront_offset 0
		.amdhsa_system_sgpr_workgroup_id_x 1
		.amdhsa_system_sgpr_workgroup_id_y 0
		.amdhsa_system_sgpr_workgroup_id_z 0
		.amdhsa_system_sgpr_workgroup_info 0
		.amdhsa_system_vgpr_workitem_id 0
		.amdhsa_next_free_vgpr 12
		.amdhsa_next_free_sgpr 22
		.amdhsa_reserve_vcc 1
		.amdhsa_reserve_flat_scratch 0
		.amdhsa_float_round_mode_32 0
		.amdhsa_float_round_mode_16_64 0
		.amdhsa_float_denorm_mode_32 3
		.amdhsa_float_denorm_mode_16_64 3
		.amdhsa_dx10_clamp 1
		.amdhsa_ieee_mode 1
		.amdhsa_fp16_overflow 0
		.amdhsa_exception_fp_ieee_invalid_op 0
		.amdhsa_exception_fp_denorm_src 0
		.amdhsa_exception_fp_ieee_div_zero 0
		.amdhsa_exception_fp_ieee_overflow 0
		.amdhsa_exception_fp_ieee_underflow 0
		.amdhsa_exception_fp_ieee_inexact 0
		.amdhsa_exception_int_div_zero 0
	.end_amdhsa_kernel
	.section	.text._ZN7rocprim17ROCPRIM_304000_NS6detail33device_block_merge_oddeven_kernelINS1_37wrapped_merge_sort_block_merge_configINS0_14default_configE6__halfN2at4cuda3cub6detail10OpaqueTypeILi8EEEEEPS5_SD_PSB_SE_jNS1_19radix_merge_compareILb1ELb0ES5_NS0_19identity_decomposerEEEEEvT0_T1_T2_T3_T4_SM_T5_,"axG",@progbits,_ZN7rocprim17ROCPRIM_304000_NS6detail33device_block_merge_oddeven_kernelINS1_37wrapped_merge_sort_block_merge_configINS0_14default_configE6__halfN2at4cuda3cub6detail10OpaqueTypeILi8EEEEEPS5_SD_PSB_SE_jNS1_19radix_merge_compareILb1ELb0ES5_NS0_19identity_decomposerEEEEEvT0_T1_T2_T3_T4_SM_T5_,comdat
.Lfunc_end186:
	.size	_ZN7rocprim17ROCPRIM_304000_NS6detail33device_block_merge_oddeven_kernelINS1_37wrapped_merge_sort_block_merge_configINS0_14default_configE6__halfN2at4cuda3cub6detail10OpaqueTypeILi8EEEEEPS5_SD_PSB_SE_jNS1_19radix_merge_compareILb1ELb0ES5_NS0_19identity_decomposerEEEEEvT0_T1_T2_T3_T4_SM_T5_, .Lfunc_end186-_ZN7rocprim17ROCPRIM_304000_NS6detail33device_block_merge_oddeven_kernelINS1_37wrapped_merge_sort_block_merge_configINS0_14default_configE6__halfN2at4cuda3cub6detail10OpaqueTypeILi8EEEEEPS5_SD_PSB_SE_jNS1_19radix_merge_compareILb1ELb0ES5_NS0_19identity_decomposerEEEEEvT0_T1_T2_T3_T4_SM_T5_
                                        ; -- End function
	.set _ZN7rocprim17ROCPRIM_304000_NS6detail33device_block_merge_oddeven_kernelINS1_37wrapped_merge_sort_block_merge_configINS0_14default_configE6__halfN2at4cuda3cub6detail10OpaqueTypeILi8EEEEEPS5_SD_PSB_SE_jNS1_19radix_merge_compareILb1ELb0ES5_NS0_19identity_decomposerEEEEEvT0_T1_T2_T3_T4_SM_T5_.num_vgpr, 12
	.set _ZN7rocprim17ROCPRIM_304000_NS6detail33device_block_merge_oddeven_kernelINS1_37wrapped_merge_sort_block_merge_configINS0_14default_configE6__halfN2at4cuda3cub6detail10OpaqueTypeILi8EEEEEPS5_SD_PSB_SE_jNS1_19radix_merge_compareILb1ELb0ES5_NS0_19identity_decomposerEEEEEvT0_T1_T2_T3_T4_SM_T5_.num_agpr, 0
	.set _ZN7rocprim17ROCPRIM_304000_NS6detail33device_block_merge_oddeven_kernelINS1_37wrapped_merge_sort_block_merge_configINS0_14default_configE6__halfN2at4cuda3cub6detail10OpaqueTypeILi8EEEEEPS5_SD_PSB_SE_jNS1_19radix_merge_compareILb1ELb0ES5_NS0_19identity_decomposerEEEEEvT0_T1_T2_T3_T4_SM_T5_.numbered_sgpr, 22
	.set _ZN7rocprim17ROCPRIM_304000_NS6detail33device_block_merge_oddeven_kernelINS1_37wrapped_merge_sort_block_merge_configINS0_14default_configE6__halfN2at4cuda3cub6detail10OpaqueTypeILi8EEEEEPS5_SD_PSB_SE_jNS1_19radix_merge_compareILb1ELb0ES5_NS0_19identity_decomposerEEEEEvT0_T1_T2_T3_T4_SM_T5_.num_named_barrier, 0
	.set _ZN7rocprim17ROCPRIM_304000_NS6detail33device_block_merge_oddeven_kernelINS1_37wrapped_merge_sort_block_merge_configINS0_14default_configE6__halfN2at4cuda3cub6detail10OpaqueTypeILi8EEEEEPS5_SD_PSB_SE_jNS1_19radix_merge_compareILb1ELb0ES5_NS0_19identity_decomposerEEEEEvT0_T1_T2_T3_T4_SM_T5_.private_seg_size, 0
	.set _ZN7rocprim17ROCPRIM_304000_NS6detail33device_block_merge_oddeven_kernelINS1_37wrapped_merge_sort_block_merge_configINS0_14default_configE6__halfN2at4cuda3cub6detail10OpaqueTypeILi8EEEEEPS5_SD_PSB_SE_jNS1_19radix_merge_compareILb1ELb0ES5_NS0_19identity_decomposerEEEEEvT0_T1_T2_T3_T4_SM_T5_.uses_vcc, 1
	.set _ZN7rocprim17ROCPRIM_304000_NS6detail33device_block_merge_oddeven_kernelINS1_37wrapped_merge_sort_block_merge_configINS0_14default_configE6__halfN2at4cuda3cub6detail10OpaqueTypeILi8EEEEEPS5_SD_PSB_SE_jNS1_19radix_merge_compareILb1ELb0ES5_NS0_19identity_decomposerEEEEEvT0_T1_T2_T3_T4_SM_T5_.uses_flat_scratch, 0
	.set _ZN7rocprim17ROCPRIM_304000_NS6detail33device_block_merge_oddeven_kernelINS1_37wrapped_merge_sort_block_merge_configINS0_14default_configE6__halfN2at4cuda3cub6detail10OpaqueTypeILi8EEEEEPS5_SD_PSB_SE_jNS1_19radix_merge_compareILb1ELb0ES5_NS0_19identity_decomposerEEEEEvT0_T1_T2_T3_T4_SM_T5_.has_dyn_sized_stack, 0
	.set _ZN7rocprim17ROCPRIM_304000_NS6detail33device_block_merge_oddeven_kernelINS1_37wrapped_merge_sort_block_merge_configINS0_14default_configE6__halfN2at4cuda3cub6detail10OpaqueTypeILi8EEEEEPS5_SD_PSB_SE_jNS1_19radix_merge_compareILb1ELb0ES5_NS0_19identity_decomposerEEEEEvT0_T1_T2_T3_T4_SM_T5_.has_recursion, 0
	.set _ZN7rocprim17ROCPRIM_304000_NS6detail33device_block_merge_oddeven_kernelINS1_37wrapped_merge_sort_block_merge_configINS0_14default_configE6__halfN2at4cuda3cub6detail10OpaqueTypeILi8EEEEEPS5_SD_PSB_SE_jNS1_19radix_merge_compareILb1ELb0ES5_NS0_19identity_decomposerEEEEEvT0_T1_T2_T3_T4_SM_T5_.has_indirect_call, 0
	.section	.AMDGPU.csdata,"",@progbits
; Kernel info:
; codeLenInByte = 896
; TotalNumSgprs: 26
; NumVgprs: 12
; ScratchSize: 0
; MemoryBound: 0
; FloatMode: 240
; IeeeMode: 1
; LDSByteSize: 0 bytes/workgroup (compile time only)
; SGPRBlocks: 3
; VGPRBlocks: 2
; NumSGPRsForWavesPerEU: 26
; NumVGPRsForWavesPerEU: 12
; Occupancy: 10
; WaveLimiterHint : 0
; COMPUTE_PGM_RSRC2:SCRATCH_EN: 0
; COMPUTE_PGM_RSRC2:USER_SGPR: 6
; COMPUTE_PGM_RSRC2:TRAP_HANDLER: 0
; COMPUTE_PGM_RSRC2:TGID_X_EN: 1
; COMPUTE_PGM_RSRC2:TGID_Y_EN: 0
; COMPUTE_PGM_RSRC2:TGID_Z_EN: 0
; COMPUTE_PGM_RSRC2:TIDIG_COMP_CNT: 0
	.section	.text._ZN7rocprim17ROCPRIM_304000_NS6detail16transform_kernelINS1_24wrapped_transform_configINS0_14default_configE6__halfEES5_PS5_S7_NS0_8identityIS5_EEEEvT1_mT2_T3_,"axG",@progbits,_ZN7rocprim17ROCPRIM_304000_NS6detail16transform_kernelINS1_24wrapped_transform_configINS0_14default_configE6__halfEES5_PS5_S7_NS0_8identityIS5_EEEEvT1_mT2_T3_,comdat
	.protected	_ZN7rocprim17ROCPRIM_304000_NS6detail16transform_kernelINS1_24wrapped_transform_configINS0_14default_configE6__halfEES5_PS5_S7_NS0_8identityIS5_EEEEvT1_mT2_T3_ ; -- Begin function _ZN7rocprim17ROCPRIM_304000_NS6detail16transform_kernelINS1_24wrapped_transform_configINS0_14default_configE6__halfEES5_PS5_S7_NS0_8identityIS5_EEEEvT1_mT2_T3_
	.globl	_ZN7rocprim17ROCPRIM_304000_NS6detail16transform_kernelINS1_24wrapped_transform_configINS0_14default_configE6__halfEES5_PS5_S7_NS0_8identityIS5_EEEEvT1_mT2_T3_
	.p2align	8
	.type	_ZN7rocprim17ROCPRIM_304000_NS6detail16transform_kernelINS1_24wrapped_transform_configINS0_14default_configE6__halfEES5_PS5_S7_NS0_8identityIS5_EEEEvT1_mT2_T3_,@function
_ZN7rocprim17ROCPRIM_304000_NS6detail16transform_kernelINS1_24wrapped_transform_configINS0_14default_configE6__halfEES5_PS5_S7_NS0_8identityIS5_EEEEvT1_mT2_T3_: ; @_ZN7rocprim17ROCPRIM_304000_NS6detail16transform_kernelINS1_24wrapped_transform_configINS0_14default_configE6__halfEES5_PS5_S7_NS0_8identityIS5_EEEEvT1_mT2_T3_
; %bb.0:
	s_load_dword s7, s[4:5], 0x20
	s_load_dwordx4 s[0:3], s[4:5], 0x0
	s_load_dwordx2 s[8:9], s[4:5], 0x10
	s_lshl_b32 s4, s6, 11
	s_mov_b32 s5, 0
	s_waitcnt lgkmcnt(0)
	s_add_i32 s7, s7, -1
	s_lshl_b64 s[10:11], s[4:5], 1
	s_add_u32 s0, s0, s10
	s_addc_u32 s1, s1, s11
	v_lshlrev_b32_e32 v3, 1, v0
	v_mov_b32_e32 v2, s1
	v_add_co_u32_e32 v1, vcc, s0, v3
	s_cmp_lg_u32 s6, s7
	v_addc_co_u32_e32 v2, vcc, 0, v2, vcc
	s_cbranch_scc0 .LBB187_2
; %bb.1:
	global_load_ushort v5, v[1:2], off
	global_load_ushort v6, v[1:2], off offset:1024
	global_load_ushort v7, v[1:2], off offset:2048
	;; [unrolled: 1-line block ×3, first 2 shown]
	s_add_u32 s6, s8, s10
	s_addc_u32 s7, s9, s11
	s_waitcnt vmcnt(3)
	global_store_short v3, v5, s[6:7]
	s_waitcnt vmcnt(3)
	global_store_short v3, v6, s[6:7] offset:1024
	s_waitcnt vmcnt(3)
	global_store_short v3, v7, s[6:7] offset:2048
	s_mov_b64 s[6:7], -1
	s_cbranch_execz .LBB187_3
	s_branch .LBB187_16
.LBB187_2:
	s_mov_b64 s[6:7], 0
                                        ; implicit-def: $vgpr4
.LBB187_3:
	s_sub_i32 s6, s2, s4
	v_cmp_gt_u32_e32 vcc, s6, v0
                                        ; implicit-def: $vgpr5
	s_and_saveexec_b64 s[0:1], vcc
	s_cbranch_execz .LBB187_5
; %bb.4:
	global_load_ushort v5, v[1:2], off
.LBB187_5:
	s_or_b64 exec, exec, s[0:1]
	s_waitcnt vmcnt(3)
	v_or_b32_e32 v4, 0x200, v0
	v_cmp_gt_u32_e64 s[0:1], s6, v4
                                        ; implicit-def: $vgpr6
	s_and_saveexec_b64 s[2:3], s[0:1]
	s_cbranch_execz .LBB187_7
; %bb.6:
	global_load_ushort v6, v[1:2], off offset:1024
.LBB187_7:
	s_or_b64 exec, exec, s[2:3]
	v_or_b32_e32 v4, 0x400, v0
	v_cmp_gt_u32_e64 s[2:3], s6, v4
                                        ; implicit-def: $vgpr7
	s_and_saveexec_b64 s[4:5], s[2:3]
	s_cbranch_execz .LBB187_9
; %bb.8:
	global_load_ushort v7, v[1:2], off offset:2048
.LBB187_9:
	s_or_b64 exec, exec, s[4:5]
	v_or_b32_e32 v0, 0x600, v0
	v_cmp_gt_u32_e64 s[6:7], s6, v0
                                        ; implicit-def: $vgpr4
	s_and_saveexec_b64 s[4:5], s[6:7]
	s_cbranch_execz .LBB187_11
; %bb.10:
	global_load_ushort v4, v[1:2], off offset:3072
.LBB187_11:
	s_or_b64 exec, exec, s[4:5]
	s_add_u32 s4, s8, s10
	s_addc_u32 s5, s9, s11
	v_mov_b32_e32 v1, s5
	v_add_co_u32_e64 v0, s[4:5], s4, v3
	v_addc_co_u32_e64 v1, s[4:5], 0, v1, s[4:5]
	s_and_saveexec_b64 s[4:5], vcc
	s_cbranch_execnz .LBB187_19
; %bb.12:
	s_or_b64 exec, exec, s[4:5]
	s_and_saveexec_b64 s[4:5], s[0:1]
	s_cbranch_execnz .LBB187_20
.LBB187_13:
	s_or_b64 exec, exec, s[4:5]
	s_and_saveexec_b64 s[0:1], s[2:3]
	s_cbranch_execz .LBB187_15
.LBB187_14:
	s_waitcnt vmcnt(0)
	global_store_short v[0:1], v7, off offset:2048
.LBB187_15:
	s_or_b64 exec, exec, s[0:1]
.LBB187_16:
	s_and_saveexec_b64 s[0:1], s[6:7]
	s_cbranch_execnz .LBB187_18
; %bb.17:
	s_endpgm
.LBB187_18:
	s_add_u32 s0, s8, s10
	s_addc_u32 s1, s9, s11
	s_waitcnt vmcnt(0)
	global_store_short v3, v4, s[0:1] offset:3072
	s_endpgm
.LBB187_19:
	s_waitcnt vmcnt(0)
	global_store_short v[0:1], v5, off
	s_or_b64 exec, exec, s[4:5]
	s_and_saveexec_b64 s[4:5], s[0:1]
	s_cbranch_execz .LBB187_13
.LBB187_20:
	s_waitcnt vmcnt(0)
	global_store_short v[0:1], v6, off offset:1024
	s_or_b64 exec, exec, s[4:5]
	s_and_saveexec_b64 s[0:1], s[2:3]
	s_cbranch_execnz .LBB187_14
	s_branch .LBB187_15
	.section	.rodata,"a",@progbits
	.p2align	6, 0x0
	.amdhsa_kernel _ZN7rocprim17ROCPRIM_304000_NS6detail16transform_kernelINS1_24wrapped_transform_configINS0_14default_configE6__halfEES5_PS5_S7_NS0_8identityIS5_EEEEvT1_mT2_T3_
		.amdhsa_group_segment_fixed_size 0
		.amdhsa_private_segment_fixed_size 0
		.amdhsa_kernarg_size 288
		.amdhsa_user_sgpr_count 6
		.amdhsa_user_sgpr_private_segment_buffer 1
		.amdhsa_user_sgpr_dispatch_ptr 0
		.amdhsa_user_sgpr_queue_ptr 0
		.amdhsa_user_sgpr_kernarg_segment_ptr 1
		.amdhsa_user_sgpr_dispatch_id 0
		.amdhsa_user_sgpr_flat_scratch_init 0
		.amdhsa_user_sgpr_private_segment_size 0
		.amdhsa_uses_dynamic_stack 0
		.amdhsa_system_sgpr_private_segment_wavefront_offset 0
		.amdhsa_system_sgpr_workgroup_id_x 1
		.amdhsa_system_sgpr_workgroup_id_y 0
		.amdhsa_system_sgpr_workgroup_id_z 0
		.amdhsa_system_sgpr_workgroup_info 0
		.amdhsa_system_vgpr_workitem_id 0
		.amdhsa_next_free_vgpr 8
		.amdhsa_next_free_sgpr 12
		.amdhsa_reserve_vcc 1
		.amdhsa_reserve_flat_scratch 0
		.amdhsa_float_round_mode_32 0
		.amdhsa_float_round_mode_16_64 0
		.amdhsa_float_denorm_mode_32 3
		.amdhsa_float_denorm_mode_16_64 3
		.amdhsa_dx10_clamp 1
		.amdhsa_ieee_mode 1
		.amdhsa_fp16_overflow 0
		.amdhsa_exception_fp_ieee_invalid_op 0
		.amdhsa_exception_fp_denorm_src 0
		.amdhsa_exception_fp_ieee_div_zero 0
		.amdhsa_exception_fp_ieee_overflow 0
		.amdhsa_exception_fp_ieee_underflow 0
		.amdhsa_exception_fp_ieee_inexact 0
		.amdhsa_exception_int_div_zero 0
	.end_amdhsa_kernel
	.section	.text._ZN7rocprim17ROCPRIM_304000_NS6detail16transform_kernelINS1_24wrapped_transform_configINS0_14default_configE6__halfEES5_PS5_S7_NS0_8identityIS5_EEEEvT1_mT2_T3_,"axG",@progbits,_ZN7rocprim17ROCPRIM_304000_NS6detail16transform_kernelINS1_24wrapped_transform_configINS0_14default_configE6__halfEES5_PS5_S7_NS0_8identityIS5_EEEEvT1_mT2_T3_,comdat
.Lfunc_end187:
	.size	_ZN7rocprim17ROCPRIM_304000_NS6detail16transform_kernelINS1_24wrapped_transform_configINS0_14default_configE6__halfEES5_PS5_S7_NS0_8identityIS5_EEEEvT1_mT2_T3_, .Lfunc_end187-_ZN7rocprim17ROCPRIM_304000_NS6detail16transform_kernelINS1_24wrapped_transform_configINS0_14default_configE6__halfEES5_PS5_S7_NS0_8identityIS5_EEEEvT1_mT2_T3_
                                        ; -- End function
	.set _ZN7rocprim17ROCPRIM_304000_NS6detail16transform_kernelINS1_24wrapped_transform_configINS0_14default_configE6__halfEES5_PS5_S7_NS0_8identityIS5_EEEEvT1_mT2_T3_.num_vgpr, 8
	.set _ZN7rocprim17ROCPRIM_304000_NS6detail16transform_kernelINS1_24wrapped_transform_configINS0_14default_configE6__halfEES5_PS5_S7_NS0_8identityIS5_EEEEvT1_mT2_T3_.num_agpr, 0
	.set _ZN7rocprim17ROCPRIM_304000_NS6detail16transform_kernelINS1_24wrapped_transform_configINS0_14default_configE6__halfEES5_PS5_S7_NS0_8identityIS5_EEEEvT1_mT2_T3_.numbered_sgpr, 12
	.set _ZN7rocprim17ROCPRIM_304000_NS6detail16transform_kernelINS1_24wrapped_transform_configINS0_14default_configE6__halfEES5_PS5_S7_NS0_8identityIS5_EEEEvT1_mT2_T3_.num_named_barrier, 0
	.set _ZN7rocprim17ROCPRIM_304000_NS6detail16transform_kernelINS1_24wrapped_transform_configINS0_14default_configE6__halfEES5_PS5_S7_NS0_8identityIS5_EEEEvT1_mT2_T3_.private_seg_size, 0
	.set _ZN7rocprim17ROCPRIM_304000_NS6detail16transform_kernelINS1_24wrapped_transform_configINS0_14default_configE6__halfEES5_PS5_S7_NS0_8identityIS5_EEEEvT1_mT2_T3_.uses_vcc, 1
	.set _ZN7rocprim17ROCPRIM_304000_NS6detail16transform_kernelINS1_24wrapped_transform_configINS0_14default_configE6__halfEES5_PS5_S7_NS0_8identityIS5_EEEEvT1_mT2_T3_.uses_flat_scratch, 0
	.set _ZN7rocprim17ROCPRIM_304000_NS6detail16transform_kernelINS1_24wrapped_transform_configINS0_14default_configE6__halfEES5_PS5_S7_NS0_8identityIS5_EEEEvT1_mT2_T3_.has_dyn_sized_stack, 0
	.set _ZN7rocprim17ROCPRIM_304000_NS6detail16transform_kernelINS1_24wrapped_transform_configINS0_14default_configE6__halfEES5_PS5_S7_NS0_8identityIS5_EEEEvT1_mT2_T3_.has_recursion, 0
	.set _ZN7rocprim17ROCPRIM_304000_NS6detail16transform_kernelINS1_24wrapped_transform_configINS0_14default_configE6__halfEES5_PS5_S7_NS0_8identityIS5_EEEEvT1_mT2_T3_.has_indirect_call, 0
	.section	.AMDGPU.csdata,"",@progbits
; Kernel info:
; codeLenInByte = 472
; TotalNumSgprs: 16
; NumVgprs: 8
; ScratchSize: 0
; MemoryBound: 0
; FloatMode: 240
; IeeeMode: 1
; LDSByteSize: 0 bytes/workgroup (compile time only)
; SGPRBlocks: 1
; VGPRBlocks: 1
; NumSGPRsForWavesPerEU: 16
; NumVGPRsForWavesPerEU: 8
; Occupancy: 10
; WaveLimiterHint : 1
; COMPUTE_PGM_RSRC2:SCRATCH_EN: 0
; COMPUTE_PGM_RSRC2:USER_SGPR: 6
; COMPUTE_PGM_RSRC2:TRAP_HANDLER: 0
; COMPUTE_PGM_RSRC2:TGID_X_EN: 1
; COMPUTE_PGM_RSRC2:TGID_Y_EN: 0
; COMPUTE_PGM_RSRC2:TGID_Z_EN: 0
; COMPUTE_PGM_RSRC2:TIDIG_COMP_CNT: 0
	.section	.text._ZN7rocprim17ROCPRIM_304000_NS6detail26onesweep_histograms_kernelINS1_34wrapped_radix_sort_onesweep_configINS0_14default_configE6__halfN2at4cuda3cub6detail10OpaqueTypeILi8EEEEELb1EPKS5_mNS0_19identity_decomposerEEEvT1_PT2_SH_SH_T3_jj,"axG",@progbits,_ZN7rocprim17ROCPRIM_304000_NS6detail26onesweep_histograms_kernelINS1_34wrapped_radix_sort_onesweep_configINS0_14default_configE6__halfN2at4cuda3cub6detail10OpaqueTypeILi8EEEEELb1EPKS5_mNS0_19identity_decomposerEEEvT1_PT2_SH_SH_T3_jj,comdat
	.protected	_ZN7rocprim17ROCPRIM_304000_NS6detail26onesweep_histograms_kernelINS1_34wrapped_radix_sort_onesweep_configINS0_14default_configE6__halfN2at4cuda3cub6detail10OpaqueTypeILi8EEEEELb1EPKS5_mNS0_19identity_decomposerEEEvT1_PT2_SH_SH_T3_jj ; -- Begin function _ZN7rocprim17ROCPRIM_304000_NS6detail26onesweep_histograms_kernelINS1_34wrapped_radix_sort_onesweep_configINS0_14default_configE6__halfN2at4cuda3cub6detail10OpaqueTypeILi8EEEEELb1EPKS5_mNS0_19identity_decomposerEEEvT1_PT2_SH_SH_T3_jj
	.globl	_ZN7rocprim17ROCPRIM_304000_NS6detail26onesweep_histograms_kernelINS1_34wrapped_radix_sort_onesweep_configINS0_14default_configE6__halfN2at4cuda3cub6detail10OpaqueTypeILi8EEEEELb1EPKS5_mNS0_19identity_decomposerEEEvT1_PT2_SH_SH_T3_jj
	.p2align	8
	.type	_ZN7rocprim17ROCPRIM_304000_NS6detail26onesweep_histograms_kernelINS1_34wrapped_radix_sort_onesweep_configINS0_14default_configE6__halfN2at4cuda3cub6detail10OpaqueTypeILi8EEEEELb1EPKS5_mNS0_19identity_decomposerEEEvT1_PT2_SH_SH_T3_jj,@function
_ZN7rocprim17ROCPRIM_304000_NS6detail26onesweep_histograms_kernelINS1_34wrapped_radix_sort_onesweep_configINS0_14default_configE6__halfN2at4cuda3cub6detail10OpaqueTypeILi8EEEEELb1EPKS5_mNS0_19identity_decomposerEEEvT1_PT2_SH_SH_T3_jj: ; @_ZN7rocprim17ROCPRIM_304000_NS6detail26onesweep_histograms_kernelINS1_34wrapped_radix_sort_onesweep_configINS0_14default_configE6__halfN2at4cuda3cub6detail10OpaqueTypeILi8EEEEELb1EPKS5_mNS0_19identity_decomposerEEEvT1_PT2_SH_SH_T3_jj
; %bb.0:
	s_load_dwordx8 s[24:31], s[4:5], 0x0
	s_load_dwordx2 s[34:35], s[4:5], 0x24
	v_mov_b32_e32 v1, s6
	v_mov_b32_e32 v2, 0
	s_mul_hi_u32 s0, s6, 0x1800
	s_waitcnt lgkmcnt(0)
	v_cmp_le_u64_e32 vcc, s[30:31], v[1:2]
	s_mulk_i32 s6, 0x1800
	s_add_u32 s24, s24, s6
	s_addc_u32 s25, s25, s0
	s_mov_b64 s[0:1], -1
	v_lshlrev_b32_e32 v3, 1, v0
	s_cbranch_vccz .LBB188_84
; %bb.1:
	s_mul_i32 s0, s30, 0xfffff400
	s_add_i32 s28, s0, s28
	v_mov_b32_e32 v2, s25
	v_add_co_u32_e32 v1, vcc, s24, v3
	v_addc_co_u32_e32 v2, vcc, 0, v2, vcc
	v_cmp_gt_u32_e64 s[22:23], s28, v0
                                        ; implicit-def: $vgpr15
	s_and_saveexec_b64 s[0:1], s[22:23]
	s_cbranch_execz .LBB188_3
; %bb.2:
	global_load_ushort v15, v[1:2], off
.LBB188_3:
	s_or_b64 exec, exec, s[0:1]
	v_or_b32_e32 v4, 0x100, v0
	v_cmp_gt_u32_e64 s[20:21], s28, v4
                                        ; implicit-def: $vgpr14
	s_and_saveexec_b64 s[0:1], s[20:21]
	s_cbranch_execz .LBB188_5
; %bb.4:
	global_load_ushort v14, v[1:2], off offset:512
.LBB188_5:
	s_or_b64 exec, exec, s[0:1]
	v_or_b32_e32 v4, 0x200, v0
	v_cmp_gt_u32_e64 s[18:19], s28, v4
                                        ; implicit-def: $vgpr13
	s_and_saveexec_b64 s[0:1], s[18:19]
	s_cbranch_execz .LBB188_7
; %bb.6:
	global_load_ushort v13, v[1:2], off offset:1024
.LBB188_7:
	s_or_b64 exec, exec, s[0:1]
	v_or_b32_e32 v4, 0x300, v0
	v_cmp_gt_u32_e64 s[16:17], s28, v4
                                        ; implicit-def: $vgpr12
	s_and_saveexec_b64 s[0:1], s[16:17]
	s_cbranch_execz .LBB188_9
; %bb.8:
	global_load_ushort v12, v[1:2], off offset:1536
.LBB188_9:
	s_or_b64 exec, exec, s[0:1]
	v_or_b32_e32 v16, 0x400, v0
	v_cmp_gt_u32_e64 s[14:15], s28, v16
                                        ; implicit-def: $vgpr11
	s_and_saveexec_b64 s[0:1], s[14:15]
	s_cbranch_execz .LBB188_11
; %bb.10:
	global_load_ushort v11, v[1:2], off offset:2048
.LBB188_11:
	s_or_b64 exec, exec, s[0:1]
	v_or_b32_e32 v4, 0x500, v0
	v_cmp_gt_u32_e64 s[12:13], s28, v4
                                        ; implicit-def: $vgpr10
	s_and_saveexec_b64 s[0:1], s[12:13]
	s_cbranch_execz .LBB188_13
; %bb.12:
	global_load_ushort v10, v[1:2], off offset:2560
.LBB188_13:
	s_or_b64 exec, exec, s[0:1]
	v_or_b32_e32 v4, 0x600, v0
	v_cmp_gt_u32_e64 s[10:11], s28, v4
                                        ; implicit-def: $vgpr9
	s_and_saveexec_b64 s[0:1], s[10:11]
	s_cbranch_execz .LBB188_15
; %bb.14:
	global_load_ushort v9, v[1:2], off offset:3072
.LBB188_15:
	s_or_b64 exec, exec, s[0:1]
	v_or_b32_e32 v4, 0x700, v0
	v_cmp_gt_u32_e64 s[8:9], s28, v4
                                        ; implicit-def: $vgpr8
	s_and_saveexec_b64 s[0:1], s[8:9]
	s_cbranch_execz .LBB188_17
; %bb.16:
	global_load_ushort v8, v[1:2], off offset:3584
.LBB188_17:
	s_or_b64 exec, exec, s[0:1]
	v_or_b32_e32 v4, 0x800, v0
	v_cmp_gt_u32_e64 s[6:7], s28, v4
                                        ; implicit-def: $vgpr7
	s_and_saveexec_b64 s[0:1], s[6:7]
	s_cbranch_execz .LBB188_19
; %bb.18:
	v_add_co_u32_e32 v4, vcc, 0x1000, v1
	v_addc_co_u32_e32 v5, vcc, 0, v2, vcc
	global_load_ushort v7, v[4:5], off
.LBB188_19:
	s_or_b64 exec, exec, s[0:1]
	v_or_b32_e32 v4, 0x900, v0
	v_cmp_gt_u32_e64 s[4:5], s28, v4
                                        ; implicit-def: $vgpr6
	s_and_saveexec_b64 s[0:1], s[4:5]
	s_cbranch_execz .LBB188_21
; %bb.20:
	v_add_co_u32_e32 v4, vcc, 0x1000, v1
	v_addc_co_u32_e32 v5, vcc, 0, v2, vcc
	global_load_ushort v6, v[4:5], off offset:512
.LBB188_21:
	s_or_b64 exec, exec, s[0:1]
	v_or_b32_e32 v4, 0xa00, v0
	v_cmp_gt_u32_e64 s[2:3], s28, v4
                                        ; implicit-def: $vgpr5
	s_and_saveexec_b64 s[0:1], s[2:3]
	s_cbranch_execz .LBB188_23
; %bb.22:
	v_add_co_u32_e32 v4, vcc, 0x1000, v1
	v_addc_co_u32_e32 v5, vcc, 0, v2, vcc
	global_load_ushort v5, v[4:5], off offset:1024
.LBB188_23:
	s_or_b64 exec, exec, s[0:1]
	v_or_b32_e32 v4, 0xb00, v0
	v_cmp_gt_u32_e64 s[0:1], s28, v4
                                        ; implicit-def: $vgpr4
	s_and_saveexec_b64 s[28:29], s[0:1]
	s_cbranch_execz .LBB188_25
; %bb.24:
	v_add_co_u32_e32 v1, vcc, 0x1000, v1
	v_addc_co_u32_e32 v2, vcc, 0, v2, vcc
	global_load_ushort v4, v[1:2], off offset:1536
.LBB188_25:
	s_or_b64 exec, exec, s[28:29]
	s_movk_i32 s28, 0x700
	v_lshlrev_b32_e32 v1, 2, v0
	v_mov_b32_e32 v2, 0
	v_cmp_gt_u32_e32 vcc, s28, v16
	ds_write2st64_b32 v1, v2, v2 offset1:4
	ds_write2st64_b32 v1, v2, v2 offset0:8 offset1:12
	ds_write_b32 v1, v2 offset:4096
	s_and_saveexec_b64 s[28:29], vcc
	s_cbranch_execz .LBB188_29
; %bb.26:
	s_movk_i32 s30, 0x200
	v_cmp_gt_u32_e32 vcc, s30, v0
	ds_write_b32 v1, v2 offset:5120
	s_and_b64 exec, exec, vcc
	s_cbranch_execz .LBB188_29
; %bb.27:
	s_movk_i32 s30, 0x100
	v_mov_b32_e32 v2, 0
	v_cmp_gt_u32_e32 vcc, s30, v0
	ds_write_b32 v1, v2 offset:6144
	s_and_b64 exec, exec, vcc
; %bb.28:
	ds_write_b32 v1, v2 offset:7168
.LBB188_29:
	s_or_b64 exec, exec, s[28:29]
	s_cmp_gt_u32 s35, s34
	s_cselect_b64 s[28:29], -1, 0
	s_cmp_le_u32 s35, s34
	s_waitcnt vmcnt(0) lgkmcnt(0)
	s_barrier
	s_cbranch_scc1 .LBB188_78
; %bb.30:
	v_mov_b32_e32 v2, 0x7fff
	v_cmp_gt_i16_e32 vcc, 0, v15
	v_cndmask_b32_e64 v16, v2, 0, vcc
	v_and_b32_e32 v1, 3, v0
	v_xor_b32_e32 v15, v16, v15
	s_movk_i32 s30, 0x8000
	v_cmp_ne_u16_e32 vcc, s30, v15
	v_lshlrev_b32_e32 v1, 2, v1
	s_sub_i32 s33, s35, s34
	v_cndmask_b32_e32 v2, v2, v15, vcc
	v_mov_b32_e32 v15, 1
	s_mov_b32 s36, s33
	v_mov_b32_e32 v16, v1
	s_mov_b32 s37, s34
	s_branch .LBB188_32
.LBB188_31:                             ;   in Loop: Header=BB188_32 Depth=1
	s_or_b64 exec, exec, s[30:31]
	s_add_i32 s37, s37, 8
	s_add_i32 s36, s36, -8
	s_cmp_ge_u32 s37, s35
	v_add_u32_e32 v16, 0x1000, v16
	s_cbranch_scc1 .LBB188_34
.LBB188_32:                             ; =>This Inner Loop Header: Depth=1
	s_and_saveexec_b64 s[30:31], s[22:23]
	s_cbranch_execz .LBB188_31
; %bb.33:                               ;   in Loop: Header=BB188_32 Depth=1
	s_min_u32 s38, s36, 8
	v_lshrrev_b32_sdwa v17, s37, v2 dst_sel:DWORD dst_unused:UNUSED_PAD src0_sel:DWORD src1_sel:WORD_0
	v_bfe_u32 v17, v17, 0, s38
	v_lshl_add_u32 v17, v17, 4, v16
	ds_add_u32 v17, v15
	s_branch .LBB188_31
.LBB188_34:
	v_mov_b32_e32 v2, 0x7fff
	v_cmp_gt_i16_e32 vcc, 0, v14
	v_cndmask_b32_e64 v15, v2, 0, vcc
	v_xor_b32_e32 v14, v15, v14
	s_movk_i32 s22, 0x8000
	v_cmp_ne_u16_e32 vcc, s22, v14
	v_cndmask_b32_e32 v2, v2, v14, vcc
	v_mov_b32_e32 v14, 1
	s_mov_b32 s30, s33
	v_mov_b32_e32 v15, v1
	s_mov_b32 s31, s34
	s_branch .LBB188_36
.LBB188_35:                             ;   in Loop: Header=BB188_36 Depth=1
	s_or_b64 exec, exec, s[22:23]
	s_add_i32 s31, s31, 8
	s_add_i32 s30, s30, -8
	s_cmp_lt_u32 s31, s35
	v_add_u32_e32 v15, 0x1000, v15
	s_cbranch_scc0 .LBB188_38
.LBB188_36:                             ; =>This Inner Loop Header: Depth=1
	s_and_saveexec_b64 s[22:23], s[20:21]
	s_cbranch_execz .LBB188_35
; %bb.37:                               ;   in Loop: Header=BB188_36 Depth=1
	s_min_u32 s36, s30, 8
	v_lshrrev_b32_sdwa v16, s31, v2 dst_sel:DWORD dst_unused:UNUSED_PAD src0_sel:DWORD src1_sel:WORD_0
	v_bfe_u32 v16, v16, 0, s36
	v_lshl_add_u32 v16, v16, 4, v15
	ds_add_u32 v16, v14
	s_branch .LBB188_35
.LBB188_38:
	v_mov_b32_e32 v2, 0x7fff
	v_cmp_gt_i16_e32 vcc, 0, v13
	v_cndmask_b32_e64 v14, v2, 0, vcc
	v_xor_b32_e32 v13, v14, v13
	s_movk_i32 s20, 0x8000
	v_cmp_ne_u16_e32 vcc, s20, v13
	v_cndmask_b32_e32 v2, v2, v13, vcc
	v_mov_b32_e32 v13, 1
	s_mov_b32 s22, s33
	v_mov_b32_e32 v14, v1
	s_mov_b32 s23, s34
	s_branch .LBB188_40
.LBB188_39:                             ;   in Loop: Header=BB188_40 Depth=1
	s_or_b64 exec, exec, s[20:21]
	s_add_i32 s23, s23, 8
	s_add_i32 s22, s22, -8
	s_cmp_lt_u32 s23, s35
	v_add_u32_e32 v14, 0x1000, v14
	s_cbranch_scc0 .LBB188_42
.LBB188_40:                             ; =>This Inner Loop Header: Depth=1
	s_and_saveexec_b64 s[20:21], s[18:19]
	s_cbranch_execz .LBB188_39
; %bb.41:                               ;   in Loop: Header=BB188_40 Depth=1
	s_min_u32 s30, s22, 8
	v_lshrrev_b32_sdwa v15, s23, v2 dst_sel:DWORD dst_unused:UNUSED_PAD src0_sel:DWORD src1_sel:WORD_0
	v_bfe_u32 v15, v15, 0, s30
	v_lshl_add_u32 v15, v15, 4, v14
	ds_add_u32 v15, v13
	s_branch .LBB188_39
.LBB188_42:
	;; [unrolled: 30-line block ×10, first 2 shown]
	v_mov_b32_e32 v2, 0x7fff
	v_cmp_gt_i16_e32 vcc, 0, v4
	v_cndmask_b32_e64 v5, v2, 0, vcc
	v_xor_b32_e32 v4, v5, v4
	s_movk_i32 s2, 0x8000
	v_cmp_ne_u16_e32 vcc, s2, v4
	v_cndmask_b32_e32 v2, v2, v4, vcc
	v_mov_b32_e32 v4, 1
	s_mov_b32 s4, s34
	s_branch .LBB188_76
.LBB188_75:                             ;   in Loop: Header=BB188_76 Depth=1
	s_or_b64 exec, exec, s[2:3]
	s_add_i32 s4, s4, 8
	s_add_i32 s33, s33, -8
	s_cmp_lt_u32 s4, s35
	v_add_u32_e32 v1, 0x1000, v1
	s_cbranch_scc0 .LBB188_78
.LBB188_76:                             ; =>This Inner Loop Header: Depth=1
	s_and_saveexec_b64 s[2:3], s[0:1]
	s_cbranch_execz .LBB188_75
; %bb.77:                               ;   in Loop: Header=BB188_76 Depth=1
	s_min_u32 s5, s33, 8
	v_lshrrev_b32_sdwa v5, s4, v2 dst_sel:DWORD dst_unused:UNUSED_PAD src0_sel:DWORD src1_sel:WORD_0
	v_bfe_u32 v5, v5, 0, s5
	v_lshl_add_u32 v5, v5, 4, v1
	ds_add_u32 v5, v4
	s_branch .LBB188_75
.LBB188_78:
	s_and_b64 vcc, exec, s[28:29]
	s_waitcnt lgkmcnt(0)
	s_barrier
	s_cbranch_vccz .LBB188_83
; %bb.79:
	s_movk_i32 s0, 0x100
	v_cmp_gt_u32_e32 vcc, s0, v0
	v_lshlrev_b32_e32 v4, 4, v0
	v_mov_b32_e32 v2, 0
	v_mov_b32_e32 v1, v0
	s_mov_b32 s4, s34
	s_branch .LBB188_81
.LBB188_80:                             ;   in Loop: Header=BB188_81 Depth=1
	s_or_b64 exec, exec, s[2:3]
	s_add_i32 s4, s4, 8
	v_add_u32_e32 v1, 0x100, v1
	s_cmp_lt_u32 s4, s35
	v_add_u32_e32 v4, 0x1000, v4
	s_cbranch_scc0 .LBB188_83
.LBB188_81:                             ; =>This Inner Loop Header: Depth=1
	s_and_saveexec_b64 s[2:3], vcc
	s_cbranch_execz .LBB188_80
; %bb.82:                               ;   in Loop: Header=BB188_81 Depth=1
	ds_read2_b32 v[5:6], v4 offset1:1
	ds_read2_b32 v[7:8], v4 offset0:2 offset1:3
	v_lshlrev_b64 v[9:10], 3, v[1:2]
	v_mov_b32_e32 v11, s27
	s_waitcnt lgkmcnt(1)
	v_add_u32_e32 v5, v6, v5
	s_waitcnt lgkmcnt(0)
	v_add3_u32 v5, v5, v7, v8
	v_add_co_u32_e64 v7, s[0:1], s26, v9
	v_addc_co_u32_e64 v8, s[0:1], v11, v10, s[0:1]
	v_mov_b32_e32 v6, v2
	global_atomic_add_x2 v[7:8], v[5:6], off
	s_branch .LBB188_80
.LBB188_83:
	s_mov_b64 s[0:1], 0
.LBB188_84:
	s_and_b64 vcc, exec, s[0:1]
	s_cbranch_vccz .LBB188_128
; %bb.85:
	v_mov_b32_e32 v1, s25
	v_add_co_u32_e32 v2, vcc, s24, v3
	v_addc_co_u32_e32 v5, vcc, 0, v1, vcc
	v_add_co_u32_e32 v1, vcc, 0x1000, v2
	global_load_ushort v10, v3, s[24:25] offset:2048
	global_load_ushort v8, v3, s[24:25] offset:2560
	;; [unrolled: 1-line block ×4, first 2 shown]
	v_addc_co_u32_e32 v2, vcc, 0, v5, vcc
	global_load_ushort v15, v3, s[24:25]
	global_load_ushort v14, v3, s[24:25] offset:512
	global_load_ushort v13, v3, s[24:25] offset:1024
	;; [unrolled: 1-line block ×3, first 2 shown]
	global_load_ushort v11, v[1:2], off
	global_load_ushort v9, v[1:2], off offset:512
	global_load_ushort v7, v[1:2], off offset:1024
	;; [unrolled: 1-line block ×3, first 2 shown]
	s_cmp_lg_u32 s34, 0
	s_cselect_b64 s[0:1], -1, 0
	s_cmp_lg_u32 s35, 16
	s_cselect_b64 s[2:3], -1, 0
	s_or_b64 s[2:3], s[0:1], s[2:3]
	v_mov_b32_e32 v1, 0
	s_mov_b64 s[0:1], -1
	s_and_b64 vcc, exec, s[2:3]
	v_lshlrev_b32_e32 v3, 2, v0
	s_cbranch_vccz .LBB188_121
; %bb.86:
	v_or_b32_e32 v2, 0x400, v0
	s_movk_i32 s0, 0x700
	v_cmp_gt_u32_e32 vcc, s0, v2
	ds_write2st64_b32 v3, v1, v1 offset1:4
	ds_write2st64_b32 v3, v1, v1 offset0:8 offset1:12
	ds_write_b32 v3, v1 offset:4096
	s_and_saveexec_b64 s[0:1], vcc
	s_cbranch_execz .LBB188_90
; %bb.87:
	s_movk_i32 s2, 0x200
	v_mov_b32_e32 v1, 0
	v_cmp_gt_u32_e32 vcc, s2, v0
	ds_write_b32 v3, v1 offset:5120
	s_and_b64 exec, exec, vcc
	s_cbranch_execz .LBB188_90
; %bb.88:
	s_movk_i32 s2, 0x100
	v_cmp_gt_u32_e32 vcc, s2, v0
	ds_write_b32 v3, v1 offset:6144
	s_and_b64 exec, exec, vcc
; %bb.89:
	v_mov_b32_e32 v1, 0
	ds_write_b32 v3, v1 offset:7168
.LBB188_90:
	s_or_b64 exec, exec, s[0:1]
	s_cmp_gt_u32 s35, s34
	s_cselect_b64 s[0:1], -1, 0
	s_cmp_le_u32 s35, s34
	s_waitcnt vmcnt(0) lgkmcnt(0)
	s_barrier
	s_cbranch_scc1 .LBB188_115
; %bb.91:
	v_mov_b32_e32 v2, 0x7fff
	v_cmp_gt_i16_e32 vcc, 0, v15
	v_cndmask_b32_e64 v16, v2, 0, vcc
	v_and_b32_e32 v1, 3, v0
	v_xor_b32_e32 v16, v16, v15
	s_movk_i32 s2, 0x8000
	v_cmp_ne_u16_e32 vcc, s2, v16
	v_lshlrev_b32_e32 v1, 2, v1
	s_sub_i32 s2, s35, s34
	v_cndmask_b32_e32 v2, v2, v16, vcc
	v_mov_b32_e32 v16, 1
	s_mov_b32 s3, s2
	v_mov_b32_e32 v17, v1
	s_mov_b32 s4, s34
.LBB188_92:                             ; =>This Inner Loop Header: Depth=1
	s_min_u32 s5, s3, 8
	v_lshrrev_b32_sdwa v18, s4, v2 dst_sel:DWORD dst_unused:UNUSED_PAD src0_sel:DWORD src1_sel:WORD_0
	v_bfe_u32 v18, v18, 0, s5
	v_lshl_add_u32 v18, v18, 4, v17
	ds_add_u32 v18, v16
	s_add_i32 s4, s4, 8
	s_add_i32 s3, s3, -8
	s_cmp_ge_u32 s4, s35
	v_add_u32_e32 v17, 0x1000, v17
	s_cbranch_scc0 .LBB188_92
; %bb.93:
	v_mov_b32_e32 v2, 0x7fff
	v_cmp_gt_i16_e32 vcc, 0, v14
	v_cndmask_b32_e64 v16, v2, 0, vcc
	v_xor_b32_e32 v16, v16, v14
	s_movk_i32 s3, 0x8000
	v_cmp_ne_u16_e32 vcc, s3, v16
	v_cndmask_b32_e32 v2, v2, v16, vcc
	v_mov_b32_e32 v16, 1
	s_mov_b32 s3, s2
	v_mov_b32_e32 v17, v1
	s_mov_b32 s4, s34
.LBB188_94:                             ; =>This Inner Loop Header: Depth=1
	s_min_u32 s5, s3, 8
	v_lshrrev_b32_sdwa v18, s4, v2 dst_sel:DWORD dst_unused:UNUSED_PAD src0_sel:DWORD src1_sel:WORD_0
	v_bfe_u32 v18, v18, 0, s5
	v_lshl_add_u32 v18, v18, 4, v17
	ds_add_u32 v18, v16
	s_add_i32 s4, s4, 8
	s_add_i32 s3, s3, -8
	s_cmp_lt_u32 s4, s35
	v_add_u32_e32 v17, 0x1000, v17
	s_cbranch_scc1 .LBB188_94
; %bb.95:
	v_mov_b32_e32 v2, 0x7fff
	v_cmp_gt_i16_e32 vcc, 0, v13
	v_cndmask_b32_e64 v16, v2, 0, vcc
	v_xor_b32_e32 v16, v16, v13
	s_movk_i32 s3, 0x8000
	v_cmp_ne_u16_e32 vcc, s3, v16
	v_cndmask_b32_e32 v2, v2, v16, vcc
	v_mov_b32_e32 v16, 1
	s_mov_b32 s3, s2
	v_mov_b32_e32 v17, v1
	s_mov_b32 s4, s34
.LBB188_96:                             ; =>This Inner Loop Header: Depth=1
	s_min_u32 s5, s3, 8
	v_lshrrev_b32_sdwa v18, s4, v2 dst_sel:DWORD dst_unused:UNUSED_PAD src0_sel:DWORD src1_sel:WORD_0
	v_bfe_u32 v18, v18, 0, s5
	v_lshl_add_u32 v18, v18, 4, v17
	ds_add_u32 v18, v16
	s_add_i32 s4, s4, 8
	s_add_i32 s3, s3, -8
	s_cmp_lt_u32 s4, s35
	v_add_u32_e32 v17, 0x1000, v17
	s_cbranch_scc1 .LBB188_96
	;; [unrolled: 23-line block ×3, first 2 shown]
; %bb.99:
	v_mov_b32_e32 v2, 0x7fff
	v_cmp_gt_i16_e32 vcc, 0, v10
	v_cndmask_b32_e64 v16, v2, 0, vcc
	v_xor_b32_e32 v16, v16, v10
	s_movk_i32 s3, 0x8000
	v_cmp_ne_u16_e32 vcc, s3, v16
	v_cndmask_b32_e32 v2, v2, v16, vcc
	v_mov_b32_e32 v16, 1
	s_mov_b32 s3, s2
	v_mov_b32_e32 v17, v1
	s_mov_b32 s4, s34
.LBB188_100:                            ; =>This Inner Loop Header: Depth=1
	s_min_u32 s5, s3, 8
	v_lshrrev_b32_sdwa v18, s4, v2 dst_sel:DWORD dst_unused:UNUSED_PAD src0_sel:DWORD src1_sel:WORD_0
	v_bfe_u32 v18, v18, 0, s5
	v_lshl_add_u32 v18, v18, 4, v17
	ds_add_u32 v18, v16
	s_add_i32 s4, s4, 8
	s_add_i32 s3, s3, -8
	s_cmp_lt_u32 s4, s35
	v_add_u32_e32 v17, 0x1000, v17
	s_cbranch_scc1 .LBB188_100
; %bb.101:
	v_mov_b32_e32 v2, 0x7fff
	v_cmp_gt_i16_e32 vcc, 0, v8
	v_cndmask_b32_e64 v16, v2, 0, vcc
	v_xor_b32_e32 v16, v16, v8
	s_movk_i32 s3, 0x8000
	v_cmp_ne_u16_e32 vcc, s3, v16
	v_cndmask_b32_e32 v2, v2, v16, vcc
	v_mov_b32_e32 v16, 1
	s_mov_b32 s3, s2
	v_mov_b32_e32 v17, v1
	s_mov_b32 s4, s34
.LBB188_102:                            ; =>This Inner Loop Header: Depth=1
	s_min_u32 s5, s3, 8
	v_lshrrev_b32_sdwa v18, s4, v2 dst_sel:DWORD dst_unused:UNUSED_PAD src0_sel:DWORD src1_sel:WORD_0
	v_bfe_u32 v18, v18, 0, s5
	v_lshl_add_u32 v18, v18, 4, v17
	ds_add_u32 v18, v16
	s_add_i32 s4, s4, 8
	s_add_i32 s3, s3, -8
	s_cmp_lt_u32 s4, s35
	v_add_u32_e32 v17, 0x1000, v17
	s_cbranch_scc1 .LBB188_102
	;; [unrolled: 23-line block ×7, first 2 shown]
; %bb.113:
	v_mov_b32_e32 v2, 0x7fff
	v_cmp_gt_i16_e32 vcc, 0, v5
	v_cndmask_b32_e64 v16, v2, 0, vcc
	v_xor_b32_e32 v16, v16, v5
	s_movk_i32 s3, 0x8000
	v_cmp_ne_u16_e32 vcc, s3, v16
	v_cndmask_b32_e32 v2, v2, v16, vcc
	v_mov_b32_e32 v16, 1
	s_mov_b32 s3, s34
.LBB188_114:                            ; =>This Inner Loop Header: Depth=1
	s_min_u32 s4, s2, 8
	v_lshrrev_b32_sdwa v17, s3, v2 dst_sel:DWORD dst_unused:UNUSED_PAD src0_sel:DWORD src1_sel:WORD_0
	v_bfe_u32 v17, v17, 0, s4
	v_lshl_add_u32 v17, v17, 4, v1
	ds_add_u32 v17, v16
	s_add_i32 s3, s3, 8
	s_add_i32 s2, s2, -8
	s_cmp_lt_u32 s3, s35
	v_add_u32_e32 v1, 0x1000, v1
	s_cbranch_scc1 .LBB188_114
.LBB188_115:
	s_and_b64 vcc, exec, s[0:1]
	s_waitcnt lgkmcnt(0)
	s_barrier
	s_cbranch_vccz .LBB188_120
; %bb.116:
	s_movk_i32 s0, 0x100
	v_cmp_gt_u32_e32 vcc, s0, v0
	v_lshlrev_b32_e32 v16, 4, v0
	v_mov_b32_e32 v2, 0
	v_mov_b32_e32 v1, v0
	s_branch .LBB188_118
.LBB188_117:                            ;   in Loop: Header=BB188_118 Depth=1
	s_or_b64 exec, exec, s[2:3]
	s_add_i32 s34, s34, 8
	v_add_u32_e32 v1, 0x100, v1
	s_cmp_ge_u32 s34, s35
	v_add_u32_e32 v16, 0x1000, v16
	s_cbranch_scc1 .LBB188_120
.LBB188_118:                            ; =>This Inner Loop Header: Depth=1
	s_and_saveexec_b64 s[2:3], vcc
	s_cbranch_execz .LBB188_117
; %bb.119:                              ;   in Loop: Header=BB188_118 Depth=1
	ds_read2_b32 v[17:18], v16 offset1:1
	ds_read2_b32 v[19:20], v16 offset0:2 offset1:3
	v_lshlrev_b64 v[21:22], 3, v[1:2]
	v_mov_b32_e32 v23, s27
	s_waitcnt lgkmcnt(1)
	v_add_u32_e32 v17, v18, v17
	s_waitcnt lgkmcnt(0)
	v_add3_u32 v17, v17, v19, v20
	v_add_co_u32_e64 v19, s[0:1], s26, v21
	v_addc_co_u32_e64 v20, s[0:1], v23, v22, s[0:1]
	v_mov_b32_e32 v18, v2
	global_atomic_add_x2 v[19:20], v[17:18], off
	s_branch .LBB188_117
.LBB188_120:
	s_mov_b64 s[0:1], 0
.LBB188_121:
	s_and_b64 vcc, exec, s[0:1]
	s_cbranch_vccz .LBB188_128
; %bb.122:
	v_or_b32_e32 v2, 0x400, v0
	s_movk_i32 s0, 0x700
	v_mov_b32_e32 v1, 0
	v_cmp_gt_u32_e32 vcc, s0, v2
	ds_write2st64_b32 v3, v1, v1 offset1:4
	ds_write2st64_b32 v3, v1, v1 offset0:8 offset1:12
	ds_write_b32 v3, v1 offset:4096
	s_and_saveexec_b64 s[0:1], vcc
	s_cbranch_execz .LBB188_126
; %bb.123:
	s_movk_i32 s2, 0x200
	v_cmp_gt_u32_e32 vcc, s2, v0
	ds_write_b32 v3, v1 offset:5120
	s_and_b64 exec, exec, vcc
	s_cbranch_execz .LBB188_126
; %bb.124:
	s_movk_i32 s2, 0x100
	v_mov_b32_e32 v1, 0
	v_cmp_gt_u32_e32 vcc, s2, v0
	ds_write_b32 v3, v1 offset:6144
	s_and_b64 exec, exec, vcc
; %bb.125:
	ds_write_b32 v3, v1 offset:7168
.LBB188_126:
	s_or_b64 exec, exec, s[0:1]
	v_mov_b32_e32 v1, 0x7fff
	s_waitcnt vmcnt(7)
	v_cmp_gt_i16_e32 vcc, 0, v15
	v_cndmask_b32_e64 v2, v1, 0, vcc
	s_waitcnt vmcnt(6)
	v_cmp_gt_i16_e32 vcc, 0, v14
	v_cndmask_b32_e64 v3, v1, 0, vcc
	s_waitcnt vmcnt(5)
	v_cmp_gt_i16_e32 vcc, 0, v13
	v_xor_b32_e32 v3, v3, v14
	v_cndmask_b32_e64 v14, v1, 0, vcc
	s_waitcnt vmcnt(4)
	v_cmp_gt_i16_e32 vcc, 0, v12
	v_xor_b32_e32 v13, v14, v13
	v_cndmask_b32_e64 v14, v1, 0, vcc
	v_cmp_gt_i16_e32 vcc, 0, v10
	v_xor_b32_e32 v12, v14, v12
	v_cndmask_b32_e64 v14, v1, 0, vcc
	;; [unrolled: 3-line block ×5, first 2 shown]
	s_waitcnt vmcnt(3)
	v_cmp_gt_i16_e32 vcc, 0, v11
	v_xor_b32_e32 v4, v14, v4
	v_cndmask_b32_e64 v14, v1, 0, vcc
	s_waitcnt vmcnt(2)
	v_cmp_gt_i16_e32 vcc, 0, v9
	v_xor_b32_e32 v11, v14, v11
	v_cndmask_b32_e64 v14, v1, 0, vcc
	s_waitcnt vmcnt(1)
	v_cmp_gt_i16_e32 vcc, 0, v7
	v_xor_b32_e32 v2, v2, v15
	v_xor_b32_e32 v9, v14, v9
	v_cndmask_b32_e64 v14, v1, 0, vcc
	s_waitcnt vmcnt(0)
	v_cmp_gt_i16_e32 vcc, 0, v5
	s_movk_i32 s0, 0x8000
	v_xor_b32_e32 v7, v14, v7
	v_cndmask_b32_e64 v14, v1, 0, vcc
	v_cmp_ne_u16_e32 vcc, s0, v2
	v_cndmask_b32_e32 v2, v1, v2, vcc
	v_xor_b32_e32 v5, v14, v5
	v_and_b32_e32 v14, 3, v0
	v_and_b32_e32 v2, 0xffff, v2
	v_lshlrev_b32_e32 v15, 4, v2
	v_lshlrev_b32_e32 v14, 2, v14
	s_movk_i32 s1, 0xff0
	v_and_or_b32 v15, v15, s1, v14
	v_mov_b32_e32 v16, 1
	v_bfe_u32 v2, v2, 8, 8
	s_waitcnt lgkmcnt(0)
	s_barrier
	ds_add_u32 v15, v16
	v_lshl_or_b32 v2, v2, 4, v14
	v_cmp_ne_u16_e32 vcc, s0, v3
	ds_add_u32 v2, v16 offset:4096
	v_cndmask_b32_e32 v2, v1, v3, vcc
	v_and_b32_e32 v2, 0xffff, v2
	v_lshlrev_b32_e32 v3, 4, v2
	v_and_or_b32 v3, v3, s1, v14
	v_bfe_u32 v2, v2, 8, 8
	ds_add_u32 v3, v16
	v_lshl_or_b32 v2, v2, 4, v14
	v_cmp_ne_u16_e32 vcc, s0, v13
	ds_add_u32 v2, v16 offset:4096
	v_cndmask_b32_e32 v2, v1, v13, vcc
	v_and_b32_e32 v2, 0xffff, v2
	v_lshlrev_b32_e32 v3, 4, v2
	v_and_or_b32 v3, v3, s1, v14
	v_bfe_u32 v2, v2, 8, 8
	;; [unrolled: 9-line block ×9, first 2 shown]
	ds_add_u32 v3, v16
	v_lshl_or_b32 v2, v2, 4, v14
	v_cmp_ne_u16_e32 vcc, s0, v7
	ds_add_u32 v2, v16 offset:4096
	v_cndmask_b32_e32 v2, v1, v7, vcc
	v_and_b32_e32 v2, 0xffff, v2
	v_lshlrev_b32_e32 v3, 4, v2
	v_cmp_ne_u16_e32 vcc, s0, v5
	v_and_or_b32 v3, v3, s1, v14
	v_bfe_u32 v2, v2, 8, 8
	v_cndmask_b32_e32 v1, v1, v5, vcc
	ds_add_u32 v3, v16
	v_lshl_or_b32 v2, v2, 4, v14
	v_and_b32_e32 v1, 0xffff, v1
	ds_add_u32 v2, v16 offset:4096
	v_lshlrev_b32_e32 v2, 4, v1
	v_and_or_b32 v2, v2, s1, v14
	v_bfe_u32 v1, v1, 8, 8
	ds_add_u32 v2, v16
	v_lshl_or_b32 v1, v1, 4, v14
	ds_add_u32 v1, v16 offset:4096
	s_movk_i32 s0, 0x100
	v_cmp_gt_u32_e32 vcc, s0, v0
	s_waitcnt lgkmcnt(0)
	s_barrier
	s_and_saveexec_b64 s[0:1], vcc
	s_cbranch_execz .LBB188_128
; %bb.127:
	v_lshlrev_b32_e32 v6, 4, v0
	ds_read2_b32 v[1:2], v6 offset1:1
	ds_read2_b32 v[3:4], v6 offset0:2 offset1:3
	v_lshlrev_b32_e32 v7, 3, v0
	v_mov_b32_e32 v5, 0
	v_or_b32_e32 v0, 0x1000, v6
	s_waitcnt lgkmcnt(1)
	v_add_u32_e32 v1, v2, v1
	s_waitcnt lgkmcnt(0)
	v_add3_u32 v4, v1, v3, v4
	global_atomic_add_x2 v7, v[4:5], s[26:27]
	v_or_b32_e32 v2, 0x1008, v6
	ds_read2_b32 v[0:1], v0 offset1:1
	ds_read2_b32 v[2:3], v2 offset1:1
	s_waitcnt lgkmcnt(1)
	v_add_u32_e32 v0, v1, v0
	s_waitcnt lgkmcnt(0)
	v_add3_u32 v4, v0, v2, v3
	global_atomic_add_x2 v7, v[4:5], s[26:27] offset:2048
.LBB188_128:
	s_endpgm
	.section	.rodata,"a",@progbits
	.p2align	6, 0x0
	.amdhsa_kernel _ZN7rocprim17ROCPRIM_304000_NS6detail26onesweep_histograms_kernelINS1_34wrapped_radix_sort_onesweep_configINS0_14default_configE6__halfN2at4cuda3cub6detail10OpaqueTypeILi8EEEEELb1EPKS5_mNS0_19identity_decomposerEEEvT1_PT2_SH_SH_T3_jj
		.amdhsa_group_segment_fixed_size 8192
		.amdhsa_private_segment_fixed_size 0
		.amdhsa_kernarg_size 44
		.amdhsa_user_sgpr_count 6
		.amdhsa_user_sgpr_private_segment_buffer 1
		.amdhsa_user_sgpr_dispatch_ptr 0
		.amdhsa_user_sgpr_queue_ptr 0
		.amdhsa_user_sgpr_kernarg_segment_ptr 1
		.amdhsa_user_sgpr_dispatch_id 0
		.amdhsa_user_sgpr_flat_scratch_init 0
		.amdhsa_user_sgpr_private_segment_size 0
		.amdhsa_uses_dynamic_stack 0
		.amdhsa_system_sgpr_private_segment_wavefront_offset 0
		.amdhsa_system_sgpr_workgroup_id_x 1
		.amdhsa_system_sgpr_workgroup_id_y 0
		.amdhsa_system_sgpr_workgroup_id_z 0
		.amdhsa_system_sgpr_workgroup_info 0
		.amdhsa_system_vgpr_workitem_id 0
		.amdhsa_next_free_vgpr 29
		.amdhsa_next_free_sgpr 61
		.amdhsa_reserve_vcc 1
		.amdhsa_reserve_flat_scratch 0
		.amdhsa_float_round_mode_32 0
		.amdhsa_float_round_mode_16_64 0
		.amdhsa_float_denorm_mode_32 3
		.amdhsa_float_denorm_mode_16_64 3
		.amdhsa_dx10_clamp 1
		.amdhsa_ieee_mode 1
		.amdhsa_fp16_overflow 0
		.amdhsa_exception_fp_ieee_invalid_op 0
		.amdhsa_exception_fp_denorm_src 0
		.amdhsa_exception_fp_ieee_div_zero 0
		.amdhsa_exception_fp_ieee_overflow 0
		.amdhsa_exception_fp_ieee_underflow 0
		.amdhsa_exception_fp_ieee_inexact 0
		.amdhsa_exception_int_div_zero 0
	.end_amdhsa_kernel
	.section	.text._ZN7rocprim17ROCPRIM_304000_NS6detail26onesweep_histograms_kernelINS1_34wrapped_radix_sort_onesweep_configINS0_14default_configE6__halfN2at4cuda3cub6detail10OpaqueTypeILi8EEEEELb1EPKS5_mNS0_19identity_decomposerEEEvT1_PT2_SH_SH_T3_jj,"axG",@progbits,_ZN7rocprim17ROCPRIM_304000_NS6detail26onesweep_histograms_kernelINS1_34wrapped_radix_sort_onesweep_configINS0_14default_configE6__halfN2at4cuda3cub6detail10OpaqueTypeILi8EEEEELb1EPKS5_mNS0_19identity_decomposerEEEvT1_PT2_SH_SH_T3_jj,comdat
.Lfunc_end188:
	.size	_ZN7rocprim17ROCPRIM_304000_NS6detail26onesweep_histograms_kernelINS1_34wrapped_radix_sort_onesweep_configINS0_14default_configE6__halfN2at4cuda3cub6detail10OpaqueTypeILi8EEEEELb1EPKS5_mNS0_19identity_decomposerEEEvT1_PT2_SH_SH_T3_jj, .Lfunc_end188-_ZN7rocprim17ROCPRIM_304000_NS6detail26onesweep_histograms_kernelINS1_34wrapped_radix_sort_onesweep_configINS0_14default_configE6__halfN2at4cuda3cub6detail10OpaqueTypeILi8EEEEELb1EPKS5_mNS0_19identity_decomposerEEEvT1_PT2_SH_SH_T3_jj
                                        ; -- End function
	.set _ZN7rocprim17ROCPRIM_304000_NS6detail26onesweep_histograms_kernelINS1_34wrapped_radix_sort_onesweep_configINS0_14default_configE6__halfN2at4cuda3cub6detail10OpaqueTypeILi8EEEEELb1EPKS5_mNS0_19identity_decomposerEEEvT1_PT2_SH_SH_T3_jj.num_vgpr, 24
	.set _ZN7rocprim17ROCPRIM_304000_NS6detail26onesweep_histograms_kernelINS1_34wrapped_radix_sort_onesweep_configINS0_14default_configE6__halfN2at4cuda3cub6detail10OpaqueTypeILi8EEEEELb1EPKS5_mNS0_19identity_decomposerEEEvT1_PT2_SH_SH_T3_jj.num_agpr, 0
	.set _ZN7rocprim17ROCPRIM_304000_NS6detail26onesweep_histograms_kernelINS1_34wrapped_radix_sort_onesweep_configINS0_14default_configE6__halfN2at4cuda3cub6detail10OpaqueTypeILi8EEEEELb1EPKS5_mNS0_19identity_decomposerEEEvT1_PT2_SH_SH_T3_jj.numbered_sgpr, 39
	.set _ZN7rocprim17ROCPRIM_304000_NS6detail26onesweep_histograms_kernelINS1_34wrapped_radix_sort_onesweep_configINS0_14default_configE6__halfN2at4cuda3cub6detail10OpaqueTypeILi8EEEEELb1EPKS5_mNS0_19identity_decomposerEEEvT1_PT2_SH_SH_T3_jj.num_named_barrier, 0
	.set _ZN7rocprim17ROCPRIM_304000_NS6detail26onesweep_histograms_kernelINS1_34wrapped_radix_sort_onesweep_configINS0_14default_configE6__halfN2at4cuda3cub6detail10OpaqueTypeILi8EEEEELb1EPKS5_mNS0_19identity_decomposerEEEvT1_PT2_SH_SH_T3_jj.private_seg_size, 0
	.set _ZN7rocprim17ROCPRIM_304000_NS6detail26onesweep_histograms_kernelINS1_34wrapped_radix_sort_onesweep_configINS0_14default_configE6__halfN2at4cuda3cub6detail10OpaqueTypeILi8EEEEELb1EPKS5_mNS0_19identity_decomposerEEEvT1_PT2_SH_SH_T3_jj.uses_vcc, 1
	.set _ZN7rocprim17ROCPRIM_304000_NS6detail26onesweep_histograms_kernelINS1_34wrapped_radix_sort_onesweep_configINS0_14default_configE6__halfN2at4cuda3cub6detail10OpaqueTypeILi8EEEEELb1EPKS5_mNS0_19identity_decomposerEEEvT1_PT2_SH_SH_T3_jj.uses_flat_scratch, 0
	.set _ZN7rocprim17ROCPRIM_304000_NS6detail26onesweep_histograms_kernelINS1_34wrapped_radix_sort_onesweep_configINS0_14default_configE6__halfN2at4cuda3cub6detail10OpaqueTypeILi8EEEEELb1EPKS5_mNS0_19identity_decomposerEEEvT1_PT2_SH_SH_T3_jj.has_dyn_sized_stack, 0
	.set _ZN7rocprim17ROCPRIM_304000_NS6detail26onesweep_histograms_kernelINS1_34wrapped_radix_sort_onesweep_configINS0_14default_configE6__halfN2at4cuda3cub6detail10OpaqueTypeILi8EEEEELb1EPKS5_mNS0_19identity_decomposerEEEvT1_PT2_SH_SH_T3_jj.has_recursion, 0
	.set _ZN7rocprim17ROCPRIM_304000_NS6detail26onesweep_histograms_kernelINS1_34wrapped_radix_sort_onesweep_configINS0_14default_configE6__halfN2at4cuda3cub6detail10OpaqueTypeILi8EEEEELb1EPKS5_mNS0_19identity_decomposerEEEvT1_PT2_SH_SH_T3_jj.has_indirect_call, 0
	.section	.AMDGPU.csdata,"",@progbits
; Kernel info:
; codeLenInByte = 5508
; TotalNumSgprs: 43
; NumVgprs: 24
; ScratchSize: 0
; MemoryBound: 0
; FloatMode: 240
; IeeeMode: 1
; LDSByteSize: 8192 bytes/workgroup (compile time only)
; SGPRBlocks: 8
; VGPRBlocks: 7
; NumSGPRsForWavesPerEU: 65
; NumVGPRsForWavesPerEU: 29
; Occupancy: 8
; WaveLimiterHint : 1
; COMPUTE_PGM_RSRC2:SCRATCH_EN: 0
; COMPUTE_PGM_RSRC2:USER_SGPR: 6
; COMPUTE_PGM_RSRC2:TRAP_HANDLER: 0
; COMPUTE_PGM_RSRC2:TGID_X_EN: 1
; COMPUTE_PGM_RSRC2:TGID_Y_EN: 0
; COMPUTE_PGM_RSRC2:TGID_Z_EN: 0
; COMPUTE_PGM_RSRC2:TIDIG_COMP_CNT: 0
	.section	.text._ZN7rocprim17ROCPRIM_304000_NS6detail31onesweep_scan_histograms_kernelINS1_34wrapped_radix_sort_onesweep_configINS0_14default_configE6__halfN2at4cuda3cub6detail10OpaqueTypeILi8EEEEEmEEvPT0_,"axG",@progbits,_ZN7rocprim17ROCPRIM_304000_NS6detail31onesweep_scan_histograms_kernelINS1_34wrapped_radix_sort_onesweep_configINS0_14default_configE6__halfN2at4cuda3cub6detail10OpaqueTypeILi8EEEEEmEEvPT0_,comdat
	.protected	_ZN7rocprim17ROCPRIM_304000_NS6detail31onesweep_scan_histograms_kernelINS1_34wrapped_radix_sort_onesweep_configINS0_14default_configE6__halfN2at4cuda3cub6detail10OpaqueTypeILi8EEEEEmEEvPT0_ ; -- Begin function _ZN7rocprim17ROCPRIM_304000_NS6detail31onesweep_scan_histograms_kernelINS1_34wrapped_radix_sort_onesweep_configINS0_14default_configE6__halfN2at4cuda3cub6detail10OpaqueTypeILi8EEEEEmEEvPT0_
	.globl	_ZN7rocprim17ROCPRIM_304000_NS6detail31onesweep_scan_histograms_kernelINS1_34wrapped_radix_sort_onesweep_configINS0_14default_configE6__halfN2at4cuda3cub6detail10OpaqueTypeILi8EEEEEmEEvPT0_
	.p2align	8
	.type	_ZN7rocprim17ROCPRIM_304000_NS6detail31onesweep_scan_histograms_kernelINS1_34wrapped_radix_sort_onesweep_configINS0_14default_configE6__halfN2at4cuda3cub6detail10OpaqueTypeILi8EEEEEmEEvPT0_,@function
_ZN7rocprim17ROCPRIM_304000_NS6detail31onesweep_scan_histograms_kernelINS1_34wrapped_radix_sort_onesweep_configINS0_14default_configE6__halfN2at4cuda3cub6detail10OpaqueTypeILi8EEEEEmEEvPT0_: ; @_ZN7rocprim17ROCPRIM_304000_NS6detail31onesweep_scan_histograms_kernelINS1_34wrapped_radix_sort_onesweep_configINS0_14default_configE6__halfN2at4cuda3cub6detail10OpaqueTypeILi8EEEEEmEEvPT0_
; %bb.0:
	s_load_dwordx2 s[0:1], s[4:5], 0x0
	s_lshl_b32 s2, s6, 8
	s_mov_b32 s3, 0
	s_lshl_b64 s[2:3], s[2:3], 3
	v_lshlrev_b32_e32 v5, 3, v0
	s_waitcnt lgkmcnt(0)
	s_add_u32 s2, s0, s2
	s_movk_i32 s0, 0x100
	s_addc_u32 s3, s1, s3
	v_cmp_gt_u32_e32 vcc, s0, v0
                                        ; implicit-def: $vgpr1_vgpr2
	s_and_saveexec_b64 s[0:1], vcc
	s_cbranch_execz .LBB189_2
; %bb.1:
	global_load_dwordx2 v[1:2], v5, s[2:3]
.LBB189_2:
	s_or_b64 exec, exec, s[0:1]
	v_mbcnt_lo_u32_b32 v3, -1, 0
	v_mbcnt_hi_u32_b32 v6, -1, v3
	v_and_b32_e32 v4, 15, v6
	s_waitcnt vmcnt(0)
	v_mov_b32_dpp v8, v1 row_shr:1 row_mask:0xf bank_mask:0xf
	v_mov_b32_dpp v7, v2 row_shr:1 row_mask:0xf bank_mask:0xf
	v_cmp_ne_u32_e64 s[0:1], 0, v4
	v_mov_b32_e32 v3, v1
	s_and_saveexec_b64 s[4:5], s[0:1]
; %bb.3:
	v_add_co_u32_e64 v3, s[0:1], v1, v8
	v_addc_co_u32_e64 v2, s[0:1], 0, v2, s[0:1]
	v_add_co_u32_e64 v1, s[0:1], 0, v3
	v_addc_co_u32_e64 v2, s[0:1], v7, v2, s[0:1]
; %bb.4:
	s_or_b64 exec, exec, s[4:5]
	v_mov_b32_dpp v8, v3 row_shr:2 row_mask:0xf bank_mask:0xf
	v_mov_b32_dpp v7, v2 row_shr:2 row_mask:0xf bank_mask:0xf
	v_cmp_lt_u32_e64 s[0:1], 1, v4
	s_and_saveexec_b64 s[4:5], s[0:1]
; %bb.5:
	v_add_co_u32_e64 v3, s[0:1], v1, v8
	v_addc_co_u32_e64 v2, s[0:1], 0, v2, s[0:1]
	v_add_co_u32_e64 v1, s[0:1], 0, v3
	v_addc_co_u32_e64 v2, s[0:1], v7, v2, s[0:1]
; %bb.6:
	s_or_b64 exec, exec, s[4:5]
	v_mov_b32_dpp v8, v3 row_shr:4 row_mask:0xf bank_mask:0xf
	v_mov_b32_dpp v7, v2 row_shr:4 row_mask:0xf bank_mask:0xf
	v_cmp_lt_u32_e64 s[0:1], 3, v4
	s_and_saveexec_b64 s[4:5], s[0:1]
; %bb.7:
	v_add_co_u32_e64 v3, s[0:1], v1, v8
	v_addc_co_u32_e64 v2, s[0:1], 0, v2, s[0:1]
	v_add_co_u32_e64 v1, s[0:1], 0, v3
	v_addc_co_u32_e64 v2, s[0:1], v7, v2, s[0:1]
; %bb.8:
	s_or_b64 exec, exec, s[4:5]
	v_mov_b32_dpp v8, v3 row_shr:8 row_mask:0xf bank_mask:0xf
	v_mov_b32_dpp v7, v2 row_shr:8 row_mask:0xf bank_mask:0xf
	v_cmp_lt_u32_e64 s[0:1], 7, v4
	s_and_saveexec_b64 s[4:5], s[0:1]
; %bb.9:
	v_add_co_u32_e64 v3, s[0:1], v1, v8
	v_addc_co_u32_e64 v2, s[0:1], 0, v2, s[0:1]
	v_add_co_u32_e64 v1, s[0:1], 0, v3
	v_addc_co_u32_e64 v2, s[0:1], v7, v2, s[0:1]
; %bb.10:
	s_or_b64 exec, exec, s[4:5]
	v_and_b32_e32 v8, 16, v6
	v_mov_b32_dpp v7, v3 row_bcast:15 row_mask:0xf bank_mask:0xf
	v_mov_b32_dpp v4, v2 row_bcast:15 row_mask:0xf bank_mask:0xf
	v_cmp_ne_u32_e64 s[0:1], 0, v8
	s_and_saveexec_b64 s[4:5], s[0:1]
; %bb.11:
	v_add_co_u32_e64 v3, s[0:1], v1, v7
	v_addc_co_u32_e64 v2, s[0:1], 0, v2, s[0:1]
	v_add_co_u32_e64 v1, s[0:1], 0, v3
	v_addc_co_u32_e64 v2, s[0:1], v4, v2, s[0:1]
; %bb.12:
	s_or_b64 exec, exec, s[4:5]
	v_mov_b32_dpp v3, v3 row_bcast:31 row_mask:0xf bank_mask:0xf
	v_add_co_u32_e64 v3, s[0:1], v1, v3
	v_addc_co_u32_e64 v7, s[0:1], 0, v2, s[0:1]
	v_mov_b32_dpp v4, v2 row_bcast:31 row_mask:0xf bank_mask:0xf
	v_add_co_u32_e64 v3, s[0:1], 0, v3
	v_addc_co_u32_e64 v4, s[0:1], v7, v4, s[0:1]
	v_cmp_lt_u32_e64 s[0:1], 31, v6
	v_cndmask_b32_e64 v1, v1, v3, s[0:1]
	v_or_b32_e32 v3, 63, v0
	v_cndmask_b32_e64 v2, v2, v4, s[0:1]
	v_lshrrev_b32_e32 v7, 6, v0
	v_cmp_eq_u32_e64 s[0:1], v0, v3
	s_and_saveexec_b64 s[4:5], s[0:1]
; %bb.13:
	v_lshlrev_b32_e32 v3, 3, v7
	ds_write_b64 v3, v[1:2]
; %bb.14:
	s_or_b64 exec, exec, s[4:5]
	v_cmp_gt_u32_e64 s[0:1], 4, v0
	s_waitcnt lgkmcnt(0)
	s_barrier
	s_and_saveexec_b64 s[4:5], s[0:1]
	s_cbranch_execz .LBB189_18
; %bb.15:
	ds_read_b64 v[3:4], v5
	v_and_b32_e32 v8, 3, v6
	v_cmp_ne_u32_e64 s[0:1], 0, v8
	s_waitcnt lgkmcnt(0)
	v_mov_b32_dpp v11, v3 row_shr:1 row_mask:0xf bank_mask:0xf
	v_mov_b32_dpp v10, v4 row_shr:1 row_mask:0xf bank_mask:0xf
	v_mov_b32_e32 v9, v3
	s_and_saveexec_b64 s[6:7], s[0:1]
; %bb.16:
	v_add_co_u32_e64 v9, s[0:1], v3, v11
	v_addc_co_u32_e64 v4, s[0:1], 0, v4, s[0:1]
	v_add_co_u32_e64 v3, s[0:1], 0, v9
	v_addc_co_u32_e64 v4, s[0:1], v10, v4, s[0:1]
; %bb.17:
	s_or_b64 exec, exec, s[6:7]
	v_mov_b32_dpp v9, v9 row_shr:2 row_mask:0xf bank_mask:0xf
	v_cmp_lt_u32_e64 s[0:1], 1, v8
	v_mov_b32_dpp v10, v4 row_shr:2 row_mask:0xf bank_mask:0xf
	v_cndmask_b32_e64 v9, 0, v9, s[0:1]
	v_cndmask_b32_e64 v8, 0, v10, s[0:1]
	v_add_co_u32_e64 v3, s[0:1], v9, v3
	v_addc_co_u32_e64 v4, s[0:1], v8, v4, s[0:1]
	ds_write_b64 v5, v[3:4]
.LBB189_18:
	s_or_b64 exec, exec, s[4:5]
	v_mov_b32_e32 v3, 0
	v_mov_b32_e32 v4, 0
	v_cmp_lt_u32_e64 s[0:1], 63, v0
	s_waitcnt lgkmcnt(0)
	s_barrier
	s_and_saveexec_b64 s[4:5], s[0:1]
; %bb.19:
	v_lshl_add_u32 v0, v7, 3, -8
	ds_read_b64 v[3:4], v0
; %bb.20:
	s_or_b64 exec, exec, s[4:5]
	s_waitcnt lgkmcnt(0)
	v_add_co_u32_e64 v0, s[0:1], v3, v1
	v_addc_co_u32_e64 v1, s[0:1], v4, v2, s[0:1]
	v_add_u32_e32 v2, -1, v6
	v_and_b32_e32 v7, 64, v6
	v_cmp_lt_i32_e64 s[0:1], v2, v7
	v_cndmask_b32_e64 v2, v2, v6, s[0:1]
	v_lshlrev_b32_e32 v2, 2, v2
	ds_bpermute_b32 v0, v2, v0
	ds_bpermute_b32 v1, v2, v1
	s_and_saveexec_b64 s[0:1], vcc
	s_cbranch_execz .LBB189_22
; %bb.21:
	v_cmp_eq_u32_e32 vcc, 0, v6
	s_waitcnt lgkmcnt(0)
	v_cndmask_b32_e32 v1, v1, v4, vcc
	v_cndmask_b32_e32 v0, v0, v3, vcc
	global_store_dwordx2 v5, v[0:1], s[2:3]
.LBB189_22:
	s_endpgm
	.section	.rodata,"a",@progbits
	.p2align	6, 0x0
	.amdhsa_kernel _ZN7rocprim17ROCPRIM_304000_NS6detail31onesweep_scan_histograms_kernelINS1_34wrapped_radix_sort_onesweep_configINS0_14default_configE6__halfN2at4cuda3cub6detail10OpaqueTypeILi8EEEEEmEEvPT0_
		.amdhsa_group_segment_fixed_size 32
		.amdhsa_private_segment_fixed_size 0
		.amdhsa_kernarg_size 8
		.amdhsa_user_sgpr_count 6
		.amdhsa_user_sgpr_private_segment_buffer 1
		.amdhsa_user_sgpr_dispatch_ptr 0
		.amdhsa_user_sgpr_queue_ptr 0
		.amdhsa_user_sgpr_kernarg_segment_ptr 1
		.amdhsa_user_sgpr_dispatch_id 0
		.amdhsa_user_sgpr_flat_scratch_init 0
		.amdhsa_user_sgpr_private_segment_size 0
		.amdhsa_uses_dynamic_stack 0
		.amdhsa_system_sgpr_private_segment_wavefront_offset 0
		.amdhsa_system_sgpr_workgroup_id_x 1
		.amdhsa_system_sgpr_workgroup_id_y 0
		.amdhsa_system_sgpr_workgroup_id_z 0
		.amdhsa_system_sgpr_workgroup_info 0
		.amdhsa_system_vgpr_workitem_id 0
		.amdhsa_next_free_vgpr 12
		.amdhsa_next_free_sgpr 8
		.amdhsa_reserve_vcc 1
		.amdhsa_reserve_flat_scratch 0
		.amdhsa_float_round_mode_32 0
		.amdhsa_float_round_mode_16_64 0
		.amdhsa_float_denorm_mode_32 3
		.amdhsa_float_denorm_mode_16_64 3
		.amdhsa_dx10_clamp 1
		.amdhsa_ieee_mode 1
		.amdhsa_fp16_overflow 0
		.amdhsa_exception_fp_ieee_invalid_op 0
		.amdhsa_exception_fp_denorm_src 0
		.amdhsa_exception_fp_ieee_div_zero 0
		.amdhsa_exception_fp_ieee_overflow 0
		.amdhsa_exception_fp_ieee_underflow 0
		.amdhsa_exception_fp_ieee_inexact 0
		.amdhsa_exception_int_div_zero 0
	.end_amdhsa_kernel
	.section	.text._ZN7rocprim17ROCPRIM_304000_NS6detail31onesweep_scan_histograms_kernelINS1_34wrapped_radix_sort_onesweep_configINS0_14default_configE6__halfN2at4cuda3cub6detail10OpaqueTypeILi8EEEEEmEEvPT0_,"axG",@progbits,_ZN7rocprim17ROCPRIM_304000_NS6detail31onesweep_scan_histograms_kernelINS1_34wrapped_radix_sort_onesweep_configINS0_14default_configE6__halfN2at4cuda3cub6detail10OpaqueTypeILi8EEEEEmEEvPT0_,comdat
.Lfunc_end189:
	.size	_ZN7rocprim17ROCPRIM_304000_NS6detail31onesweep_scan_histograms_kernelINS1_34wrapped_radix_sort_onesweep_configINS0_14default_configE6__halfN2at4cuda3cub6detail10OpaqueTypeILi8EEEEEmEEvPT0_, .Lfunc_end189-_ZN7rocprim17ROCPRIM_304000_NS6detail31onesweep_scan_histograms_kernelINS1_34wrapped_radix_sort_onesweep_configINS0_14default_configE6__halfN2at4cuda3cub6detail10OpaqueTypeILi8EEEEEmEEvPT0_
                                        ; -- End function
	.set _ZN7rocprim17ROCPRIM_304000_NS6detail31onesweep_scan_histograms_kernelINS1_34wrapped_radix_sort_onesweep_configINS0_14default_configE6__halfN2at4cuda3cub6detail10OpaqueTypeILi8EEEEEmEEvPT0_.num_vgpr, 12
	.set _ZN7rocprim17ROCPRIM_304000_NS6detail31onesweep_scan_histograms_kernelINS1_34wrapped_radix_sort_onesweep_configINS0_14default_configE6__halfN2at4cuda3cub6detail10OpaqueTypeILi8EEEEEmEEvPT0_.num_agpr, 0
	.set _ZN7rocprim17ROCPRIM_304000_NS6detail31onesweep_scan_histograms_kernelINS1_34wrapped_radix_sort_onesweep_configINS0_14default_configE6__halfN2at4cuda3cub6detail10OpaqueTypeILi8EEEEEmEEvPT0_.numbered_sgpr, 8
	.set _ZN7rocprim17ROCPRIM_304000_NS6detail31onesweep_scan_histograms_kernelINS1_34wrapped_radix_sort_onesweep_configINS0_14default_configE6__halfN2at4cuda3cub6detail10OpaqueTypeILi8EEEEEmEEvPT0_.num_named_barrier, 0
	.set _ZN7rocprim17ROCPRIM_304000_NS6detail31onesweep_scan_histograms_kernelINS1_34wrapped_radix_sort_onesweep_configINS0_14default_configE6__halfN2at4cuda3cub6detail10OpaqueTypeILi8EEEEEmEEvPT0_.private_seg_size, 0
	.set _ZN7rocprim17ROCPRIM_304000_NS6detail31onesweep_scan_histograms_kernelINS1_34wrapped_radix_sort_onesweep_configINS0_14default_configE6__halfN2at4cuda3cub6detail10OpaqueTypeILi8EEEEEmEEvPT0_.uses_vcc, 1
	.set _ZN7rocprim17ROCPRIM_304000_NS6detail31onesweep_scan_histograms_kernelINS1_34wrapped_radix_sort_onesweep_configINS0_14default_configE6__halfN2at4cuda3cub6detail10OpaqueTypeILi8EEEEEmEEvPT0_.uses_flat_scratch, 0
	.set _ZN7rocprim17ROCPRIM_304000_NS6detail31onesweep_scan_histograms_kernelINS1_34wrapped_radix_sort_onesweep_configINS0_14default_configE6__halfN2at4cuda3cub6detail10OpaqueTypeILi8EEEEEmEEvPT0_.has_dyn_sized_stack, 0
	.set _ZN7rocprim17ROCPRIM_304000_NS6detail31onesweep_scan_histograms_kernelINS1_34wrapped_radix_sort_onesweep_configINS0_14default_configE6__halfN2at4cuda3cub6detail10OpaqueTypeILi8EEEEEmEEvPT0_.has_recursion, 0
	.set _ZN7rocprim17ROCPRIM_304000_NS6detail31onesweep_scan_histograms_kernelINS1_34wrapped_radix_sort_onesweep_configINS0_14default_configE6__halfN2at4cuda3cub6detail10OpaqueTypeILi8EEEEEmEEvPT0_.has_indirect_call, 0
	.section	.AMDGPU.csdata,"",@progbits
; Kernel info:
; codeLenInByte = 848
; TotalNumSgprs: 12
; NumVgprs: 12
; ScratchSize: 0
; MemoryBound: 0
; FloatMode: 240
; IeeeMode: 1
; LDSByteSize: 32 bytes/workgroup (compile time only)
; SGPRBlocks: 1
; VGPRBlocks: 2
; NumSGPRsForWavesPerEU: 12
; NumVGPRsForWavesPerEU: 12
; Occupancy: 10
; WaveLimiterHint : 0
; COMPUTE_PGM_RSRC2:SCRATCH_EN: 0
; COMPUTE_PGM_RSRC2:USER_SGPR: 6
; COMPUTE_PGM_RSRC2:TRAP_HANDLER: 0
; COMPUTE_PGM_RSRC2:TGID_X_EN: 1
; COMPUTE_PGM_RSRC2:TGID_Y_EN: 0
; COMPUTE_PGM_RSRC2:TGID_Z_EN: 0
; COMPUTE_PGM_RSRC2:TIDIG_COMP_CNT: 0
	.section	.text._ZN7rocprim17ROCPRIM_304000_NS6detail16transform_kernelINS1_24wrapped_transform_configINS0_14default_configE6__halfEES5_PKS5_PS5_NS0_8identityIS5_EEEEvT1_mT2_T3_,"axG",@progbits,_ZN7rocprim17ROCPRIM_304000_NS6detail16transform_kernelINS1_24wrapped_transform_configINS0_14default_configE6__halfEES5_PKS5_PS5_NS0_8identityIS5_EEEEvT1_mT2_T3_,comdat
	.protected	_ZN7rocprim17ROCPRIM_304000_NS6detail16transform_kernelINS1_24wrapped_transform_configINS0_14default_configE6__halfEES5_PKS5_PS5_NS0_8identityIS5_EEEEvT1_mT2_T3_ ; -- Begin function _ZN7rocprim17ROCPRIM_304000_NS6detail16transform_kernelINS1_24wrapped_transform_configINS0_14default_configE6__halfEES5_PKS5_PS5_NS0_8identityIS5_EEEEvT1_mT2_T3_
	.globl	_ZN7rocprim17ROCPRIM_304000_NS6detail16transform_kernelINS1_24wrapped_transform_configINS0_14default_configE6__halfEES5_PKS5_PS5_NS0_8identityIS5_EEEEvT1_mT2_T3_
	.p2align	8
	.type	_ZN7rocprim17ROCPRIM_304000_NS6detail16transform_kernelINS1_24wrapped_transform_configINS0_14default_configE6__halfEES5_PKS5_PS5_NS0_8identityIS5_EEEEvT1_mT2_T3_,@function
_ZN7rocprim17ROCPRIM_304000_NS6detail16transform_kernelINS1_24wrapped_transform_configINS0_14default_configE6__halfEES5_PKS5_PS5_NS0_8identityIS5_EEEEvT1_mT2_T3_: ; @_ZN7rocprim17ROCPRIM_304000_NS6detail16transform_kernelINS1_24wrapped_transform_configINS0_14default_configE6__halfEES5_PKS5_PS5_NS0_8identityIS5_EEEEvT1_mT2_T3_
; %bb.0:
	s_load_dword s7, s[4:5], 0x20
	s_load_dwordx4 s[0:3], s[4:5], 0x0
	s_load_dwordx2 s[8:9], s[4:5], 0x10
	s_lshl_b32 s4, s6, 11
	s_mov_b32 s5, 0
	s_waitcnt lgkmcnt(0)
	s_add_i32 s7, s7, -1
	s_lshl_b64 s[10:11], s[4:5], 1
	s_add_u32 s0, s0, s10
	s_addc_u32 s1, s1, s11
	v_lshlrev_b32_e32 v3, 1, v0
	v_mov_b32_e32 v2, s1
	v_add_co_u32_e32 v1, vcc, s0, v3
	s_cmp_lg_u32 s6, s7
	v_addc_co_u32_e32 v2, vcc, 0, v2, vcc
	s_cbranch_scc0 .LBB190_2
; %bb.1:
	global_load_ushort v5, v[1:2], off
	global_load_ushort v6, v[1:2], off offset:1024
	global_load_ushort v7, v[1:2], off offset:2048
	;; [unrolled: 1-line block ×3, first 2 shown]
	s_add_u32 s6, s8, s10
	s_addc_u32 s7, s9, s11
	s_waitcnt vmcnt(3)
	global_store_short v3, v5, s[6:7]
	s_waitcnt vmcnt(3)
	global_store_short v3, v6, s[6:7] offset:1024
	s_waitcnt vmcnt(3)
	global_store_short v3, v7, s[6:7] offset:2048
	s_mov_b64 s[6:7], -1
	s_cbranch_execz .LBB190_3
	s_branch .LBB190_16
.LBB190_2:
	s_mov_b64 s[6:7], 0
                                        ; implicit-def: $vgpr4
.LBB190_3:
	s_sub_i32 s6, s2, s4
	v_cmp_gt_u32_e32 vcc, s6, v0
                                        ; implicit-def: $vgpr5
	s_and_saveexec_b64 s[0:1], vcc
	s_cbranch_execz .LBB190_5
; %bb.4:
	global_load_ushort v5, v[1:2], off
.LBB190_5:
	s_or_b64 exec, exec, s[0:1]
	s_waitcnt vmcnt(3)
	v_or_b32_e32 v4, 0x200, v0
	v_cmp_gt_u32_e64 s[0:1], s6, v4
                                        ; implicit-def: $vgpr6
	s_and_saveexec_b64 s[2:3], s[0:1]
	s_cbranch_execz .LBB190_7
; %bb.6:
	global_load_ushort v6, v[1:2], off offset:1024
.LBB190_7:
	s_or_b64 exec, exec, s[2:3]
	v_or_b32_e32 v4, 0x400, v0
	v_cmp_gt_u32_e64 s[2:3], s6, v4
                                        ; implicit-def: $vgpr7
	s_and_saveexec_b64 s[4:5], s[2:3]
	s_cbranch_execz .LBB190_9
; %bb.8:
	global_load_ushort v7, v[1:2], off offset:2048
.LBB190_9:
	s_or_b64 exec, exec, s[4:5]
	v_or_b32_e32 v0, 0x600, v0
	v_cmp_gt_u32_e64 s[6:7], s6, v0
                                        ; implicit-def: $vgpr4
	s_and_saveexec_b64 s[4:5], s[6:7]
	s_cbranch_execz .LBB190_11
; %bb.10:
	global_load_ushort v4, v[1:2], off offset:3072
.LBB190_11:
	s_or_b64 exec, exec, s[4:5]
	s_add_u32 s4, s8, s10
	s_addc_u32 s5, s9, s11
	v_mov_b32_e32 v1, s5
	v_add_co_u32_e64 v0, s[4:5], s4, v3
	v_addc_co_u32_e64 v1, s[4:5], 0, v1, s[4:5]
	s_and_saveexec_b64 s[4:5], vcc
	s_cbranch_execnz .LBB190_19
; %bb.12:
	s_or_b64 exec, exec, s[4:5]
	s_and_saveexec_b64 s[4:5], s[0:1]
	s_cbranch_execnz .LBB190_20
.LBB190_13:
	s_or_b64 exec, exec, s[4:5]
	s_and_saveexec_b64 s[0:1], s[2:3]
	s_cbranch_execz .LBB190_15
.LBB190_14:
	s_waitcnt vmcnt(0)
	global_store_short v[0:1], v7, off offset:2048
.LBB190_15:
	s_or_b64 exec, exec, s[0:1]
.LBB190_16:
	s_and_saveexec_b64 s[0:1], s[6:7]
	s_cbranch_execnz .LBB190_18
; %bb.17:
	s_endpgm
.LBB190_18:
	s_add_u32 s0, s8, s10
	s_addc_u32 s1, s9, s11
	s_waitcnt vmcnt(0)
	global_store_short v3, v4, s[0:1] offset:3072
	s_endpgm
.LBB190_19:
	s_waitcnt vmcnt(0)
	global_store_short v[0:1], v5, off
	s_or_b64 exec, exec, s[4:5]
	s_and_saveexec_b64 s[4:5], s[0:1]
	s_cbranch_execz .LBB190_13
.LBB190_20:
	s_waitcnt vmcnt(0)
	global_store_short v[0:1], v6, off offset:1024
	s_or_b64 exec, exec, s[4:5]
	s_and_saveexec_b64 s[0:1], s[2:3]
	s_cbranch_execnz .LBB190_14
	s_branch .LBB190_15
	.section	.rodata,"a",@progbits
	.p2align	6, 0x0
	.amdhsa_kernel _ZN7rocprim17ROCPRIM_304000_NS6detail16transform_kernelINS1_24wrapped_transform_configINS0_14default_configE6__halfEES5_PKS5_PS5_NS0_8identityIS5_EEEEvT1_mT2_T3_
		.amdhsa_group_segment_fixed_size 0
		.amdhsa_private_segment_fixed_size 0
		.amdhsa_kernarg_size 288
		.amdhsa_user_sgpr_count 6
		.amdhsa_user_sgpr_private_segment_buffer 1
		.amdhsa_user_sgpr_dispatch_ptr 0
		.amdhsa_user_sgpr_queue_ptr 0
		.amdhsa_user_sgpr_kernarg_segment_ptr 1
		.amdhsa_user_sgpr_dispatch_id 0
		.amdhsa_user_sgpr_flat_scratch_init 0
		.amdhsa_user_sgpr_private_segment_size 0
		.amdhsa_uses_dynamic_stack 0
		.amdhsa_system_sgpr_private_segment_wavefront_offset 0
		.amdhsa_system_sgpr_workgroup_id_x 1
		.amdhsa_system_sgpr_workgroup_id_y 0
		.amdhsa_system_sgpr_workgroup_id_z 0
		.amdhsa_system_sgpr_workgroup_info 0
		.amdhsa_system_vgpr_workitem_id 0
		.amdhsa_next_free_vgpr 8
		.amdhsa_next_free_sgpr 12
		.amdhsa_reserve_vcc 1
		.amdhsa_reserve_flat_scratch 0
		.amdhsa_float_round_mode_32 0
		.amdhsa_float_round_mode_16_64 0
		.amdhsa_float_denorm_mode_32 3
		.amdhsa_float_denorm_mode_16_64 3
		.amdhsa_dx10_clamp 1
		.amdhsa_ieee_mode 1
		.amdhsa_fp16_overflow 0
		.amdhsa_exception_fp_ieee_invalid_op 0
		.amdhsa_exception_fp_denorm_src 0
		.amdhsa_exception_fp_ieee_div_zero 0
		.amdhsa_exception_fp_ieee_overflow 0
		.amdhsa_exception_fp_ieee_underflow 0
		.amdhsa_exception_fp_ieee_inexact 0
		.amdhsa_exception_int_div_zero 0
	.end_amdhsa_kernel
	.section	.text._ZN7rocprim17ROCPRIM_304000_NS6detail16transform_kernelINS1_24wrapped_transform_configINS0_14default_configE6__halfEES5_PKS5_PS5_NS0_8identityIS5_EEEEvT1_mT2_T3_,"axG",@progbits,_ZN7rocprim17ROCPRIM_304000_NS6detail16transform_kernelINS1_24wrapped_transform_configINS0_14default_configE6__halfEES5_PKS5_PS5_NS0_8identityIS5_EEEEvT1_mT2_T3_,comdat
.Lfunc_end190:
	.size	_ZN7rocprim17ROCPRIM_304000_NS6detail16transform_kernelINS1_24wrapped_transform_configINS0_14default_configE6__halfEES5_PKS5_PS5_NS0_8identityIS5_EEEEvT1_mT2_T3_, .Lfunc_end190-_ZN7rocprim17ROCPRIM_304000_NS6detail16transform_kernelINS1_24wrapped_transform_configINS0_14default_configE6__halfEES5_PKS5_PS5_NS0_8identityIS5_EEEEvT1_mT2_T3_
                                        ; -- End function
	.set _ZN7rocprim17ROCPRIM_304000_NS6detail16transform_kernelINS1_24wrapped_transform_configINS0_14default_configE6__halfEES5_PKS5_PS5_NS0_8identityIS5_EEEEvT1_mT2_T3_.num_vgpr, 8
	.set _ZN7rocprim17ROCPRIM_304000_NS6detail16transform_kernelINS1_24wrapped_transform_configINS0_14default_configE6__halfEES5_PKS5_PS5_NS0_8identityIS5_EEEEvT1_mT2_T3_.num_agpr, 0
	.set _ZN7rocprim17ROCPRIM_304000_NS6detail16transform_kernelINS1_24wrapped_transform_configINS0_14default_configE6__halfEES5_PKS5_PS5_NS0_8identityIS5_EEEEvT1_mT2_T3_.numbered_sgpr, 12
	.set _ZN7rocprim17ROCPRIM_304000_NS6detail16transform_kernelINS1_24wrapped_transform_configINS0_14default_configE6__halfEES5_PKS5_PS5_NS0_8identityIS5_EEEEvT1_mT2_T3_.num_named_barrier, 0
	.set _ZN7rocprim17ROCPRIM_304000_NS6detail16transform_kernelINS1_24wrapped_transform_configINS0_14default_configE6__halfEES5_PKS5_PS5_NS0_8identityIS5_EEEEvT1_mT2_T3_.private_seg_size, 0
	.set _ZN7rocprim17ROCPRIM_304000_NS6detail16transform_kernelINS1_24wrapped_transform_configINS0_14default_configE6__halfEES5_PKS5_PS5_NS0_8identityIS5_EEEEvT1_mT2_T3_.uses_vcc, 1
	.set _ZN7rocprim17ROCPRIM_304000_NS6detail16transform_kernelINS1_24wrapped_transform_configINS0_14default_configE6__halfEES5_PKS5_PS5_NS0_8identityIS5_EEEEvT1_mT2_T3_.uses_flat_scratch, 0
	.set _ZN7rocprim17ROCPRIM_304000_NS6detail16transform_kernelINS1_24wrapped_transform_configINS0_14default_configE6__halfEES5_PKS5_PS5_NS0_8identityIS5_EEEEvT1_mT2_T3_.has_dyn_sized_stack, 0
	.set _ZN7rocprim17ROCPRIM_304000_NS6detail16transform_kernelINS1_24wrapped_transform_configINS0_14default_configE6__halfEES5_PKS5_PS5_NS0_8identityIS5_EEEEvT1_mT2_T3_.has_recursion, 0
	.set _ZN7rocprim17ROCPRIM_304000_NS6detail16transform_kernelINS1_24wrapped_transform_configINS0_14default_configE6__halfEES5_PKS5_PS5_NS0_8identityIS5_EEEEvT1_mT2_T3_.has_indirect_call, 0
	.section	.AMDGPU.csdata,"",@progbits
; Kernel info:
; codeLenInByte = 472
; TotalNumSgprs: 16
; NumVgprs: 8
; ScratchSize: 0
; MemoryBound: 0
; FloatMode: 240
; IeeeMode: 1
; LDSByteSize: 0 bytes/workgroup (compile time only)
; SGPRBlocks: 1
; VGPRBlocks: 1
; NumSGPRsForWavesPerEU: 16
; NumVGPRsForWavesPerEU: 8
; Occupancy: 10
; WaveLimiterHint : 1
; COMPUTE_PGM_RSRC2:SCRATCH_EN: 0
; COMPUTE_PGM_RSRC2:USER_SGPR: 6
; COMPUTE_PGM_RSRC2:TRAP_HANDLER: 0
; COMPUTE_PGM_RSRC2:TGID_X_EN: 1
; COMPUTE_PGM_RSRC2:TGID_Y_EN: 0
; COMPUTE_PGM_RSRC2:TGID_Z_EN: 0
; COMPUTE_PGM_RSRC2:TIDIG_COMP_CNT: 0
	.section	.text._ZN7rocprim17ROCPRIM_304000_NS6detail25onesweep_iteration_kernelINS1_34wrapped_radix_sort_onesweep_configINS0_14default_configE6__halfN2at4cuda3cub6detail10OpaqueTypeILi8EEEEELb1EPKS5_PS5_PKSB_PSB_mNS0_19identity_decomposerEEEvT1_T2_T3_T4_jPT5_SP_PNS1_23onesweep_lookback_stateET6_jjj,"axG",@progbits,_ZN7rocprim17ROCPRIM_304000_NS6detail25onesweep_iteration_kernelINS1_34wrapped_radix_sort_onesweep_configINS0_14default_configE6__halfN2at4cuda3cub6detail10OpaqueTypeILi8EEEEELb1EPKS5_PS5_PKSB_PSB_mNS0_19identity_decomposerEEEvT1_T2_T3_T4_jPT5_SP_PNS1_23onesweep_lookback_stateET6_jjj,comdat
	.protected	_ZN7rocprim17ROCPRIM_304000_NS6detail25onesweep_iteration_kernelINS1_34wrapped_radix_sort_onesweep_configINS0_14default_configE6__halfN2at4cuda3cub6detail10OpaqueTypeILi8EEEEELb1EPKS5_PS5_PKSB_PSB_mNS0_19identity_decomposerEEEvT1_T2_T3_T4_jPT5_SP_PNS1_23onesweep_lookback_stateET6_jjj ; -- Begin function _ZN7rocprim17ROCPRIM_304000_NS6detail25onesweep_iteration_kernelINS1_34wrapped_radix_sort_onesweep_configINS0_14default_configE6__halfN2at4cuda3cub6detail10OpaqueTypeILi8EEEEELb1EPKS5_PS5_PKSB_PSB_mNS0_19identity_decomposerEEEvT1_T2_T3_T4_jPT5_SP_PNS1_23onesweep_lookback_stateET6_jjj
	.globl	_ZN7rocprim17ROCPRIM_304000_NS6detail25onesweep_iteration_kernelINS1_34wrapped_radix_sort_onesweep_configINS0_14default_configE6__halfN2at4cuda3cub6detail10OpaqueTypeILi8EEEEELb1EPKS5_PS5_PKSB_PSB_mNS0_19identity_decomposerEEEvT1_T2_T3_T4_jPT5_SP_PNS1_23onesweep_lookback_stateET6_jjj
	.p2align	8
	.type	_ZN7rocprim17ROCPRIM_304000_NS6detail25onesweep_iteration_kernelINS1_34wrapped_radix_sort_onesweep_configINS0_14default_configE6__halfN2at4cuda3cub6detail10OpaqueTypeILi8EEEEELb1EPKS5_PS5_PKSB_PSB_mNS0_19identity_decomposerEEEvT1_T2_T3_T4_jPT5_SP_PNS1_23onesweep_lookback_stateET6_jjj,@function
_ZN7rocprim17ROCPRIM_304000_NS6detail25onesweep_iteration_kernelINS1_34wrapped_radix_sort_onesweep_configINS0_14default_configE6__halfN2at4cuda3cub6detail10OpaqueTypeILi8EEEEELb1EPKS5_PS5_PKSB_PSB_mNS0_19identity_decomposerEEEvT1_T2_T3_T4_jPT5_SP_PNS1_23onesweep_lookback_stateET6_jjj: ; @_ZN7rocprim17ROCPRIM_304000_NS6detail25onesweep_iteration_kernelINS1_34wrapped_radix_sort_onesweep_configINS0_14default_configE6__halfN2at4cuda3cub6detail10OpaqueTypeILi8EEEEELb1EPKS5_PS5_PKSB_PSB_mNS0_19identity_decomposerEEEvT1_T2_T3_T4_jPT5_SP_PNS1_23onesweep_lookback_stateET6_jjj
; %bb.0:
	s_load_dwordx8 s[56:63], s[4:5], 0x0
	s_load_dwordx4 s[68:71], s[4:5], 0x44
	s_load_dwordx4 s[64:67], s[4:5], 0x28
	s_load_dwordx2 s[72:73], s[4:5], 0x38
	s_mov_b32 s7, s6
	s_mov_b64 s[0:1], -1
	s_waitcnt lgkmcnt(0)
	s_cmp_ge_u32 s6, s70
	s_mul_i32 s54, s6, 0xc00
	v_mbcnt_lo_u32_b32 v29, -1, 0
	s_cbranch_scc0 .LBB191_152
; %bb.1:
	s_load_dword s2, s[4:5], 0x20
	s_mulk_i32 s70, 0xf400
	s_mov_b32 s55, 0
	s_lshl_b64 s[0:1], s[54:55], 1
	v_mbcnt_hi_u32_b32 v9, -1, v29
	s_waitcnt lgkmcnt(0)
	s_add_i32 s70, s70, s2
	s_add_u32 s0, s56, s0
	s_addc_u32 s1, s57, s1
	v_and_b32_e32 v7, 0xc0, v0
	v_lshlrev_b32_e32 v3, 1, v9
	v_mul_u32_u24_e32 v10, 12, v7
	v_mov_b32_e32 v4, s1
	v_add_co_u32_e32 v3, vcc, s0, v3
	v_addc_co_u32_e32 v4, vcc, 0, v4, vcc
	v_lshlrev_b32_e32 v5, 1, v10
	v_add_co_u32_e32 v3, vcc, v3, v5
	v_addc_co_u32_e32 v4, vcc, 0, v4, vcc
	v_or_b32_e32 v8, v9, v10
	v_cmp_gt_u32_e32 vcc, s70, v8
	v_mov_b32_e32 v13, -1
	v_mov_b32_e32 v5, -1
	s_and_saveexec_b64 s[0:1], vcc
	s_cbranch_execz .LBB191_3
; %bb.2:
	global_load_ushort v5, v[3:4], off
.LBB191_3:
	s_or_b64 exec, exec, s[0:1]
	v_add_u32_e32 v6, 64, v8
	v_cmp_gt_u32_e64 s[0:1], s70, v6
	s_and_saveexec_b64 s[2:3], s[0:1]
	s_cbranch_execz .LBB191_5
; %bb.4:
	global_load_ushort v13, v[3:4], off offset:128
.LBB191_5:
	s_or_b64 exec, exec, s[2:3]
	v_add_u32_e32 v6, 0x80, v8
	v_cmp_gt_u32_e64 s[2:3], s70, v6
	v_mov_b32_e32 v22, -1
	v_mov_b32_e32 v18, -1
	s_and_saveexec_b64 s[8:9], s[2:3]
	s_cbranch_execz .LBB191_7
; %bb.6:
	global_load_ushort v18, v[3:4], off offset:256
.LBB191_7:
	s_or_b64 exec, exec, s[8:9]
	v_add_u32_e32 v6, 0xc0, v8
	v_cmp_gt_u32_e64 s[50:51], s70, v6
	s_and_saveexec_b64 s[8:9], s[50:51]
	s_cbranch_execz .LBB191_9
; %bb.8:
	global_load_ushort v22, v[3:4], off offset:384
.LBB191_9:
	s_or_b64 exec, exec, s[8:9]
	v_add_u32_e32 v6, 0x100, v8
	v_cmp_gt_u32_e64 s[8:9], s70, v6
	v_mov_b32_e32 v36, -1
	v_mov_b32_e32 v31, -1
	s_and_saveexec_b64 s[10:11], s[8:9]
	s_cbranch_execz .LBB191_11
; %bb.10:
	global_load_ushort v31, v[3:4], off offset:512
.LBB191_11:
	;; [unrolled: 18-line block ×5, first 2 shown]
	s_or_b64 exec, exec, s[10:11]
	v_add_u32_e32 v8, 0x2c0, v8
	v_cmp_gt_u32_e64 s[10:11], s70, v8
	s_and_saveexec_b64 s[24:25], s[10:11]
	s_cbranch_execz .LBB191_25
; %bb.24:
	global_load_ushort v6, v[3:4], off offset:1408
.LBB191_25:
	s_or_b64 exec, exec, s[24:25]
	s_load_dword s24, s[4:5], 0x5c
	s_load_dword s33, s[4:5], 0x50
	s_add_u32 s25, s4, 0x50
	s_addc_u32 s26, s5, 0
	v_mov_b32_e32 v3, 0
	s_waitcnt lgkmcnt(0)
	s_lshr_b32 s27, s24, 16
	s_cmp_lt_u32 s6, s33
	s_cselect_b32 s24, 12, 18
	s_add_u32 s24, s25, s24
	s_addc_u32 s25, s26, 0
	global_load_ushort v12, v3, s[24:25]
	v_mov_b32_e32 v15, 0x7fff
	s_waitcnt vmcnt(1)
	v_cmp_gt_i16_e64 s[24:25], 0, v5
	v_cndmask_b32_e64 v4, v15, 0, s[24:25]
	s_movk_i32 s28, 0x8000
	v_xor_b32_e32 v8, v4, v5
	v_cmp_ne_u16_e64 s[24:25], s28, v8
	v_cndmask_b32_e64 v4, v15, v8, s[24:25]
	s_lshl_b32 s24, -1, s69
	v_lshrrev_b32_sdwa v4, s68, v4 dst_sel:DWORD dst_unused:UNUSED_PAD src0_sel:DWORD src1_sel:WORD_0
	s_not_b32 s74, s24
	v_and_b32_e32 v14, s74, v4
	v_and_b32_e32 v16, 1, v14
	v_add_co_u32_e64 v17, s[24:25], -1, v16
	v_lshlrev_b32_e32 v4, 30, v14
	v_addc_co_u32_e64 v19, s[24:25], 0, -1, s[24:25]
	v_mad_u32_u24 v5, v2, s27, v1
	v_cmp_ne_u32_e64 s[24:25], 0, v16
	v_cmp_gt_i64_e64 s[26:27], 0, v[3:4]
	v_not_b32_e32 v16, v4
	v_lshlrev_b32_e32 v4, 29, v14
	v_xor_b32_e32 v19, s25, v19
	v_xor_b32_e32 v17, s24, v17
	v_ashrrev_i32_e32 v16, 31, v16
	v_cmp_gt_i64_e64 s[24:25], 0, v[3:4]
	v_not_b32_e32 v20, v4
	v_lshlrev_b32_e32 v4, 28, v14
	v_and_b32_e32 v19, exec_hi, v19
	v_and_b32_e32 v17, exec_lo, v17
	v_xor_b32_e32 v23, s27, v16
	v_xor_b32_e32 v16, s26, v16
	v_ashrrev_i32_e32 v20, 31, v20
	v_cmp_gt_i64_e64 s[26:27], 0, v[3:4]
	v_not_b32_e32 v24, v4
	v_lshlrev_b32_e32 v4, 27, v14
	v_and_b32_e32 v19, v19, v23
	v_and_b32_e32 v16, v17, v16
	v_xor_b32_e32 v17, s25, v20
	v_xor_b32_e32 v20, s24, v20
	v_ashrrev_i32_e32 v23, 31, v24
	v_cmp_gt_i64_e64 s[24:25], 0, v[3:4]
	v_not_b32_e32 v24, v4
	v_lshlrev_b32_e32 v4, 26, v14
	v_and_b32_e32 v17, v19, v17
	v_and_b32_e32 v16, v16, v20
	;; [unrolled: 8-line block ×4, first 2 shown]
	v_xor_b32_e32 v19, s27, v23
	v_xor_b32_e32 v20, s26, v23
	v_ashrrev_i32_e32 v23, 31, v24
	v_cmp_gt_i64_e64 s[26:27], 0, v[3:4]
	v_not_b32_e32 v24, v4
	v_and_b32_e32 v17, v17, v19
	v_and_b32_e32 v16, v16, v20
	v_xor_b32_e32 v19, s25, v23
	v_xor_b32_e32 v20, s24, v23
	v_and_b32_e32 v16, v16, v20
	v_mul_u32_u24_e32 v11, 20, v0
	ds_write2_b32 v11, v3, v3 offset0:4 offset1:5
	ds_write2_b32 v11, v3, v3 offset0:6 offset1:7
	ds_write_b32 v11, v3 offset:32
	s_waitcnt vmcnt(0) lgkmcnt(0)
	s_barrier
	; wave barrier
	v_mad_u64_u32 v[4:5], s[24:25], v5, v12, v[0:1]
	v_ashrrev_i32_e32 v5, 31, v24
	v_and_b32_e32 v12, v17, v19
	v_lshrrev_b32_e32 v4, 6, v4
	v_lshlrev_b32_e32 v24, 2, v4
	v_xor_b32_e32 v4, s27, v5
	v_xor_b32_e32 v17, s26, v5
	v_and_b32_e32 v5, v12, v4
	v_and_b32_e32 v4, v16, v17
	v_mbcnt_lo_u32_b32 v12, v4, 0
	v_mbcnt_hi_u32_b32 v12, v5, v12
	v_cmp_ne_u64_e64 s[24:25], 0, v[4:5]
	v_cmp_eq_u32_e64 s[26:27], 0, v12
	v_mad_u32_u24 v14, v14, 20, v24
	s_and_b64 s[26:27], s[24:25], s[26:27]
	s_and_saveexec_b64 s[24:25], s[26:27]
; %bb.26:
	v_bcnt_u32_b32 v4, v4, 0
	v_bcnt_u32_b32 v4, v5, v4
	ds_write_b32 v14, v4 offset:16
; %bb.27:
	s_or_b64 exec, exec, s[24:25]
	v_cmp_gt_i16_e64 s[24:25], 0, v13
	v_cndmask_b32_e64 v4, v15, 0, s[24:25]
	v_xor_b32_e32 v13, v4, v13
	v_cmp_ne_u16_e64 s[24:25], s28, v13
	v_cndmask_b32_e64 v4, v15, v13, s[24:25]
	v_lshrrev_b32_sdwa v4, s68, v4 dst_sel:DWORD dst_unused:UNUSED_PAD src0_sel:DWORD src1_sel:WORD_0
	v_and_b32_e32 v5, s74, v4
	v_and_b32_e32 v4, 1, v5
	v_add_co_u32_e64 v17, s[24:25], -1, v4
	v_addc_co_u32_e64 v19, s[24:25], 0, -1, s[24:25]
	v_cmp_ne_u32_e64 s[24:25], 0, v4
	v_xor_b32_e32 v4, s25, v19
	v_and_b32_e32 v19, exec_hi, v4
	v_lshlrev_b32_e32 v4, 30, v5
	v_xor_b32_e32 v17, s24, v17
	v_cmp_gt_i64_e64 s[24:25], 0, v[3:4]
	v_not_b32_e32 v4, v4
	v_ashrrev_i32_e32 v4, 31, v4
	v_and_b32_e32 v17, exec_lo, v17
	v_xor_b32_e32 v20, s25, v4
	v_xor_b32_e32 v4, s24, v4
	v_and_b32_e32 v17, v17, v4
	v_lshlrev_b32_e32 v4, 29, v5
	v_cmp_gt_i64_e64 s[24:25], 0, v[3:4]
	v_not_b32_e32 v4, v4
	v_ashrrev_i32_e32 v4, 31, v4
	v_and_b32_e32 v19, v19, v20
	v_xor_b32_e32 v20, s25, v4
	v_xor_b32_e32 v4, s24, v4
	v_and_b32_e32 v17, v17, v4
	v_lshlrev_b32_e32 v4, 28, v5
	v_cmp_gt_i64_e64 s[24:25], 0, v[3:4]
	v_not_b32_e32 v4, v4
	v_ashrrev_i32_e32 v4, 31, v4
	v_and_b32_e32 v19, v19, v20
	;; [unrolled: 8-line block ×5, first 2 shown]
	v_xor_b32_e32 v20, s25, v4
	v_xor_b32_e32 v4, s24, v4
	v_and_b32_e32 v17, v17, v4
	v_lshlrev_b32_e32 v4, 24, v5
	v_cmp_gt_i64_e64 s[24:25], 0, v[3:4]
	v_not_b32_e32 v3, v4
	v_ashrrev_i32_e32 v3, 31, v3
	v_mad_u32_u24 v16, v5, 20, v24
	v_xor_b32_e32 v4, s25, v3
	v_xor_b32_e32 v3, s24, v3
	; wave barrier
	ds_read_b32 v15, v16 offset:16
	v_and_b32_e32 v19, v19, v20
	v_and_b32_e32 v3, v17, v3
	;; [unrolled: 1-line block ×3, first 2 shown]
	v_mbcnt_lo_u32_b32 v5, v3, 0
	v_mbcnt_hi_u32_b32 v17, v4, v5
	v_cmp_ne_u64_e64 s[24:25], 0, v[3:4]
	v_cmp_eq_u32_e64 s[26:27], 0, v17
	s_and_b64 s[26:27], s[24:25], s[26:27]
	; wave barrier
	s_and_saveexec_b64 s[24:25], s[26:27]
	s_cbranch_execz .LBB191_29
; %bb.28:
	v_bcnt_u32_b32 v3, v3, 0
	v_bcnt_u32_b32 v3, v4, v3
	s_waitcnt lgkmcnt(0)
	v_add_u32_e32 v3, v15, v3
	ds_write_b32 v16, v3 offset:16
.LBB191_29:
	s_or_b64 exec, exec, s[24:25]
	v_mov_b32_e32 v25, 0x7fff
	v_cmp_gt_i16_e64 s[24:25], 0, v18
	v_cndmask_b32_e64 v3, v25, 0, s[24:25]
	v_xor_b32_e32 v18, v3, v18
	v_cmp_ne_u16_e64 s[24:25], s28, v18
	v_cndmask_b32_e64 v3, v25, v18, s[24:25]
	v_lshrrev_b32_sdwa v3, s68, v3 dst_sel:DWORD dst_unused:UNUSED_PAD src0_sel:DWORD src1_sel:WORD_0
	v_and_b32_e32 v5, s74, v3
	v_and_b32_e32 v4, 1, v5
	v_add_co_u32_e64 v23, s[24:25], -1, v4
	v_addc_co_u32_e64 v27, s[24:25], 0, -1, s[24:25]
	v_cmp_ne_u32_e64 s[24:25], 0, v4
	v_xor_b32_e32 v4, s25, v27
	v_mov_b32_e32 v3, 0
	v_and_b32_e32 v27, exec_hi, v4
	v_lshlrev_b32_e32 v4, 30, v5
	v_xor_b32_e32 v23, s24, v23
	v_cmp_gt_i64_e64 s[24:25], 0, v[3:4]
	v_not_b32_e32 v4, v4
	v_ashrrev_i32_e32 v4, 31, v4
	v_and_b32_e32 v23, exec_lo, v23
	v_xor_b32_e32 v28, s25, v4
	v_xor_b32_e32 v4, s24, v4
	v_and_b32_e32 v23, v23, v4
	v_lshlrev_b32_e32 v4, 29, v5
	v_cmp_gt_i64_e64 s[24:25], 0, v[3:4]
	v_not_b32_e32 v4, v4
	v_ashrrev_i32_e32 v4, 31, v4
	v_and_b32_e32 v27, v27, v28
	v_xor_b32_e32 v28, s25, v4
	v_xor_b32_e32 v4, s24, v4
	v_and_b32_e32 v23, v23, v4
	v_lshlrev_b32_e32 v4, 28, v5
	v_cmp_gt_i64_e64 s[24:25], 0, v[3:4]
	v_not_b32_e32 v4, v4
	v_ashrrev_i32_e32 v4, 31, v4
	v_and_b32_e32 v27, v27, v28
	;; [unrolled: 8-line block ×5, first 2 shown]
	v_xor_b32_e32 v28, s25, v4
	v_xor_b32_e32 v4, s24, v4
	v_and_b32_e32 v23, v23, v4
	v_lshlrev_b32_e32 v4, 24, v5
	v_cmp_gt_i64_e64 s[24:25], 0, v[3:4]
	v_not_b32_e32 v4, v4
	v_ashrrev_i32_e32 v4, 31, v4
	v_mad_u32_u24 v20, v5, 20, v24
	v_xor_b32_e32 v5, s25, v4
	v_xor_b32_e32 v4, s24, v4
	; wave barrier
	ds_read_b32 v19, v20 offset:16
	v_and_b32_e32 v27, v27, v28
	v_and_b32_e32 v4, v23, v4
	;; [unrolled: 1-line block ×3, first 2 shown]
	v_mbcnt_lo_u32_b32 v23, v4, 0
	v_mbcnt_hi_u32_b32 v23, v5, v23
	v_cmp_ne_u64_e64 s[24:25], 0, v[4:5]
	v_cmp_eq_u32_e64 s[26:27], 0, v23
	s_and_b64 s[26:27], s[24:25], s[26:27]
	; wave barrier
	s_and_saveexec_b64 s[24:25], s[26:27]
	s_cbranch_execz .LBB191_31
; %bb.30:
	v_bcnt_u32_b32 v4, v4, 0
	v_bcnt_u32_b32 v4, v5, v4
	s_waitcnt lgkmcnt(0)
	v_add_u32_e32 v4, v19, v4
	ds_write_b32 v20, v4 offset:16
.LBB191_31:
	s_or_b64 exec, exec, s[24:25]
	v_cmp_gt_i16_e64 s[24:25], 0, v22
	v_cndmask_b32_e64 v4, v25, 0, s[24:25]
	v_xor_b32_e32 v22, v4, v22
	v_cmp_ne_u16_e64 s[24:25], s28, v22
	v_cndmask_b32_e64 v4, v25, v22, s[24:25]
	v_lshrrev_b32_sdwa v4, s68, v4 dst_sel:DWORD dst_unused:UNUSED_PAD src0_sel:DWORD src1_sel:WORD_0
	v_and_b32_e32 v5, s74, v4
	v_and_b32_e32 v4, 1, v5
	v_add_co_u32_e64 v28, s[24:25], -1, v4
	v_addc_co_u32_e64 v32, s[24:25], 0, -1, s[24:25]
	v_cmp_ne_u32_e64 s[24:25], 0, v4
	v_xor_b32_e32 v4, s25, v32
	v_and_b32_e32 v32, exec_hi, v4
	v_lshlrev_b32_e32 v4, 30, v5
	v_xor_b32_e32 v28, s24, v28
	v_cmp_gt_i64_e64 s[24:25], 0, v[3:4]
	v_not_b32_e32 v4, v4
	v_ashrrev_i32_e32 v4, 31, v4
	v_and_b32_e32 v28, exec_lo, v28
	v_xor_b32_e32 v33, s25, v4
	v_xor_b32_e32 v4, s24, v4
	v_and_b32_e32 v28, v28, v4
	v_lshlrev_b32_e32 v4, 29, v5
	v_cmp_gt_i64_e64 s[24:25], 0, v[3:4]
	v_not_b32_e32 v4, v4
	v_ashrrev_i32_e32 v4, 31, v4
	v_and_b32_e32 v32, v32, v33
	v_xor_b32_e32 v33, s25, v4
	v_xor_b32_e32 v4, s24, v4
	v_and_b32_e32 v28, v28, v4
	v_lshlrev_b32_e32 v4, 28, v5
	v_cmp_gt_i64_e64 s[24:25], 0, v[3:4]
	v_not_b32_e32 v4, v4
	v_ashrrev_i32_e32 v4, 31, v4
	v_and_b32_e32 v32, v32, v33
	;; [unrolled: 8-line block ×5, first 2 shown]
	v_xor_b32_e32 v33, s25, v4
	v_xor_b32_e32 v4, s24, v4
	v_and_b32_e32 v28, v28, v4
	v_lshlrev_b32_e32 v4, 24, v5
	v_cmp_gt_i64_e64 s[24:25], 0, v[3:4]
	v_not_b32_e32 v3, v4
	v_ashrrev_i32_e32 v3, 31, v3
	v_mad_u32_u24 v27, v5, 20, v24
	v_xor_b32_e32 v4, s25, v3
	v_xor_b32_e32 v3, s24, v3
	; wave barrier
	ds_read_b32 v25, v27 offset:16
	v_and_b32_e32 v32, v32, v33
	v_and_b32_e32 v3, v28, v3
	;; [unrolled: 1-line block ×3, first 2 shown]
	v_mbcnt_lo_u32_b32 v5, v3, 0
	v_mbcnt_hi_u32_b32 v28, v4, v5
	v_cmp_ne_u64_e64 s[24:25], 0, v[3:4]
	v_cmp_eq_u32_e64 s[26:27], 0, v28
	s_and_b64 s[26:27], s[24:25], s[26:27]
	; wave barrier
	s_and_saveexec_b64 s[24:25], s[26:27]
	s_cbranch_execz .LBB191_33
; %bb.32:
	v_bcnt_u32_b32 v3, v3, 0
	v_bcnt_u32_b32 v3, v4, v3
	s_waitcnt lgkmcnt(0)
	v_add_u32_e32 v3, v25, v3
	ds_write_b32 v27, v3 offset:16
.LBB191_33:
	s_or_b64 exec, exec, s[24:25]
	v_mov_b32_e32 v37, 0x7fff
	v_cmp_gt_i16_e64 s[24:25], 0, v31
	v_cndmask_b32_e64 v3, v37, 0, s[24:25]
	v_xor_b32_e32 v31, v3, v31
	v_cmp_ne_u16_e64 s[24:25], s28, v31
	v_cndmask_b32_e64 v3, v37, v31, s[24:25]
	v_lshrrev_b32_sdwa v3, s68, v3 dst_sel:DWORD dst_unused:UNUSED_PAD src0_sel:DWORD src1_sel:WORD_0
	v_and_b32_e32 v5, s74, v3
	v_and_b32_e32 v4, 1, v5
	v_add_co_u32_e64 v34, s[24:25], -1, v4
	v_addc_co_u32_e64 v38, s[24:25], 0, -1, s[24:25]
	v_cmp_ne_u32_e64 s[24:25], 0, v4
	v_xor_b32_e32 v4, s25, v38
	v_mov_b32_e32 v3, 0
	v_and_b32_e32 v38, exec_hi, v4
	v_lshlrev_b32_e32 v4, 30, v5
	v_xor_b32_e32 v34, s24, v34
	v_cmp_gt_i64_e64 s[24:25], 0, v[3:4]
	v_not_b32_e32 v4, v4
	v_ashrrev_i32_e32 v4, 31, v4
	v_and_b32_e32 v34, exec_lo, v34
	v_xor_b32_e32 v40, s25, v4
	v_xor_b32_e32 v4, s24, v4
	v_and_b32_e32 v34, v34, v4
	v_lshlrev_b32_e32 v4, 29, v5
	v_cmp_gt_i64_e64 s[24:25], 0, v[3:4]
	v_not_b32_e32 v4, v4
	v_ashrrev_i32_e32 v4, 31, v4
	v_and_b32_e32 v38, v38, v40
	v_xor_b32_e32 v40, s25, v4
	v_xor_b32_e32 v4, s24, v4
	v_and_b32_e32 v34, v34, v4
	v_lshlrev_b32_e32 v4, 28, v5
	v_cmp_gt_i64_e64 s[24:25], 0, v[3:4]
	v_not_b32_e32 v4, v4
	v_ashrrev_i32_e32 v4, 31, v4
	v_and_b32_e32 v38, v38, v40
	;; [unrolled: 8-line block ×5, first 2 shown]
	v_xor_b32_e32 v40, s25, v4
	v_xor_b32_e32 v4, s24, v4
	v_and_b32_e32 v34, v34, v4
	v_lshlrev_b32_e32 v4, 24, v5
	v_cmp_gt_i64_e64 s[24:25], 0, v[3:4]
	v_not_b32_e32 v4, v4
	v_ashrrev_i32_e32 v4, 31, v4
	v_mad_u32_u24 v33, v5, 20, v24
	v_xor_b32_e32 v5, s25, v4
	v_xor_b32_e32 v4, s24, v4
	; wave barrier
	ds_read_b32 v32, v33 offset:16
	v_and_b32_e32 v38, v38, v40
	v_and_b32_e32 v4, v34, v4
	;; [unrolled: 1-line block ×3, first 2 shown]
	v_mbcnt_lo_u32_b32 v34, v4, 0
	v_mbcnt_hi_u32_b32 v34, v5, v34
	v_cmp_ne_u64_e64 s[24:25], 0, v[4:5]
	v_cmp_eq_u32_e64 s[26:27], 0, v34
	s_and_b64 s[26:27], s[24:25], s[26:27]
	; wave barrier
	s_and_saveexec_b64 s[24:25], s[26:27]
	s_cbranch_execz .LBB191_35
; %bb.34:
	v_bcnt_u32_b32 v4, v4, 0
	v_bcnt_u32_b32 v4, v5, v4
	s_waitcnt lgkmcnt(0)
	v_add_u32_e32 v4, v32, v4
	ds_write_b32 v33, v4 offset:16
.LBB191_35:
	s_or_b64 exec, exec, s[24:25]
	v_cmp_gt_i16_e64 s[24:25], 0, v36
	v_cndmask_b32_e64 v4, v37, 0, s[24:25]
	v_xor_b32_e32 v45, v4, v36
	v_cmp_ne_u16_e64 s[24:25], s28, v45
	v_cndmask_b32_e64 v4, v37, v45, s[24:25]
	v_lshrrev_b32_sdwa v4, s68, v4 dst_sel:DWORD dst_unused:UNUSED_PAD src0_sel:DWORD src1_sel:WORD_0
	v_and_b32_e32 v5, s74, v4
	v_and_b32_e32 v4, 1, v5
	v_add_co_u32_e64 v38, s[24:25], -1, v4
	v_addc_co_u32_e64 v40, s[24:25], 0, -1, s[24:25]
	v_cmp_ne_u32_e64 s[24:25], 0, v4
	v_xor_b32_e32 v4, s25, v40
	v_and_b32_e32 v40, exec_hi, v4
	v_lshlrev_b32_e32 v4, 30, v5
	v_xor_b32_e32 v38, s24, v38
	v_cmp_gt_i64_e64 s[24:25], 0, v[3:4]
	v_not_b32_e32 v4, v4
	v_ashrrev_i32_e32 v4, 31, v4
	v_and_b32_e32 v38, exec_lo, v38
	v_xor_b32_e32 v41, s25, v4
	v_xor_b32_e32 v4, s24, v4
	v_and_b32_e32 v38, v38, v4
	v_lshlrev_b32_e32 v4, 29, v5
	v_cmp_gt_i64_e64 s[24:25], 0, v[3:4]
	v_not_b32_e32 v4, v4
	v_ashrrev_i32_e32 v4, 31, v4
	v_and_b32_e32 v40, v40, v41
	v_xor_b32_e32 v41, s25, v4
	v_xor_b32_e32 v4, s24, v4
	v_and_b32_e32 v38, v38, v4
	v_lshlrev_b32_e32 v4, 28, v5
	v_cmp_gt_i64_e64 s[24:25], 0, v[3:4]
	v_not_b32_e32 v4, v4
	v_ashrrev_i32_e32 v4, 31, v4
	v_and_b32_e32 v40, v40, v41
	;; [unrolled: 8-line block ×5, first 2 shown]
	v_xor_b32_e32 v41, s25, v4
	v_xor_b32_e32 v4, s24, v4
	v_and_b32_e32 v38, v38, v4
	v_lshlrev_b32_e32 v4, 24, v5
	v_cmp_gt_i64_e64 s[24:25], 0, v[3:4]
	v_not_b32_e32 v3, v4
	v_ashrrev_i32_e32 v3, 31, v3
	v_mad_u32_u24 v37, v5, 20, v24
	v_xor_b32_e32 v4, s25, v3
	v_xor_b32_e32 v3, s24, v3
	; wave barrier
	ds_read_b32 v36, v37 offset:16
	v_and_b32_e32 v40, v40, v41
	v_and_b32_e32 v3, v38, v3
	;; [unrolled: 1-line block ×3, first 2 shown]
	v_mbcnt_lo_u32_b32 v5, v3, 0
	v_mbcnt_hi_u32_b32 v38, v4, v5
	v_cmp_ne_u64_e64 s[24:25], 0, v[3:4]
	v_cmp_eq_u32_e64 s[26:27], 0, v38
	s_and_b64 s[26:27], s[24:25], s[26:27]
	; wave barrier
	s_and_saveexec_b64 s[24:25], s[26:27]
	s_cbranch_execz .LBB191_37
; %bb.36:
	v_bcnt_u32_b32 v3, v3, 0
	v_bcnt_u32_b32 v3, v4, v3
	s_waitcnt lgkmcnt(0)
	v_add_u32_e32 v3, v36, v3
	ds_write_b32 v37, v3 offset:16
.LBB191_37:
	s_or_b64 exec, exec, s[24:25]
	v_mov_b32_e32 v40, 0x7fff
	v_cmp_gt_i16_e64 s[24:25], 0, v39
	v_cndmask_b32_e64 v3, v40, 0, s[24:25]
	v_xor_b32_e32 v46, v3, v39
	v_cmp_ne_u16_e64 s[24:25], s28, v46
	v_cndmask_b32_e64 v3, v40, v46, s[24:25]
	v_lshrrev_b32_sdwa v3, s68, v3 dst_sel:DWORD dst_unused:UNUSED_PAD src0_sel:DWORD src1_sel:WORD_0
	v_and_b32_e32 v5, s74, v3
	v_and_b32_e32 v4, 1, v5
	v_add_co_u32_e64 v41, s[24:25], -1, v4
	v_addc_co_u32_e64 v42, s[24:25], 0, -1, s[24:25]
	v_cmp_ne_u32_e64 s[24:25], 0, v4
	v_xor_b32_e32 v4, s25, v42
	v_mov_b32_e32 v3, 0
	v_and_b32_e32 v42, exec_hi, v4
	v_lshlrev_b32_e32 v4, 30, v5
	v_xor_b32_e32 v41, s24, v41
	v_cmp_gt_i64_e64 s[24:25], 0, v[3:4]
	v_not_b32_e32 v4, v4
	v_ashrrev_i32_e32 v4, 31, v4
	v_and_b32_e32 v41, exec_lo, v41
	v_xor_b32_e32 v43, s25, v4
	v_xor_b32_e32 v4, s24, v4
	v_and_b32_e32 v41, v41, v4
	v_lshlrev_b32_e32 v4, 29, v5
	v_cmp_gt_i64_e64 s[24:25], 0, v[3:4]
	v_not_b32_e32 v4, v4
	v_ashrrev_i32_e32 v4, 31, v4
	v_and_b32_e32 v42, v42, v43
	v_xor_b32_e32 v43, s25, v4
	v_xor_b32_e32 v4, s24, v4
	v_and_b32_e32 v41, v41, v4
	v_lshlrev_b32_e32 v4, 28, v5
	v_cmp_gt_i64_e64 s[24:25], 0, v[3:4]
	v_not_b32_e32 v4, v4
	v_ashrrev_i32_e32 v4, 31, v4
	v_and_b32_e32 v42, v42, v43
	;; [unrolled: 8-line block ×5, first 2 shown]
	v_xor_b32_e32 v43, s25, v4
	v_xor_b32_e32 v4, s24, v4
	v_and_b32_e32 v41, v41, v4
	v_lshlrev_b32_e32 v4, 24, v5
	v_cmp_gt_i64_e64 s[24:25], 0, v[3:4]
	v_not_b32_e32 v4, v4
	v_ashrrev_i32_e32 v4, 31, v4
	v_mad_u32_u24 v39, v5, 20, v24
	v_xor_b32_e32 v5, s25, v4
	v_xor_b32_e32 v4, s24, v4
	; wave barrier
	ds_read_b32 v47, v39 offset:16
	v_and_b32_e32 v42, v42, v43
	v_and_b32_e32 v4, v41, v4
	;; [unrolled: 1-line block ×3, first 2 shown]
	v_mbcnt_lo_u32_b32 v41, v4, 0
	v_mbcnt_hi_u32_b32 v49, v5, v41
	v_cmp_ne_u64_e64 s[24:25], 0, v[4:5]
	v_cmp_eq_u32_e64 s[26:27], 0, v49
	s_and_b64 s[26:27], s[24:25], s[26:27]
	; wave barrier
	s_and_saveexec_b64 s[24:25], s[26:27]
	s_cbranch_execz .LBB191_39
; %bb.38:
	v_bcnt_u32_b32 v4, v4, 0
	v_bcnt_u32_b32 v4, v5, v4
	s_waitcnt lgkmcnt(0)
	v_add_u32_e32 v4, v47, v4
	ds_write_b32 v39, v4 offset:16
.LBB191_39:
	s_or_b64 exec, exec, s[24:25]
	v_cmp_gt_i16_e64 s[24:25], 0, v35
	v_cndmask_b32_e64 v4, v40, 0, s[24:25]
	v_xor_b32_e32 v48, v4, v35
	v_cmp_ne_u16_e64 s[24:25], s28, v48
	v_cndmask_b32_e64 v4, v40, v48, s[24:25]
	v_lshrrev_b32_sdwa v4, s68, v4 dst_sel:DWORD dst_unused:UNUSED_PAD src0_sel:DWORD src1_sel:WORD_0
	v_and_b32_e32 v5, s74, v4
	v_and_b32_e32 v4, 1, v5
	v_add_co_u32_e64 v41, s[24:25], -1, v4
	v_addc_co_u32_e64 v42, s[24:25], 0, -1, s[24:25]
	v_cmp_ne_u32_e64 s[24:25], 0, v4
	v_xor_b32_e32 v4, s25, v42
	v_and_b32_e32 v42, exec_hi, v4
	v_lshlrev_b32_e32 v4, 30, v5
	v_xor_b32_e32 v41, s24, v41
	v_cmp_gt_i64_e64 s[24:25], 0, v[3:4]
	v_not_b32_e32 v4, v4
	v_ashrrev_i32_e32 v4, 31, v4
	v_and_b32_e32 v41, exec_lo, v41
	v_xor_b32_e32 v43, s25, v4
	v_xor_b32_e32 v4, s24, v4
	v_and_b32_e32 v41, v41, v4
	v_lshlrev_b32_e32 v4, 29, v5
	v_cmp_gt_i64_e64 s[24:25], 0, v[3:4]
	v_not_b32_e32 v4, v4
	v_ashrrev_i32_e32 v4, 31, v4
	v_and_b32_e32 v42, v42, v43
	v_xor_b32_e32 v43, s25, v4
	v_xor_b32_e32 v4, s24, v4
	v_and_b32_e32 v41, v41, v4
	v_lshlrev_b32_e32 v4, 28, v5
	v_cmp_gt_i64_e64 s[24:25], 0, v[3:4]
	v_not_b32_e32 v4, v4
	v_ashrrev_i32_e32 v4, 31, v4
	v_and_b32_e32 v42, v42, v43
	;; [unrolled: 8-line block ×5, first 2 shown]
	v_xor_b32_e32 v43, s25, v4
	v_xor_b32_e32 v4, s24, v4
	v_and_b32_e32 v41, v41, v4
	v_lshlrev_b32_e32 v4, 24, v5
	v_cmp_gt_i64_e64 s[24:25], 0, v[3:4]
	v_not_b32_e32 v3, v4
	v_ashrrev_i32_e32 v3, 31, v3
	v_mad_u32_u24 v40, v5, 20, v24
	v_xor_b32_e32 v4, s25, v3
	v_xor_b32_e32 v3, s24, v3
	; wave barrier
	ds_read_b32 v35, v40 offset:16
	v_and_b32_e32 v42, v42, v43
	v_and_b32_e32 v3, v41, v3
	;; [unrolled: 1-line block ×3, first 2 shown]
	v_mbcnt_lo_u32_b32 v5, v3, 0
	v_mbcnt_hi_u32_b32 v51, v4, v5
	v_cmp_ne_u64_e64 s[24:25], 0, v[3:4]
	v_cmp_eq_u32_e64 s[26:27], 0, v51
	s_and_b64 s[26:27], s[24:25], s[26:27]
	; wave barrier
	s_and_saveexec_b64 s[24:25], s[26:27]
	s_cbranch_execz .LBB191_41
; %bb.40:
	v_bcnt_u32_b32 v3, v3, 0
	v_bcnt_u32_b32 v3, v4, v3
	s_waitcnt lgkmcnt(0)
	v_add_u32_e32 v3, v35, v3
	ds_write_b32 v40, v3 offset:16
.LBB191_41:
	s_or_b64 exec, exec, s[24:25]
	v_mov_b32_e32 v41, 0x7fff
	v_cmp_gt_i16_e64 s[24:25], 0, v30
	v_cndmask_b32_e64 v3, v41, 0, s[24:25]
	v_xor_b32_e32 v50, v3, v30
	v_cmp_ne_u16_e64 s[24:25], s28, v50
	v_cndmask_b32_e64 v3, v41, v50, s[24:25]
	v_lshrrev_b32_sdwa v3, s68, v3 dst_sel:DWORD dst_unused:UNUSED_PAD src0_sel:DWORD src1_sel:WORD_0
	v_and_b32_e32 v5, s74, v3
	v_and_b32_e32 v4, 1, v5
	v_add_co_u32_e64 v42, s[24:25], -1, v4
	v_addc_co_u32_e64 v43, s[24:25], 0, -1, s[24:25]
	v_cmp_ne_u32_e64 s[24:25], 0, v4
	v_xor_b32_e32 v4, s25, v43
	v_mov_b32_e32 v3, 0
	v_and_b32_e32 v43, exec_hi, v4
	v_lshlrev_b32_e32 v4, 30, v5
	v_xor_b32_e32 v42, s24, v42
	v_cmp_gt_i64_e64 s[24:25], 0, v[3:4]
	v_not_b32_e32 v4, v4
	v_ashrrev_i32_e32 v4, 31, v4
	v_and_b32_e32 v42, exec_lo, v42
	v_xor_b32_e32 v44, s25, v4
	v_xor_b32_e32 v4, s24, v4
	v_and_b32_e32 v42, v42, v4
	v_lshlrev_b32_e32 v4, 29, v5
	v_cmp_gt_i64_e64 s[24:25], 0, v[3:4]
	v_not_b32_e32 v4, v4
	v_ashrrev_i32_e32 v4, 31, v4
	v_and_b32_e32 v43, v43, v44
	v_xor_b32_e32 v44, s25, v4
	v_xor_b32_e32 v4, s24, v4
	v_and_b32_e32 v42, v42, v4
	v_lshlrev_b32_e32 v4, 28, v5
	v_cmp_gt_i64_e64 s[24:25], 0, v[3:4]
	v_not_b32_e32 v4, v4
	v_ashrrev_i32_e32 v4, 31, v4
	v_and_b32_e32 v43, v43, v44
	;; [unrolled: 8-line block ×5, first 2 shown]
	v_xor_b32_e32 v44, s25, v4
	v_xor_b32_e32 v4, s24, v4
	v_and_b32_e32 v42, v42, v4
	v_lshlrev_b32_e32 v4, 24, v5
	v_cmp_gt_i64_e64 s[24:25], 0, v[3:4]
	v_not_b32_e32 v4, v4
	v_ashrrev_i32_e32 v4, 31, v4
	v_mad_u32_u24 v30, v5, 20, v24
	v_xor_b32_e32 v5, s25, v4
	v_xor_b32_e32 v4, s24, v4
	; wave barrier
	ds_read_b32 v52, v30 offset:16
	v_and_b32_e32 v43, v43, v44
	v_and_b32_e32 v4, v42, v4
	;; [unrolled: 1-line block ×3, first 2 shown]
	v_mbcnt_lo_u32_b32 v42, v4, 0
	v_mbcnt_hi_u32_b32 v53, v5, v42
	v_cmp_ne_u64_e64 s[24:25], 0, v[4:5]
	v_cmp_eq_u32_e64 s[26:27], 0, v53
	s_and_b64 s[26:27], s[24:25], s[26:27]
	; wave barrier
	s_and_saveexec_b64 s[24:25], s[26:27]
	s_cbranch_execz .LBB191_43
; %bb.42:
	v_bcnt_u32_b32 v4, v4, 0
	v_bcnt_u32_b32 v4, v5, v4
	s_waitcnt lgkmcnt(0)
	v_add_u32_e32 v4, v52, v4
	ds_write_b32 v30, v4 offset:16
.LBB191_43:
	s_or_b64 exec, exec, s[24:25]
	v_cmp_gt_i16_e64 s[24:25], 0, v26
	v_cndmask_b32_e64 v4, v41, 0, s[24:25]
	v_xor_b32_e32 v26, v4, v26
	v_cmp_ne_u16_e64 s[24:25], s28, v26
	v_cndmask_b32_e64 v4, v41, v26, s[24:25]
	v_lshrrev_b32_sdwa v4, s68, v4 dst_sel:DWORD dst_unused:UNUSED_PAD src0_sel:DWORD src1_sel:WORD_0
	v_and_b32_e32 v5, s74, v4
	v_and_b32_e32 v4, 1, v5
	v_add_co_u32_e64 v42, s[24:25], -1, v4
	v_addc_co_u32_e64 v43, s[24:25], 0, -1, s[24:25]
	v_cmp_ne_u32_e64 s[24:25], 0, v4
	v_xor_b32_e32 v4, s25, v43
	v_and_b32_e32 v43, exec_hi, v4
	v_lshlrev_b32_e32 v4, 30, v5
	v_xor_b32_e32 v42, s24, v42
	v_cmp_gt_i64_e64 s[24:25], 0, v[3:4]
	v_not_b32_e32 v4, v4
	v_ashrrev_i32_e32 v4, 31, v4
	v_and_b32_e32 v42, exec_lo, v42
	v_xor_b32_e32 v44, s25, v4
	v_xor_b32_e32 v4, s24, v4
	v_and_b32_e32 v42, v42, v4
	v_lshlrev_b32_e32 v4, 29, v5
	v_cmp_gt_i64_e64 s[24:25], 0, v[3:4]
	v_not_b32_e32 v4, v4
	v_ashrrev_i32_e32 v4, 31, v4
	v_and_b32_e32 v43, v43, v44
	v_xor_b32_e32 v44, s25, v4
	v_xor_b32_e32 v4, s24, v4
	v_and_b32_e32 v42, v42, v4
	v_lshlrev_b32_e32 v4, 28, v5
	v_cmp_gt_i64_e64 s[24:25], 0, v[3:4]
	v_not_b32_e32 v4, v4
	v_ashrrev_i32_e32 v4, 31, v4
	v_and_b32_e32 v43, v43, v44
	;; [unrolled: 8-line block ×5, first 2 shown]
	v_xor_b32_e32 v44, s25, v4
	v_xor_b32_e32 v4, s24, v4
	v_and_b32_e32 v42, v42, v4
	v_lshlrev_b32_e32 v4, 24, v5
	v_cmp_gt_i64_e64 s[24:25], 0, v[3:4]
	v_not_b32_e32 v3, v4
	v_ashrrev_i32_e32 v3, 31, v3
	v_mad_u32_u24 v41, v5, 20, v24
	v_xor_b32_e32 v4, s25, v3
	v_xor_b32_e32 v3, s24, v3
	; wave barrier
	ds_read_b32 v54, v41 offset:16
	v_and_b32_e32 v43, v43, v44
	v_and_b32_e32 v3, v42, v3
	;; [unrolled: 1-line block ×3, first 2 shown]
	v_mbcnt_lo_u32_b32 v5, v3, 0
	v_mbcnt_hi_u32_b32 v55, v4, v5
	v_cmp_ne_u64_e64 s[24:25], 0, v[3:4]
	v_cmp_eq_u32_e64 s[26:27], 0, v55
	s_and_b64 s[26:27], s[24:25], s[26:27]
	; wave barrier
	s_and_saveexec_b64 s[24:25], s[26:27]
	s_cbranch_execz .LBB191_45
; %bb.44:
	v_bcnt_u32_b32 v3, v3, 0
	v_bcnt_u32_b32 v3, v4, v3
	s_waitcnt lgkmcnt(0)
	v_add_u32_e32 v3, v54, v3
	ds_write_b32 v41, v3 offset:16
.LBB191_45:
	s_or_b64 exec, exec, s[24:25]
	v_mov_b32_e32 v43, 0x7fff
	v_cmp_gt_i16_e64 s[24:25], 0, v21
	v_cndmask_b32_e64 v3, v43, 0, s[24:25]
	v_xor_b32_e32 v21, v3, v21
	v_cmp_ne_u16_e64 s[24:25], s28, v21
	v_cndmask_b32_e64 v3, v43, v21, s[24:25]
	v_lshrrev_b32_sdwa v3, s68, v3 dst_sel:DWORD dst_unused:UNUSED_PAD src0_sel:DWORD src1_sel:WORD_0
	v_and_b32_e32 v5, s74, v3
	v_and_b32_e32 v4, 1, v5
	v_add_co_u32_e64 v44, s[24:25], -1, v4
	v_addc_co_u32_e64 v57, s[24:25], 0, -1, s[24:25]
	v_cmp_ne_u32_e64 s[24:25], 0, v4
	v_xor_b32_e32 v4, s25, v57
	v_mov_b32_e32 v3, 0
	v_and_b32_e32 v57, exec_hi, v4
	v_lshlrev_b32_e32 v4, 30, v5
	v_xor_b32_e32 v44, s24, v44
	v_cmp_gt_i64_e64 s[24:25], 0, v[3:4]
	v_not_b32_e32 v4, v4
	v_ashrrev_i32_e32 v4, 31, v4
	v_and_b32_e32 v44, exec_lo, v44
	v_xor_b32_e32 v58, s25, v4
	v_xor_b32_e32 v4, s24, v4
	v_and_b32_e32 v44, v44, v4
	v_lshlrev_b32_e32 v4, 29, v5
	v_cmp_gt_i64_e64 s[24:25], 0, v[3:4]
	v_not_b32_e32 v4, v4
	v_ashrrev_i32_e32 v4, 31, v4
	v_and_b32_e32 v57, v57, v58
	v_xor_b32_e32 v58, s25, v4
	v_xor_b32_e32 v4, s24, v4
	v_and_b32_e32 v44, v44, v4
	v_lshlrev_b32_e32 v4, 28, v5
	v_cmp_gt_i64_e64 s[24:25], 0, v[3:4]
	v_not_b32_e32 v4, v4
	v_ashrrev_i32_e32 v4, 31, v4
	v_and_b32_e32 v57, v57, v58
	;; [unrolled: 8-line block ×5, first 2 shown]
	v_xor_b32_e32 v58, s25, v4
	v_xor_b32_e32 v4, s24, v4
	v_and_b32_e32 v44, v44, v4
	v_lshlrev_b32_e32 v4, 24, v5
	v_cmp_gt_i64_e64 s[24:25], 0, v[3:4]
	v_not_b32_e32 v4, v4
	v_ashrrev_i32_e32 v4, 31, v4
	v_mad_u32_u24 v42, v5, 20, v24
	v_xor_b32_e32 v5, s25, v4
	v_xor_b32_e32 v4, s24, v4
	; wave barrier
	ds_read_b32 v56, v42 offset:16
	v_and_b32_e32 v57, v57, v58
	v_and_b32_e32 v4, v44, v4
	;; [unrolled: 1-line block ×3, first 2 shown]
	v_mbcnt_lo_u32_b32 v44, v4, 0
	v_mbcnt_hi_u32_b32 v58, v5, v44
	v_cmp_ne_u64_e64 s[24:25], 0, v[4:5]
	v_cmp_eq_u32_e64 s[26:27], 0, v58
	s_and_b64 s[26:27], s[24:25], s[26:27]
	; wave barrier
	s_and_saveexec_b64 s[24:25], s[26:27]
	s_cbranch_execz .LBB191_47
; %bb.46:
	v_bcnt_u32_b32 v4, v4, 0
	v_bcnt_u32_b32 v4, v5, v4
	s_waitcnt lgkmcnt(0)
	v_add_u32_e32 v4, v56, v4
	ds_write_b32 v42, v4 offset:16
.LBB191_47:
	s_or_b64 exec, exec, s[24:25]
	v_cmp_gt_i16_e64 s[24:25], 0, v6
	v_cndmask_b32_e64 v4, v43, 0, s[24:25]
	v_xor_b32_e32 v57, v4, v6
	v_cmp_ne_u16_e64 s[24:25], s28, v57
	v_cndmask_b32_e64 v4, v43, v57, s[24:25]
	v_lshrrev_b32_sdwa v4, s68, v4 dst_sel:DWORD dst_unused:UNUSED_PAD src0_sel:DWORD src1_sel:WORD_0
	v_and_b32_e32 v5, s74, v4
	v_and_b32_e32 v4, 1, v5
	v_add_co_u32_e64 v6, s[24:25], -1, v4
	v_addc_co_u32_e64 v44, s[24:25], 0, -1, s[24:25]
	v_cmp_ne_u32_e64 s[24:25], 0, v4
	v_xor_b32_e32 v4, s25, v44
	v_and_b32_e32 v44, exec_hi, v4
	v_lshlrev_b32_e32 v4, 30, v5
	v_xor_b32_e32 v6, s24, v6
	v_cmp_gt_i64_e64 s[24:25], 0, v[3:4]
	v_not_b32_e32 v4, v4
	v_ashrrev_i32_e32 v4, 31, v4
	v_and_b32_e32 v6, exec_lo, v6
	v_xor_b32_e32 v59, s25, v4
	v_xor_b32_e32 v4, s24, v4
	v_and_b32_e32 v6, v6, v4
	v_lshlrev_b32_e32 v4, 29, v5
	v_cmp_gt_i64_e64 s[24:25], 0, v[3:4]
	v_not_b32_e32 v4, v4
	v_ashrrev_i32_e32 v4, 31, v4
	v_and_b32_e32 v44, v44, v59
	v_xor_b32_e32 v59, s25, v4
	v_xor_b32_e32 v4, s24, v4
	v_and_b32_e32 v6, v6, v4
	v_lshlrev_b32_e32 v4, 28, v5
	v_cmp_gt_i64_e64 s[24:25], 0, v[3:4]
	v_not_b32_e32 v4, v4
	v_ashrrev_i32_e32 v4, 31, v4
	v_and_b32_e32 v44, v44, v59
	;; [unrolled: 8-line block ×5, first 2 shown]
	v_xor_b32_e32 v59, s25, v4
	v_xor_b32_e32 v4, s24, v4
	v_and_b32_e32 v6, v6, v4
	v_lshlrev_b32_e32 v4, 24, v5
	v_cmp_gt_i64_e64 s[24:25], 0, v[3:4]
	v_not_b32_e32 v3, v4
	v_ashrrev_i32_e32 v3, 31, v3
	v_mad_u32_u24 v43, v5, 20, v24
	v_xor_b32_e32 v4, s25, v3
	v_xor_b32_e32 v3, s24, v3
	; wave barrier
	ds_read_b32 v24, v43 offset:16
	v_and_b32_e32 v44, v44, v59
	v_and_b32_e32 v3, v6, v3
	;; [unrolled: 1-line block ×3, first 2 shown]
	v_mbcnt_lo_u32_b32 v5, v3, 0
	v_mbcnt_hi_u32_b32 v59, v4, v5
	v_cmp_ne_u64_e64 s[24:25], 0, v[3:4]
	v_cmp_eq_u32_e64 s[26:27], 0, v59
	s_and_b64 s[26:27], s[24:25], s[26:27]
	; wave barrier
	s_and_saveexec_b64 s[24:25], s[26:27]
	s_cbranch_execz .LBB191_49
; %bb.48:
	v_bcnt_u32_b32 v3, v3, 0
	v_bcnt_u32_b32 v3, v4, v3
	s_waitcnt lgkmcnt(0)
	v_add_u32_e32 v3, v24, v3
	ds_write_b32 v43, v3 offset:16
.LBB191_49:
	s_or_b64 exec, exec, s[24:25]
	; wave barrier
	s_waitcnt lgkmcnt(0)
	s_barrier
	ds_read2_b32 v[5:6], v11 offset0:4 offset1:5
	ds_read2_b32 v[3:4], v11 offset0:6 offset1:7
	ds_read_b32 v44, v11 offset:32
	v_min_u32_e32 v7, 0xc0, v7
	v_or_b32_e32 v7, 63, v7
	s_waitcnt lgkmcnt(1)
	v_add3_u32 v60, v6, v5, v3
	s_waitcnt lgkmcnt(0)
	v_add3_u32 v44, v60, v4, v44
	v_and_b32_e32 v60, 15, v9
	v_cmp_ne_u32_e64 s[24:25], 0, v60
	v_mov_b32_dpp v61, v44 row_shr:1 row_mask:0xf bank_mask:0xf
	v_cndmask_b32_e64 v61, 0, v61, s[24:25]
	v_add_u32_e32 v44, v61, v44
	v_cmp_lt_u32_e64 s[24:25], 1, v60
	s_nop 0
	v_mov_b32_dpp v61, v44 row_shr:2 row_mask:0xf bank_mask:0xf
	v_cndmask_b32_e64 v61, 0, v61, s[24:25]
	v_add_u32_e32 v44, v44, v61
	v_cmp_lt_u32_e64 s[24:25], 3, v60
	s_nop 0
	;; [unrolled: 5-line block ×3, first 2 shown]
	v_mov_b32_dpp v61, v44 row_shr:8 row_mask:0xf bank_mask:0xf
	v_cndmask_b32_e64 v60, 0, v61, s[24:25]
	v_add_u32_e32 v44, v44, v60
	v_bfe_i32 v61, v9, 4, 1
	v_cmp_lt_u32_e64 s[24:25], 31, v9
	v_mov_b32_dpp v60, v44 row_bcast:15 row_mask:0xf bank_mask:0xf
	v_and_b32_e32 v60, v61, v60
	v_add_u32_e32 v44, v44, v60
	s_nop 1
	v_mov_b32_dpp v60, v44 row_bcast:31 row_mask:0xf bank_mask:0xf
	v_cndmask_b32_e64 v60, 0, v60, s[24:25]
	v_add_u32_e32 v44, v44, v60
	v_lshrrev_b32_e32 v60, 6, v0
	v_cmp_eq_u32_e64 s[24:25], v0, v7
	s_and_saveexec_b64 s[26:27], s[24:25]
; %bb.50:
	v_lshlrev_b32_e32 v7, 2, v60
	ds_write_b32 v7, v44
; %bb.51:
	s_or_b64 exec, exec, s[26:27]
	v_cmp_gt_u32_e64 s[24:25], 4, v0
	s_waitcnt lgkmcnt(0)
	s_barrier
	s_and_saveexec_b64 s[26:27], s[24:25]
	s_cbranch_execz .LBB191_53
; %bb.52:
	v_lshlrev_b32_e32 v7, 2, v0
	ds_read_b32 v61, v7
	v_and_b32_e32 v62, 3, v9
	v_cmp_ne_u32_e64 s[24:25], 0, v62
	s_waitcnt lgkmcnt(0)
	v_mov_b32_dpp v63, v61 row_shr:1 row_mask:0xf bank_mask:0xf
	v_cndmask_b32_e64 v63, 0, v63, s[24:25]
	v_add_u32_e32 v61, v63, v61
	v_cmp_lt_u32_e64 s[24:25], 1, v62
	s_nop 0
	v_mov_b32_dpp v63, v61 row_shr:2 row_mask:0xf bank_mask:0xf
	v_cndmask_b32_e64 v62, 0, v63, s[24:25]
	v_add_u32_e32 v61, v61, v62
	ds_write_b32 v7, v61
.LBB191_53:
	s_or_b64 exec, exec, s[26:27]
	v_cmp_lt_u32_e64 s[24:25], 63, v0
	v_mov_b32_e32 v7, 0
	s_waitcnt lgkmcnt(0)
	s_barrier
	s_and_saveexec_b64 s[26:27], s[24:25]
; %bb.54:
	v_lshl_add_u32 v7, v60, 2, -4
	ds_read_b32 v7, v7
; %bb.55:
	s_or_b64 exec, exec, s[26:27]
	v_add_u32_e32 v60, -1, v9
	v_and_b32_e32 v61, 64, v9
	v_cmp_lt_i32_e64 s[24:25], v60, v61
	v_cndmask_b32_e64 v60, v60, v9, s[24:25]
	s_waitcnt lgkmcnt(0)
	v_add_u32_e32 v44, v7, v44
	v_lshlrev_b32_e32 v60, 2, v60
	ds_bpermute_b32 v44, v60, v44
	v_cmp_eq_u32_e64 s[24:25], 0, v9
	s_waitcnt lgkmcnt(0)
	v_cndmask_b32_e64 v7, v44, v7, s[24:25]
	v_cmp_ne_u32_e64 s[24:25], 0, v0
	v_cndmask_b32_e64 v7, 0, v7, s[24:25]
	v_add_u32_e32 v5, v7, v5
	v_add_u32_e32 v6, v5, v6
	;; [unrolled: 1-line block ×4, first 2 shown]
	ds_write2_b32 v11, v7, v5 offset0:4 offset1:5
	ds_write2_b32 v11, v6, v3 offset0:6 offset1:7
	ds_write_b32 v11, v4 offset:32
	s_waitcnt lgkmcnt(0)
	s_barrier
	ds_read_b32 v4, v40 offset:16
	ds_read_b32 v5, v30 offset:16
	;; [unrolled: 1-line block ×13, first 2 shown]
	v_add_u32_e32 v11, 1, v0
	s_movk_i32 s24, 0x100
	v_cmp_ne_u32_e64 s[24:25], s24, v11
	v_mov_b32_e32 v3, 0xc00
	s_and_saveexec_b64 s[26:27], s[24:25]
; %bb.56:
	v_mul_u32_u24_e32 v3, 20, v11
	ds_read_b32 v3, v3 offset:16
; %bb.57:
	s_or_b64 exec, exec, s[26:27]
	s_waitcnt lgkmcnt(7)
	v_add_u32_e32 v44, v14, v12
	s_waitcnt lgkmcnt(6)
	v_add3_u32 v43, v17, v15, v16
	s_waitcnt lgkmcnt(2)
	v_add3_u32 v39, v38, v36, v37
	v_add3_u32 v37, v51, v35, v4
	v_lshlrev_b32_e32 v4, 1, v44
	v_add3_u32 v42, v23, v19, v20
	s_waitcnt lgkmcnt(0)
	s_barrier
	ds_write_b16 v4, v8 offset:2048
	v_lshlrev_b32_e32 v4, 1, v43
	v_add3_u32 v41, v28, v25, v27
	ds_write_b16 v4, v13 offset:2048
	v_lshlrev_b32_e32 v4, 1, v42
	v_add3_u32 v40, v34, v32, v33
	ds_write_b16 v4, v18 offset:2048
	v_lshlrev_b32_e32 v4, 1, v41
	ds_write_b16 v4, v22 offset:2048
	v_lshlrev_b32_e32 v4, 1, v40
	v_add3_u32 v38, v49, v47, v61
	ds_write_b16 v4, v31 offset:2048
	v_lshlrev_b32_e32 v4, 1, v39
	ds_write_b16 v4, v45 offset:2048
	v_lshlrev_b32_e32 v4, 1, v38
	v_add3_u32 v36, v53, v52, v5
	ds_write_b16 v4, v46 offset:2048
	v_lshlrev_b32_e32 v4, 1, v37
	v_add3_u32 v35, v55, v54, v6
	ds_write_b16 v4, v48 offset:2048
	v_lshlrev_b32_e32 v4, 1, v36
	v_add3_u32 v34, v58, v56, v7
	ds_write_b16 v4, v50 offset:2048
	v_lshlrev_b32_e32 v4, 1, v35
	;; [unrolled: 3-line block ×3, first 2 shown]
	ds_write_b16 v4, v21 offset:2048
	v_lshlrev_b32_e32 v4, 1, v33
	ds_write_b16 v4, v57 offset:2048
	v_sub_u32_e32 v31, v3, v30
	v_lshl_or_b32 v3, s6, 8, v0
	v_mov_b32_e32 v4, 0
	v_lshlrev_b64 v[5:6], 2, v[3:4]
	v_mov_b32_e32 v11, s73
	v_add_co_u32_e64 v5, s[24:25], s72, v5
	v_addc_co_u32_e64 v6, s[24:25], v11, v6, s[24:25]
	v_or_b32_e32 v3, 2.0, v31
	s_mov_b64 s[26:27], 0
	s_brev_b32 s34, -4
	s_mov_b32 s35, s7
	v_mov_b32_e32 v12, 0
	s_waitcnt lgkmcnt(0)
	s_barrier
	global_store_dword v[5:6], v3, off
                                        ; implicit-def: $sgpr24_sgpr25
	s_branch .LBB191_60
.LBB191_58:                             ;   in Loop: Header=BB191_60 Depth=1
	s_or_b64 exec, exec, s[30:31]
.LBB191_59:                             ;   in Loop: Header=BB191_60 Depth=1
	s_or_b64 exec, exec, s[28:29]
	v_and_b32_e32 v7, 0x3fffffff, v3
	v_add_u32_e32 v12, v7, v12
	v_cmp_gt_i32_e64 s[24:25], -2.0, v3
	s_and_b64 s[28:29], exec, s[24:25]
	s_or_b64 s[26:27], s[28:29], s[26:27]
	s_andn2_b64 exec, exec, s[26:27]
	s_cbranch_execz .LBB191_65
.LBB191_60:                             ; =>This Loop Header: Depth=1
                                        ;     Child Loop BB191_63 Depth 2
	s_or_b64 s[24:25], s[24:25], exec
	s_cmp_eq_u32 s35, 0
	s_cbranch_scc1 .LBB191_64
; %bb.61:                               ;   in Loop: Header=BB191_60 Depth=1
	s_add_i32 s35, s35, -1
	v_lshl_or_b32 v3, s35, 8, v0
	v_lshlrev_b64 v[7:8], 2, v[3:4]
	v_add_co_u32_e64 v7, s[24:25], s72, v7
	v_addc_co_u32_e64 v8, s[24:25], v11, v8, s[24:25]
	global_load_dword v3, v[7:8], off glc
	s_waitcnt vmcnt(0)
	v_cmp_gt_u32_e64 s[24:25], 2.0, v3
	s_and_saveexec_b64 s[28:29], s[24:25]
	s_cbranch_execz .LBB191_59
; %bb.62:                               ;   in Loop: Header=BB191_60 Depth=1
	s_mov_b64 s[30:31], 0
.LBB191_63:                             ;   Parent Loop BB191_60 Depth=1
                                        ; =>  This Inner Loop Header: Depth=2
	global_load_dword v3, v[7:8], off glc
	s_waitcnt vmcnt(0)
	v_cmp_lt_u32_e64 s[24:25], s34, v3
	s_or_b64 s[30:31], s[24:25], s[30:31]
	s_andn2_b64 exec, exec, s[30:31]
	s_cbranch_execnz .LBB191_63
	s_branch .LBB191_58
.LBB191_64:                             ;   in Loop: Header=BB191_60 Depth=1
                                        ; implicit-def: $sgpr35
	s_and_b64 s[28:29], exec, s[24:25]
	s_or_b64 s[26:27], s[28:29], s[26:27]
	s_andn2_b64 exec, exec, s[26:27]
	s_cbranch_execnz .LBB191_60
.LBB191_65:
	s_or_b64 exec, exec, s[26:27]
	v_add_u32_e32 v3, v12, v31
	v_or_b32_e32 v3, 0x80000000, v3
	v_lshlrev_b32_e32 v32, 3, v0
	global_store_dword v[5:6], v3, off
	global_load_dwordx2 v[3:4], v32, s[64:65]
	v_sub_co_u32_e64 v5, s[24:25], v12, v30
	v_subb_co_u32_e64 v6, s[24:25], 0, 0, s[24:25]
	s_waitcnt vmcnt(0)
	v_add_co_u32_e64 v3, s[24:25], v5, v3
	v_addc_co_u32_e64 v4, s[24:25], v6, v4, s[24:25]
	v_cmp_gt_u32_e64 s[24:25], s70, v0
	ds_write_b64 v32, v[3:4]
	s_waitcnt lgkmcnt(0)
	s_barrier
	s_and_saveexec_b64 s[28:29], s[24:25]
	s_cbranch_execz .LBB191_67
; %bb.66:
	v_mad_i32_i24 v3, v0, -6, v32
	ds_read_u16 v5, v3 offset:2048
	s_movk_i32 s26, 0x8000
	v_mov_b32_e32 v6, 0x7fff
	v_mov_b32_e32 v7, s59
	s_waitcnt lgkmcnt(0)
	v_cmp_ne_u16_e64 s[26:27], s26, v5
	v_cndmask_b32_e64 v3, v6, v5, s[26:27]
	v_lshrrev_b32_sdwa v3, s68, v3 dst_sel:DWORD dst_unused:UNUSED_PAD src0_sel:DWORD src1_sel:WORD_0
	v_and_b32_e32 v3, s74, v3
	v_lshlrev_b32_e32 v3, 3, v3
	ds_read_b64 v[3:4], v3
	v_cmp_gt_i16_e64 s[26:27], 0, v5
	v_cndmask_b32_e64 v6, v6, 0, s[26:27]
	v_xor_b32_e32 v5, v6, v5
	v_lshlrev_b32_e32 v6, 1, v0
	s_waitcnt lgkmcnt(0)
	v_lshlrev_b64 v[3:4], 1, v[3:4]
	v_add_co_u32_e64 v3, s[26:27], s58, v3
	v_addc_co_u32_e64 v4, s[26:27], v7, v4, s[26:27]
	v_add_co_u32_e64 v3, s[26:27], v3, v6
	v_addc_co_u32_e64 v4, s[26:27], 0, v4, s[26:27]
	global_store_short v[3:4], v5, off
.LBB191_67:
	s_or_b64 exec, exec, s[28:29]
	v_or_b32_e32 v3, 0x100, v0
	v_cmp_gt_u32_e64 s[26:27], s70, v3
	s_and_saveexec_b64 s[30:31], s[26:27]
	s_cbranch_execz .LBB191_69
; %bb.68:
	v_mad_i32_i24 v3, v0, -6, v32
	ds_read_u16 v5, v3 offset:2560
	s_movk_i32 s28, 0x8000
	v_mov_b32_e32 v6, 0x7fff
	v_mov_b32_e32 v7, s59
	s_waitcnt lgkmcnt(0)
	v_cmp_ne_u16_e64 s[28:29], s28, v5
	v_cndmask_b32_e64 v3, v6, v5, s[28:29]
	v_lshrrev_b32_sdwa v3, s68, v3 dst_sel:DWORD dst_unused:UNUSED_PAD src0_sel:DWORD src1_sel:WORD_0
	v_and_b32_e32 v3, s74, v3
	v_lshlrev_b32_e32 v3, 3, v3
	ds_read_b64 v[3:4], v3
	v_cmp_gt_i16_e64 s[28:29], 0, v5
	v_cndmask_b32_e64 v6, v6, 0, s[28:29]
	v_xor_b32_e32 v5, v6, v5
	v_lshlrev_b32_e32 v6, 1, v0
	s_waitcnt lgkmcnt(0)
	v_lshlrev_b64 v[3:4], 1, v[3:4]
	v_add_co_u32_e64 v3, s[28:29], s58, v3
	v_addc_co_u32_e64 v4, s[28:29], v7, v4, s[28:29]
	v_add_co_u32_e64 v3, s[28:29], v3, v6
	v_addc_co_u32_e64 v4, s[28:29], 0, v4, s[28:29]
	global_store_short v[3:4], v5, off offset:512
.LBB191_69:
	s_or_b64 exec, exec, s[30:31]
	v_or_b32_e32 v45, 0x200, v0
	v_cmp_gt_u32_e64 s[28:29], s70, v45
	s_and_saveexec_b64 s[34:35], s[28:29]
	s_cbranch_execz .LBB191_71
; %bb.70:
	v_mad_i32_i24 v3, v0, -6, v32
	ds_read_u16 v5, v3 offset:3072
	s_movk_i32 s30, 0x8000
	v_mov_b32_e32 v6, 0x7fff
	v_mov_b32_e32 v7, s59
	s_waitcnt lgkmcnt(0)
	v_cmp_ne_u16_e64 s[30:31], s30, v5
	v_cndmask_b32_e64 v3, v6, v5, s[30:31]
	v_lshrrev_b32_sdwa v3, s68, v3 dst_sel:DWORD dst_unused:UNUSED_PAD src0_sel:DWORD src1_sel:WORD_0
	v_and_b32_e32 v3, s74, v3
	v_lshlrev_b32_e32 v3, 3, v3
	ds_read_b64 v[3:4], v3
	v_cmp_gt_i16_e64 s[30:31], 0, v5
	v_cndmask_b32_e64 v6, v6, 0, s[30:31]
	v_xor_b32_e32 v5, v6, v5
	v_lshlrev_b32_e32 v6, 1, v0
	s_waitcnt lgkmcnt(0)
	v_lshlrev_b64 v[3:4], 1, v[3:4]
	v_add_co_u32_e64 v3, s[30:31], s58, v3
	v_addc_co_u32_e64 v4, s[30:31], v7, v4, s[30:31]
	v_add_co_u32_e64 v3, s[30:31], v3, v6
	v_addc_co_u32_e64 v4, s[30:31], 0, v4, s[30:31]
	global_store_short v[3:4], v5, off offset:1024
.LBB191_71:
	;; [unrolled: 30-line block ×6, first 2 shown]
	s_or_b64 exec, exec, s[42:43]
	v_or_b32_e32 v50, 0x700, v0
	v_cmp_gt_u32_e64 s[40:41], s70, v50
	s_and_saveexec_b64 s[44:45], s[40:41]
	s_cbranch_execz .LBB191_81
; %bb.80:
	v_lshlrev_b32_e32 v5, 1, v0
	ds_read_u16 v6, v5 offset:5632
	s_movk_i32 s42, 0x8000
	v_mov_b32_e32 v7, 0x7fff
	v_mov_b32_e32 v8, s59
	s_waitcnt lgkmcnt(0)
	v_cmp_ne_u16_e64 s[42:43], s42, v6
	v_cndmask_b32_e64 v3, v7, v6, s[42:43]
	v_lshrrev_b32_sdwa v3, s68, v3 dst_sel:DWORD dst_unused:UNUSED_PAD src0_sel:DWORD src1_sel:WORD_0
	v_and_b32_e32 v3, s74, v3
	v_lshlrev_b32_e32 v3, 3, v3
	ds_read_b64 v[3:4], v3
	v_cmp_gt_i16_e64 s[42:43], 0, v6
	v_cndmask_b32_e64 v7, v7, 0, s[42:43]
	v_xor_b32_e32 v6, v7, v6
	s_waitcnt lgkmcnt(0)
	v_lshlrev_b64 v[3:4], 1, v[3:4]
	v_add_co_u32_e64 v3, s[42:43], s58, v3
	v_addc_co_u32_e64 v4, s[42:43], v8, v4, s[42:43]
	v_add_co_u32_e64 v3, s[42:43], v3, v5
	v_addc_co_u32_e64 v4, s[42:43], 0, v4, s[42:43]
	global_store_short v[3:4], v6, off offset:3584
.LBB191_81:
	s_or_b64 exec, exec, s[44:45]
	v_or_b32_e32 v51, 0x800, v0
	v_cmp_gt_u32_e64 s[42:43], s70, v51
	s_and_saveexec_b64 s[46:47], s[42:43]
	s_cbranch_execz .LBB191_83
; %bb.82:
	v_lshlrev_b32_e32 v3, 1, v0
	ds_read_u16 v5, v3 offset:6144
	s_movk_i32 s44, 0x8000
	v_mov_b32_e32 v6, 0x7fff
	v_mov_b32_e32 v7, s59
	s_waitcnt lgkmcnt(0)
	v_cmp_ne_u16_e64 s[44:45], s44, v5
	v_cndmask_b32_e64 v3, v6, v5, s[44:45]
	v_lshrrev_b32_sdwa v3, s68, v3 dst_sel:DWORD dst_unused:UNUSED_PAD src0_sel:DWORD src1_sel:WORD_0
	v_and_b32_e32 v3, s74, v3
	v_lshlrev_b32_e32 v3, 3, v3
	ds_read_b64 v[3:4], v3
	v_cmp_gt_i16_e64 s[44:45], 0, v5
	v_cndmask_b32_e64 v6, v6, 0, s[44:45]
	v_xor_b32_e32 v5, v6, v5
	v_lshlrev_b32_e32 v6, 1, v51
	s_waitcnt lgkmcnt(0)
	v_lshlrev_b64 v[3:4], 1, v[3:4]
	v_add_co_u32_e64 v3, s[44:45], s58, v3
	v_addc_co_u32_e64 v4, s[44:45], v7, v4, s[44:45]
	v_add_co_u32_e64 v3, s[44:45], v3, v6
	v_addc_co_u32_e64 v4, s[44:45], 0, v4, s[44:45]
	global_store_short v[3:4], v5, off
.LBB191_83:
	s_or_b64 exec, exec, s[46:47]
	v_or_b32_e32 v52, 0x900, v0
	v_cmp_gt_u32_e64 s[44:45], s70, v52
	s_and_saveexec_b64 s[48:49], s[44:45]
	s_cbranch_execz .LBB191_85
; %bb.84:
	v_lshlrev_b32_e32 v3, 1, v0
	ds_read_u16 v5, v3 offset:6656
	s_movk_i32 s46, 0x8000
	v_mov_b32_e32 v6, 0x7fff
	v_mov_b32_e32 v7, s59
	s_waitcnt lgkmcnt(0)
	v_cmp_ne_u16_e64 s[46:47], s46, v5
	v_cndmask_b32_e64 v3, v6, v5, s[46:47]
	v_lshrrev_b32_sdwa v3, s68, v3 dst_sel:DWORD dst_unused:UNUSED_PAD src0_sel:DWORD src1_sel:WORD_0
	v_and_b32_e32 v3, s74, v3
	v_lshlrev_b32_e32 v3, 3, v3
	ds_read_b64 v[3:4], v3
	v_cmp_gt_i16_e64 s[46:47], 0, v5
	v_cndmask_b32_e64 v6, v6, 0, s[46:47]
	v_xor_b32_e32 v5, v6, v5
	v_lshlrev_b32_e32 v6, 1, v52
	s_waitcnt lgkmcnt(0)
	v_lshlrev_b64 v[3:4], 1, v[3:4]
	v_add_co_u32_e64 v3, s[46:47], s58, v3
	v_addc_co_u32_e64 v4, s[46:47], v7, v4, s[46:47]
	v_add_co_u32_e64 v3, s[46:47], v3, v6
	v_addc_co_u32_e64 v4, s[46:47], 0, v4, s[46:47]
	global_store_short v[3:4], v5, off
.LBB191_85:
	;; [unrolled: 30-line block ×4, first 2 shown]
	s_or_b64 exec, exec, s[70:71]
	s_lshl_b64 s[52:53], s[54:55], 3
	s_add_u32 s52, s60, s52
	s_addc_u32 s53, s61, s53
	v_lshlrev_b32_e32 v3, 3, v9
	v_mov_b32_e32 v4, s53
	v_add_co_u32_e64 v3, s[52:53], s52, v3
	v_addc_co_u32_e64 v4, s[52:53], 0, v4, s[52:53]
	v_lshlrev_b32_e32 v5, 3, v10
	v_add_co_u32_e64 v27, s[52:53], v3, v5
	v_addc_co_u32_e64 v28, s[52:53], 0, v4, s[52:53]
                                        ; implicit-def: $vgpr3_vgpr4
	s_and_saveexec_b64 s[52:53], vcc
	s_xor_b64 s[52:53], exec, s[52:53]
	s_cbranch_execz .LBB191_101
; %bb.90:
	global_load_dwordx2 v[3:4], v[27:28], off
	s_or_b64 exec, exec, s[52:53]
                                        ; implicit-def: $vgpr5_vgpr6
	s_and_saveexec_b64 s[52:53], s[0:1]
	s_cbranch_execnz .LBB191_102
.LBB191_91:
	s_or_b64 exec, exec, s[52:53]
                                        ; implicit-def: $vgpr7_vgpr8
	s_and_saveexec_b64 s[0:1], s[2:3]
	s_cbranch_execz .LBB191_103
.LBB191_92:
	global_load_dwordx2 v[7:8], v[27:28], off offset:1024
	s_or_b64 exec, exec, s[0:1]
                                        ; implicit-def: $vgpr9_vgpr10
	s_and_saveexec_b64 s[0:1], s[50:51]
	s_cbranch_execnz .LBB191_104
.LBB191_93:
	s_or_b64 exec, exec, s[0:1]
                                        ; implicit-def: $vgpr11_vgpr12
	s_and_saveexec_b64 s[0:1], s[8:9]
	s_cbranch_execz .LBB191_105
.LBB191_94:
	global_load_dwordx2 v[11:12], v[27:28], off offset:2048
	s_or_b64 exec, exec, s[0:1]
                                        ; implicit-def: $vgpr13_vgpr14
	s_and_saveexec_b64 s[0:1], s[12:13]
	s_cbranch_execnz .LBB191_106
.LBB191_95:
	s_or_b64 exec, exec, s[0:1]
                                        ; implicit-def: $vgpr15_vgpr16
	s_and_saveexec_b64 s[0:1], s[16:17]
	s_cbranch_execz .LBB191_107
.LBB191_96:
	global_load_dwordx2 v[15:16], v[27:28], off offset:3072
	s_or_b64 exec, exec, s[0:1]
                                        ; implicit-def: $vgpr17_vgpr18
	s_and_saveexec_b64 s[0:1], s[20:21]
	s_cbranch_execnz .LBB191_108
.LBB191_97:
	s_or_b64 exec, exec, s[0:1]
                                        ; implicit-def: $vgpr19_vgpr20
	s_and_saveexec_b64 s[0:1], s[22:23]
	s_cbranch_execz .LBB191_109
.LBB191_98:
	v_add_co_u32_e32 v19, vcc, 0x1000, v27
	v_addc_co_u32_e32 v20, vcc, 0, v28, vcc
	global_load_dwordx2 v[19:20], v[19:20], off
	s_or_b64 exec, exec, s[0:1]
                                        ; implicit-def: $vgpr21_vgpr22
	s_and_saveexec_b64 s[0:1], s[18:19]
	s_cbranch_execnz .LBB191_110
.LBB191_99:
	s_or_b64 exec, exec, s[0:1]
                                        ; implicit-def: $vgpr23_vgpr24
	s_and_saveexec_b64 s[0:1], s[14:15]
	s_cbranch_execz .LBB191_111
.LBB191_100:
	v_add_co_u32_e32 v23, vcc, 0x1000, v27
	v_addc_co_u32_e32 v24, vcc, 0, v28, vcc
	global_load_dwordx2 v[23:24], v[23:24], off offset:1024
	s_or_b64 exec, exec, s[0:1]
                                        ; implicit-def: $vgpr25_vgpr26
	s_and_saveexec_b64 s[0:1], s[10:11]
	s_cbranch_execnz .LBB191_112
	s_branch .LBB191_113
.LBB191_101:
	s_or_b64 exec, exec, s[52:53]
                                        ; implicit-def: $vgpr5_vgpr6
	s_and_saveexec_b64 s[52:53], s[0:1]
	s_cbranch_execz .LBB191_91
.LBB191_102:
	global_load_dwordx2 v[5:6], v[27:28], off offset:512
	s_or_b64 exec, exec, s[52:53]
                                        ; implicit-def: $vgpr7_vgpr8
	s_and_saveexec_b64 s[0:1], s[2:3]
	s_cbranch_execnz .LBB191_92
.LBB191_103:
	s_or_b64 exec, exec, s[0:1]
                                        ; implicit-def: $vgpr9_vgpr10
	s_and_saveexec_b64 s[0:1], s[50:51]
	s_cbranch_execz .LBB191_93
.LBB191_104:
	global_load_dwordx2 v[9:10], v[27:28], off offset:1536
	s_or_b64 exec, exec, s[0:1]
                                        ; implicit-def: $vgpr11_vgpr12
	s_and_saveexec_b64 s[0:1], s[8:9]
	s_cbranch_execnz .LBB191_94
.LBB191_105:
	s_or_b64 exec, exec, s[0:1]
                                        ; implicit-def: $vgpr13_vgpr14
	s_and_saveexec_b64 s[0:1], s[12:13]
	s_cbranch_execz .LBB191_95
.LBB191_106:
	global_load_dwordx2 v[13:14], v[27:28], off offset:2560
	s_or_b64 exec, exec, s[0:1]
                                        ; implicit-def: $vgpr15_vgpr16
	s_and_saveexec_b64 s[0:1], s[16:17]
	s_cbranch_execnz .LBB191_96
.LBB191_107:
	s_or_b64 exec, exec, s[0:1]
                                        ; implicit-def: $vgpr17_vgpr18
	s_and_saveexec_b64 s[0:1], s[20:21]
	s_cbranch_execz .LBB191_97
.LBB191_108:
	global_load_dwordx2 v[17:18], v[27:28], off offset:3584
	s_or_b64 exec, exec, s[0:1]
                                        ; implicit-def: $vgpr19_vgpr20
	s_and_saveexec_b64 s[0:1], s[22:23]
	s_cbranch_execnz .LBB191_98
.LBB191_109:
	s_or_b64 exec, exec, s[0:1]
                                        ; implicit-def: $vgpr21_vgpr22
	s_and_saveexec_b64 s[0:1], s[18:19]
	s_cbranch_execz .LBB191_99
.LBB191_110:
	v_add_co_u32_e32 v21, vcc, 0x1000, v27
	v_addc_co_u32_e32 v22, vcc, 0, v28, vcc
	global_load_dwordx2 v[21:22], v[21:22], off offset:512
	s_or_b64 exec, exec, s[0:1]
                                        ; implicit-def: $vgpr23_vgpr24
	s_and_saveexec_b64 s[0:1], s[14:15]
	s_cbranch_execnz .LBB191_100
.LBB191_111:
	s_or_b64 exec, exec, s[0:1]
                                        ; implicit-def: $vgpr25_vgpr26
	s_and_saveexec_b64 s[0:1], s[10:11]
	s_cbranch_execz .LBB191_113
.LBB191_112:
	v_add_co_u32_e32 v25, vcc, 0x1000, v27
	v_addc_co_u32_e32 v26, vcc, 0, v28, vcc
	global_load_dwordx2 v[25:26], v[25:26], off offset:1536
.LBB191_113:
	s_or_b64 exec, exec, s[0:1]
	v_mov_b32_e32 v60, 0
	v_mov_b32_e32 v64, 0
	s_and_saveexec_b64 s[0:1], s[24:25]
	s_cbranch_execz .LBB191_115
; %bb.114:
	v_lshlrev_b32_e32 v27, 1, v0
	ds_read_u16 v27, v27 offset:2048
	s_movk_i32 s2, 0x8000
	v_mov_b32_e32 v28, 0x7fff
	s_waitcnt lgkmcnt(0)
	v_cmp_ne_u16_e32 vcc, s2, v27
	v_cndmask_b32_e32 v27, v28, v27, vcc
	v_lshrrev_b32_sdwa v27, s68, v27 dst_sel:DWORD dst_unused:UNUSED_PAD src0_sel:DWORD src1_sel:WORD_0
	v_and_b32_e32 v64, s74, v27
.LBB191_115:
	s_or_b64 exec, exec, s[0:1]
	s_and_saveexec_b64 s[0:1], s[26:27]
	s_cbranch_execz .LBB191_117
; %bb.116:
	v_lshlrev_b32_e32 v27, 1, v0
	ds_read_u16 v27, v27 offset:2560
	s_movk_i32 s2, 0x8000
	v_mov_b32_e32 v28, 0x7fff
	s_waitcnt lgkmcnt(0)
	v_cmp_ne_u16_e32 vcc, s2, v27
	v_cndmask_b32_e32 v27, v28, v27, vcc
	v_lshrrev_b32_sdwa v27, s68, v27 dst_sel:DWORD dst_unused:UNUSED_PAD src0_sel:DWORD src1_sel:WORD_0
	v_and_b32_e32 v60, s74, v27
.LBB191_117:
	s_or_b64 exec, exec, s[0:1]
	v_mov_b32_e32 v58, 0
	v_mov_b32_e32 v63, 0
	s_and_saveexec_b64 s[0:1], s[28:29]
	s_cbranch_execz .LBB191_119
; %bb.118:
	v_lshlrev_b32_e32 v27, 1, v0
	ds_read_u16 v27, v27 offset:3072
	s_movk_i32 s2, 0x8000
	v_mov_b32_e32 v28, 0x7fff
	s_waitcnt lgkmcnt(0)
	v_cmp_ne_u16_e32 vcc, s2, v27
	v_cndmask_b32_e32 v27, v28, v27, vcc
	v_lshrrev_b32_sdwa v27, s68, v27 dst_sel:DWORD dst_unused:UNUSED_PAD src0_sel:DWORD src1_sel:WORD_0
	v_and_b32_e32 v63, s74, v27
.LBB191_119:
	s_or_b64 exec, exec, s[0:1]
	s_and_saveexec_b64 s[0:1], s[30:31]
	s_cbranch_execz .LBB191_121
; %bb.120:
	v_lshlrev_b32_e32 v27, 1, v0
	ds_read_u16 v27, v27 offset:3584
	s_movk_i32 s2, 0x8000
	v_mov_b32_e32 v28, 0x7fff
	s_waitcnt lgkmcnt(0)
	v_cmp_ne_u16_e32 vcc, s2, v27
	v_cndmask_b32_e32 v27, v28, v27, vcc
	v_lshrrev_b32_sdwa v27, s68, v27 dst_sel:DWORD dst_unused:UNUSED_PAD src0_sel:DWORD src1_sel:WORD_0
	v_and_b32_e32 v58, s74, v27
.LBB191_121:
	;; [unrolled: 30-line block ×6, first 2 shown]
	s_or_b64 exec, exec, s[0:1]
	v_lshlrev_b32_e32 v44, 3, v44
	s_waitcnt vmcnt(0)
	s_barrier
	ds_write_b64 v44, v[3:4] offset:2048
	v_lshlrev_b32_e32 v3, 3, v43
	ds_write_b64 v3, v[5:6] offset:2048
	v_lshlrev_b32_e32 v3, 3, v42
	;; [unrolled: 2-line block ×11, first 2 shown]
	ds_write_b64 v3, v[25:26] offset:2048
	s_waitcnt lgkmcnt(0)
	s_barrier
	s_and_saveexec_b64 s[0:1], s[24:25]
	s_cbranch_execz .LBB191_196
; %bb.138:
	v_lshlrev_b32_e32 v3, 3, v64
	ds_read_b64 v[3:4], v3
	ds_read_b64 v[5:6], v32 offset:2048
	v_mov_b32_e32 v7, s63
	s_waitcnt lgkmcnt(1)
	v_lshlrev_b64 v[3:4], 3, v[3:4]
	v_add_co_u32_e32 v3, vcc, s62, v3
	v_addc_co_u32_e32 v4, vcc, v7, v4, vcc
	v_add_co_u32_e32 v3, vcc, v3, v32
	v_addc_co_u32_e32 v4, vcc, 0, v4, vcc
	s_waitcnt lgkmcnt(0)
	global_store_dwordx2 v[3:4], v[5:6], off
	s_or_b64 exec, exec, s[0:1]
	s_and_saveexec_b64 s[0:1], s[26:27]
	s_cbranch_execnz .LBB191_197
.LBB191_139:
	s_or_b64 exec, exec, s[0:1]
	s_and_saveexec_b64 s[0:1], s[28:29]
	s_cbranch_execz .LBB191_198
.LBB191_140:
	v_lshlrev_b32_e32 v3, 3, v63
	ds_read_b64 v[3:4], v3
	ds_read_b64 v[5:6], v32 offset:6144
	v_mov_b32_e32 v7, s63
	s_waitcnt lgkmcnt(1)
	v_lshlrev_b64 v[3:4], 3, v[3:4]
	v_add_co_u32_e32 v3, vcc, s62, v3
	v_addc_co_u32_e32 v4, vcc, v7, v4, vcc
	v_lshlrev_b32_e32 v7, 3, v45
	v_add_co_u32_e32 v3, vcc, v3, v7
	v_addc_co_u32_e32 v4, vcc, 0, v4, vcc
	s_waitcnt lgkmcnt(0)
	global_store_dwordx2 v[3:4], v[5:6], off
	s_or_b64 exec, exec, s[0:1]
	s_and_saveexec_b64 s[0:1], s[30:31]
	s_cbranch_execnz .LBB191_199
.LBB191_141:
	s_or_b64 exec, exec, s[0:1]
	s_and_saveexec_b64 s[0:1], s[34:35]
	s_cbranch_execz .LBB191_200
.LBB191_142:
	v_lshlrev_b32_e32 v3, 3, v62
	ds_read_b64 v[3:4], v3
	ds_read_b64 v[5:6], v32 offset:10240
	v_mov_b32_e32 v7, s63
	s_waitcnt lgkmcnt(1)
	v_lshlrev_b64 v[3:4], 3, v[3:4]
	v_add_co_u32_e32 v3, vcc, s62, v3
	v_addc_co_u32_e32 v4, vcc, v7, v4, vcc
	v_lshlrev_b32_e32 v7, 3, v47
	v_add_co_u32_e32 v3, vcc, v3, v7
	v_addc_co_u32_e32 v4, vcc, 0, v4, vcc
	s_waitcnt lgkmcnt(0)
	global_store_dwordx2 v[3:4], v[5:6], off
	s_or_b64 exec, exec, s[0:1]
	s_and_saveexec_b64 s[0:1], s[36:37]
	s_cbranch_execnz .LBB191_201
.LBB191_143:
	s_or_b64 exec, exec, s[0:1]
	s_and_saveexec_b64 s[0:1], s[38:39]
	s_cbranch_execz .LBB191_202
.LBB191_144:
	v_lshlrev_b32_e32 v3, 3, v61
	ds_read_b64 v[3:4], v3
	ds_read_b64 v[5:6], v32 offset:14336
	v_mov_b32_e32 v7, s63
	s_waitcnt lgkmcnt(1)
	v_lshlrev_b64 v[3:4], 3, v[3:4]
	v_add_co_u32_e32 v3, vcc, s62, v3
	v_addc_co_u32_e32 v4, vcc, v7, v4, vcc
	v_lshlrev_b32_e32 v7, 3, v49
	v_add_co_u32_e32 v3, vcc, v3, v7
	v_addc_co_u32_e32 v4, vcc, 0, v4, vcc
	s_waitcnt lgkmcnt(0)
	global_store_dwordx2 v[3:4], v[5:6], off
	s_or_b64 exec, exec, s[0:1]
	s_and_saveexec_b64 s[0:1], s[40:41]
	s_cbranch_execnz .LBB191_203
.LBB191_145:
	s_or_b64 exec, exec, s[0:1]
	s_and_saveexec_b64 s[0:1], s[42:43]
	s_cbranch_execz .LBB191_204
.LBB191_146:
	v_lshlrev_b32_e32 v3, 3, v59
	ds_read_b64 v[3:4], v3
	ds_read_b64 v[5:6], v32 offset:18432
	v_mov_b32_e32 v7, s63
	s_waitcnt lgkmcnt(1)
	v_lshlrev_b64 v[3:4], 3, v[3:4]
	v_add_co_u32_e32 v3, vcc, s62, v3
	v_addc_co_u32_e32 v4, vcc, v7, v4, vcc
	v_lshlrev_b32_e32 v7, 3, v51
	v_add_co_u32_e32 v3, vcc, v3, v7
	v_addc_co_u32_e32 v4, vcc, 0, v4, vcc
	s_waitcnt lgkmcnt(0)
	global_store_dwordx2 v[3:4], v[5:6], off
	s_or_b64 exec, exec, s[0:1]
	s_and_saveexec_b64 s[0:1], s[44:45]
	s_cbranch_execnz .LBB191_205
.LBB191_147:
	s_or_b64 exec, exec, s[0:1]
	s_and_saveexec_b64 s[0:1], s[46:47]
	s_cbranch_execz .LBB191_206
.LBB191_148:
	v_lshlrev_b32_e32 v3, 3, v57
	ds_read_b64 v[3:4], v3
	ds_read_b64 v[5:6], v32 offset:22528
	v_mov_b32_e32 v7, s63
	s_waitcnt lgkmcnt(1)
	v_lshlrev_b64 v[3:4], 3, v[3:4]
	v_add_co_u32_e32 v3, vcc, s62, v3
	v_addc_co_u32_e32 v4, vcc, v7, v4, vcc
	v_lshlrev_b32_e32 v7, 3, v53
	v_add_co_u32_e32 v3, vcc, v3, v7
	v_addc_co_u32_e32 v4, vcc, 0, v4, vcc
	s_waitcnt lgkmcnt(0)
	global_store_dwordx2 v[3:4], v[5:6], off
	s_or_b64 exec, exec, s[0:1]
	s_and_saveexec_b64 s[0:1], s[48:49]
	s_cbranch_execnz .LBB191_207
.LBB191_149:
	s_or_b64 exec, exec, s[0:1]
	s_add_i32 s33, s33, -1
	s_cmp_eq_u32 s6, s33
	s_cbranch_scc0 .LBB191_151
.LBB191_150:
	ds_read_b64 v[3:4], v32
	v_add_co_u32_e32 v5, vcc, v31, v30
	v_addc_co_u32_e64 v6, s[0:1], 0, 0, vcc
	s_waitcnt lgkmcnt(0)
	v_add_co_u32_e32 v3, vcc, v5, v3
	v_addc_co_u32_e32 v4, vcc, v6, v4, vcc
	global_store_dwordx2 v32, v[3:4], s[66:67]
.LBB191_151:
	s_mov_b64 s[0:1], 0
.LBB191_152:
	s_and_b64 vcc, exec, s[0:1]
	s_cbranch_vccz .LBB191_195
; %bb.153:
	s_mov_b32 s55, 0
	s_lshl_b64 s[0:1], s[54:55], 1
	v_mbcnt_hi_u32_b32 v8, -1, v29
	s_add_u32 s0, s56, s0
	v_lshlrev_b32_e32 v4, 1, v8
	v_add_co_u32_e32 v4, vcc, s0, v4
	s_load_dword s8, s[4:5], 0x50
	s_load_dword s0, s[4:5], 0x5c
	s_addc_u32 s1, s57, s1
	v_and_b32_e32 v9, 0xc0, v0
	v_mul_u32_u24_e32 v7, 12, v9
	v_mov_b32_e32 v5, s1
	v_addc_co_u32_e32 v5, vcc, 0, v5, vcc
	v_lshlrev_b32_e32 v6, 1, v7
	v_add_co_u32_e32 v4, vcc, v4, v6
	s_add_u32 s1, s4, 0x50
	v_addc_co_u32_e32 v5, vcc, 0, v5, vcc
	s_addc_u32 s2, s5, 0
	s_waitcnt lgkmcnt(0)
	s_lshr_b32 s3, s0, 16
	global_load_ushort v10, v[4:5], off
	s_cmp_lt_u32 s6, s8
	s_cselect_b32 s0, 12, 18
	s_add_u32 s0, s1, s0
	v_mov_b32_e32 v3, 0
	s_addc_u32 s1, s2, 0
	global_load_ushort v11, v3, s[0:1]
	v_mul_u32_u24_e32 v6, 20, v0
	ds_write2_b32 v6, v3, v3 offset0:4 offset1:5
	ds_write2_b32 v6, v3, v3 offset0:6 offset1:7
	ds_write_b32 v6, v3 offset:32
	global_load_ushort v12, v[4:5], off offset:128
	global_load_ushort v16, v[4:5], off offset:256
	global_load_ushort v21, v[4:5], off offset:384
	global_load_ushort v27, v[4:5], off offset:512
	global_load_ushort v31, v[4:5], off offset:640
	global_load_ushort v36, v[4:5], off offset:768
	global_load_ushort v38, v[4:5], off offset:896
	global_load_ushort v34, v[4:5], off offset:1024
	global_load_ushort v28, v[4:5], off offset:1152
	global_load_ushort v24, v[4:5], off offset:1280
	global_load_ushort v17, v[4:5], off offset:1408
	v_mov_b32_e32 v13, 0x7fff
	v_mad_u32_u24 v1, v2, s3, v1
	s_movk_i32 s2, 0x8000
	s_lshl_b32 s0, -1, s69
	s_not_b32 s9, s0
	s_waitcnt vmcnt(0) lgkmcnt(0)
	s_barrier
	; wave barrier
	v_cmp_gt_i16_e32 vcc, 0, v10
	v_cndmask_b32_e64 v2, v13, 0, vcc
	v_xor_b32_e32 v5, v2, v10
	v_cmp_ne_u16_e32 vcc, s2, v5
	v_cndmask_b32_e32 v4, v13, v5, vcc
	v_mad_u64_u32 v[1:2], s[0:1], v1, v11, v[0:1]
	v_lshrrev_b32_sdwa v2, s68, v4 dst_sel:DWORD dst_unused:UNUSED_PAD src0_sel:DWORD src1_sel:WORD_0
	v_and_b32_e32 v2, s9, v2
	v_and_b32_e32 v10, 1, v2
	v_add_co_u32_e32 v11, vcc, -1, v10
	v_lshlrev_b32_e32 v4, 30, v2
	v_addc_co_u32_e64 v14, s[0:1], 0, -1, vcc
	v_cmp_ne_u32_e32 vcc, 0, v10
	v_cmp_gt_i64_e64 s[0:1], 0, v[3:4]
	v_not_b32_e32 v10, v4
	v_lshlrev_b32_e32 v4, 29, v2
	v_lshrrev_b32_e32 v1, 6, v1
	v_xor_b32_e32 v14, vcc_hi, v14
	v_xor_b32_e32 v11, vcc_lo, v11
	v_ashrrev_i32_e32 v10, 31, v10
	v_cmp_gt_i64_e32 vcc, 0, v[3:4]
	v_not_b32_e32 v15, v4
	v_lshlrev_b32_e32 v4, 28, v2
	v_lshlrev_b32_e32 v20, 2, v1
	v_and_b32_e32 v1, exec_hi, v14
	v_and_b32_e32 v11, exec_lo, v11
	v_xor_b32_e32 v14, s1, v10
	v_xor_b32_e32 v18, s0, v10
	v_ashrrev_i32_e32 v15, 31, v15
	v_cmp_gt_i64_e64 s[0:1], 0, v[3:4]
	v_not_b32_e32 v4, v4
	v_and_b32_e32 v1, v1, v14
	v_and_b32_e32 v11, v11, v18
	v_xor_b32_e32 v14, vcc_hi, v15
	v_xor_b32_e32 v15, vcc_lo, v15
	v_ashrrev_i32_e32 v4, 31, v4
	v_and_b32_e32 v1, v1, v14
	v_and_b32_e32 v11, v11, v15
	v_xor_b32_e32 v14, s1, v4
	v_xor_b32_e32 v4, s0, v4
	v_and_b32_e32 v11, v11, v4
	v_lshlrev_b32_e32 v4, 27, v2
	v_cmp_gt_i64_e32 vcc, 0, v[3:4]
	v_not_b32_e32 v4, v4
	v_ashrrev_i32_e32 v4, 31, v4
	v_and_b32_e32 v1, v1, v14
	v_xor_b32_e32 v14, vcc_hi, v4
	v_xor_b32_e32 v4, vcc_lo, v4
	v_and_b32_e32 v11, v11, v4
	v_lshlrev_b32_e32 v4, 26, v2
	v_cmp_gt_i64_e32 vcc, 0, v[3:4]
	v_not_b32_e32 v4, v4
	v_ashrrev_i32_e32 v4, 31, v4
	v_and_b32_e32 v1, v1, v14
	v_xor_b32_e32 v14, vcc_hi, v4
	v_xor_b32_e32 v4, vcc_lo, v4
	;; [unrolled: 8-line block ×3, first 2 shown]
	v_and_b32_e32 v11, v11, v4
	v_lshlrev_b32_e32 v4, 24, v2
	v_mad_u32_u24 v10, v2, 20, v20
	v_cmp_gt_i64_e32 vcc, 0, v[3:4]
	v_not_b32_e32 v2, v4
	v_ashrrev_i32_e32 v2, 31, v2
	v_and_b32_e32 v1, v1, v14
	v_xor_b32_e32 v4, vcc_hi, v2
	v_xor_b32_e32 v14, vcc_lo, v2
	v_and_b32_e32 v2, v1, v4
	v_and_b32_e32 v1, v11, v14
	v_mbcnt_lo_u32_b32 v4, v1, 0
	v_mbcnt_hi_u32_b32 v11, v2, v4
	v_cmp_ne_u64_e32 vcc, 0, v[1:2]
	v_cmp_eq_u32_e64 s[0:1], 0, v11
	s_and_b64 s[4:5], vcc, s[0:1]
	s_and_saveexec_b64 s[0:1], s[4:5]
; %bb.154:
	v_bcnt_u32_b32 v1, v1, 0
	v_bcnt_u32_b32 v1, v2, v1
	ds_write_b32 v10, v1 offset:16
; %bb.155:
	s_or_b64 exec, exec, s[0:1]
	v_cmp_gt_i16_e32 vcc, 0, v12
	v_cndmask_b32_e64 v1, v13, 0, vcc
	v_xor_b32_e32 v12, v1, v12
	v_cmp_ne_u16_e32 vcc, s2, v12
	v_cndmask_b32_e32 v1, v13, v12, vcc
	v_lshrrev_b32_sdwa v1, s68, v1 dst_sel:DWORD dst_unused:UNUSED_PAD src0_sel:DWORD src1_sel:WORD_0
	v_and_b32_e32 v1, s9, v1
	v_and_b32_e32 v2, 1, v1
	v_add_co_u32_e32 v4, vcc, -1, v2
	v_addc_co_u32_e64 v15, s[0:1], 0, -1, vcc
	v_cmp_ne_u32_e32 vcc, 0, v2
	v_xor_b32_e32 v4, vcc_lo, v4
	v_xor_b32_e32 v2, vcc_hi, v15
	v_and_b32_e32 v15, exec_lo, v4
	v_lshlrev_b32_e32 v4, 30, v1
	v_cmp_gt_i64_e32 vcc, 0, v[3:4]
	v_not_b32_e32 v4, v4
	v_ashrrev_i32_e32 v4, 31, v4
	v_xor_b32_e32 v18, vcc_hi, v4
	v_xor_b32_e32 v4, vcc_lo, v4
	v_and_b32_e32 v15, v15, v4
	v_lshlrev_b32_e32 v4, 29, v1
	v_cmp_gt_i64_e32 vcc, 0, v[3:4]
	v_not_b32_e32 v4, v4
	v_and_b32_e32 v2, exec_hi, v2
	v_ashrrev_i32_e32 v4, 31, v4
	v_and_b32_e32 v2, v2, v18
	v_xor_b32_e32 v18, vcc_hi, v4
	v_xor_b32_e32 v4, vcc_lo, v4
	v_and_b32_e32 v15, v15, v4
	v_lshlrev_b32_e32 v4, 28, v1
	v_cmp_gt_i64_e32 vcc, 0, v[3:4]
	v_not_b32_e32 v4, v4
	v_ashrrev_i32_e32 v4, 31, v4
	v_and_b32_e32 v2, v2, v18
	v_xor_b32_e32 v18, vcc_hi, v4
	v_xor_b32_e32 v4, vcc_lo, v4
	v_and_b32_e32 v15, v15, v4
	v_lshlrev_b32_e32 v4, 27, v1
	v_cmp_gt_i64_e32 vcc, 0, v[3:4]
	v_not_b32_e32 v4, v4
	;; [unrolled: 8-line block ×4, first 2 shown]
	v_ashrrev_i32_e32 v4, 31, v4
	v_and_b32_e32 v2, v2, v18
	v_xor_b32_e32 v18, vcc_hi, v4
	v_xor_b32_e32 v4, vcc_lo, v4
	v_and_b32_e32 v15, v15, v4
	v_lshlrev_b32_e32 v4, 24, v1
	v_mad_u32_u24 v14, v1, 20, v20
	v_cmp_gt_i64_e32 vcc, 0, v[3:4]
	v_not_b32_e32 v1, v4
	v_ashrrev_i32_e32 v1, 31, v1
	v_xor_b32_e32 v3, vcc_hi, v1
	v_xor_b32_e32 v1, vcc_lo, v1
	; wave barrier
	ds_read_b32 v13, v14 offset:16
	v_and_b32_e32 v2, v2, v18
	v_and_b32_e32 v1, v15, v1
	;; [unrolled: 1-line block ×3, first 2 shown]
	v_mbcnt_lo_u32_b32 v3, v1, 0
	v_mbcnt_hi_u32_b32 v15, v2, v3
	v_cmp_ne_u64_e32 vcc, 0, v[1:2]
	v_cmp_eq_u32_e64 s[0:1], 0, v15
	s_and_b64 s[2:3], vcc, s[0:1]
	; wave barrier
	s_and_saveexec_b64 s[0:1], s[2:3]
	s_cbranch_execz .LBB191_157
; %bb.156:
	v_bcnt_u32_b32 v1, v1, 0
	v_bcnt_u32_b32 v1, v2, v1
	s_waitcnt lgkmcnt(0)
	v_add_u32_e32 v1, v13, v1
	ds_write_b32 v14, v1 offset:16
.LBB191_157:
	s_or_b64 exec, exec, s[0:1]
	v_mov_b32_e32 v4, 0x7fff
	v_cmp_gt_i16_e32 vcc, 0, v16
	v_cndmask_b32_e64 v1, v4, 0, vcc
	v_xor_b32_e32 v16, v1, v16
	s_movk_i32 s2, 0x8000
	v_cmp_ne_u16_e32 vcc, s2, v16
	v_cndmask_b32_e32 v1, v4, v16, vcc
	v_lshrrev_b32_sdwa v1, s68, v1 dst_sel:DWORD dst_unused:UNUSED_PAD src0_sel:DWORD src1_sel:WORD_0
	v_and_b32_e32 v3, s9, v1
	v_and_b32_e32 v2, 1, v3
	v_add_co_u32_e32 v22, vcc, -1, v2
	v_addc_co_u32_e64 v23, s[0:1], 0, -1, vcc
	v_cmp_ne_u32_e32 vcc, 0, v2
	v_xor_b32_e32 v2, vcc_hi, v23
	v_mov_b32_e32 v1, 0
	v_and_b32_e32 v23, exec_hi, v2
	v_lshlrev_b32_e32 v2, 30, v3
	v_xor_b32_e32 v22, vcc_lo, v22
	v_cmp_gt_i64_e32 vcc, 0, v[1:2]
	v_not_b32_e32 v2, v2
	v_ashrrev_i32_e32 v2, 31, v2
	v_and_b32_e32 v22, exec_lo, v22
	v_xor_b32_e32 v25, vcc_hi, v2
	v_xor_b32_e32 v2, vcc_lo, v2
	v_and_b32_e32 v22, v22, v2
	v_lshlrev_b32_e32 v2, 29, v3
	v_cmp_gt_i64_e32 vcc, 0, v[1:2]
	v_not_b32_e32 v2, v2
	v_ashrrev_i32_e32 v2, 31, v2
	v_and_b32_e32 v23, v23, v25
	v_xor_b32_e32 v25, vcc_hi, v2
	v_xor_b32_e32 v2, vcc_lo, v2
	v_and_b32_e32 v22, v22, v2
	v_lshlrev_b32_e32 v2, 28, v3
	v_cmp_gt_i64_e32 vcc, 0, v[1:2]
	v_not_b32_e32 v2, v2
	v_ashrrev_i32_e32 v2, 31, v2
	v_and_b32_e32 v23, v23, v25
	;; [unrolled: 8-line block ×5, first 2 shown]
	v_xor_b32_e32 v25, vcc_hi, v2
	v_xor_b32_e32 v2, vcc_lo, v2
	v_and_b32_e32 v22, v22, v2
	v_lshlrev_b32_e32 v2, 24, v3
	v_cmp_gt_i64_e32 vcc, 0, v[1:2]
	v_not_b32_e32 v2, v2
	v_ashrrev_i32_e32 v2, 31, v2
	v_mad_u32_u24 v19, v3, 20, v20
	v_xor_b32_e32 v3, vcc_hi, v2
	v_xor_b32_e32 v2, vcc_lo, v2
	; wave barrier
	ds_read_b32 v18, v19 offset:16
	v_and_b32_e32 v23, v23, v25
	v_and_b32_e32 v2, v22, v2
	;; [unrolled: 1-line block ×3, first 2 shown]
	v_mbcnt_lo_u32_b32 v22, v2, 0
	v_mbcnt_hi_u32_b32 v22, v3, v22
	v_cmp_ne_u64_e32 vcc, 0, v[2:3]
	v_cmp_eq_u32_e64 s[0:1], 0, v22
	s_and_b64 s[4:5], vcc, s[0:1]
	; wave barrier
	s_and_saveexec_b64 s[0:1], s[4:5]
	s_cbranch_execz .LBB191_159
; %bb.158:
	v_bcnt_u32_b32 v2, v2, 0
	v_bcnt_u32_b32 v2, v3, v2
	s_waitcnt lgkmcnt(0)
	v_add_u32_e32 v2, v18, v2
	ds_write_b32 v19, v2 offset:16
.LBB191_159:
	s_or_b64 exec, exec, s[0:1]
	v_cmp_gt_i16_e32 vcc, 0, v21
	v_cndmask_b32_e64 v2, v4, 0, vcc
	v_xor_b32_e32 v21, v2, v21
	v_cmp_ne_u16_e32 vcc, s2, v21
	v_cndmask_b32_e32 v2, v4, v21, vcc
	v_lshrrev_b32_sdwa v2, s68, v2 dst_sel:DWORD dst_unused:UNUSED_PAD src0_sel:DWORD src1_sel:WORD_0
	v_and_b32_e32 v3, s9, v2
	v_and_b32_e32 v2, 1, v3
	v_add_co_u32_e32 v4, vcc, -1, v2
	v_addc_co_u32_e64 v26, s[0:1], 0, -1, vcc
	v_cmp_ne_u32_e32 vcc, 0, v2
	v_xor_b32_e32 v2, vcc_hi, v26
	v_and_b32_e32 v26, exec_hi, v2
	v_lshlrev_b32_e32 v2, 30, v3
	v_xor_b32_e32 v4, vcc_lo, v4
	v_cmp_gt_i64_e32 vcc, 0, v[1:2]
	v_not_b32_e32 v2, v2
	v_ashrrev_i32_e32 v2, 31, v2
	v_and_b32_e32 v4, exec_lo, v4
	v_xor_b32_e32 v29, vcc_hi, v2
	v_xor_b32_e32 v2, vcc_lo, v2
	v_and_b32_e32 v4, v4, v2
	v_lshlrev_b32_e32 v2, 29, v3
	v_cmp_gt_i64_e32 vcc, 0, v[1:2]
	v_not_b32_e32 v2, v2
	v_ashrrev_i32_e32 v2, 31, v2
	v_and_b32_e32 v26, v26, v29
	v_xor_b32_e32 v29, vcc_hi, v2
	v_xor_b32_e32 v2, vcc_lo, v2
	v_and_b32_e32 v4, v4, v2
	v_lshlrev_b32_e32 v2, 28, v3
	v_cmp_gt_i64_e32 vcc, 0, v[1:2]
	v_not_b32_e32 v2, v2
	v_ashrrev_i32_e32 v2, 31, v2
	v_and_b32_e32 v26, v26, v29
	;; [unrolled: 8-line block ×5, first 2 shown]
	v_xor_b32_e32 v29, vcc_hi, v2
	v_xor_b32_e32 v2, vcc_lo, v2
	v_and_b32_e32 v4, v4, v2
	v_lshlrev_b32_e32 v2, 24, v3
	v_cmp_gt_i64_e32 vcc, 0, v[1:2]
	v_not_b32_e32 v1, v2
	v_ashrrev_i32_e32 v1, 31, v1
	v_mad_u32_u24 v25, v3, 20, v20
	v_xor_b32_e32 v2, vcc_hi, v1
	v_xor_b32_e32 v1, vcc_lo, v1
	; wave barrier
	ds_read_b32 v23, v25 offset:16
	v_and_b32_e32 v26, v26, v29
	v_and_b32_e32 v1, v4, v1
	;; [unrolled: 1-line block ×3, first 2 shown]
	v_mbcnt_lo_u32_b32 v3, v1, 0
	v_mbcnt_hi_u32_b32 v26, v2, v3
	v_cmp_ne_u64_e32 vcc, 0, v[1:2]
	v_cmp_eq_u32_e64 s[0:1], 0, v26
	s_and_b64 s[2:3], vcc, s[0:1]
	; wave barrier
	s_and_saveexec_b64 s[0:1], s[2:3]
	s_cbranch_execz .LBB191_161
; %bb.160:
	v_bcnt_u32_b32 v1, v1, 0
	v_bcnt_u32_b32 v1, v2, v1
	s_waitcnt lgkmcnt(0)
	v_add_u32_e32 v1, v23, v1
	ds_write_b32 v25, v1 offset:16
.LBB191_161:
	s_or_b64 exec, exec, s[0:1]
	v_mov_b32_e32 v4, 0x7fff
	v_cmp_gt_i16_e32 vcc, 0, v27
	v_cndmask_b32_e64 v1, v4, 0, vcc
	v_xor_b32_e32 v27, v1, v27
	s_movk_i32 s2, 0x8000
	v_cmp_ne_u16_e32 vcc, s2, v27
	v_cndmask_b32_e32 v1, v4, v27, vcc
	v_lshrrev_b32_sdwa v1, s68, v1 dst_sel:DWORD dst_unused:UNUSED_PAD src0_sel:DWORD src1_sel:WORD_0
	v_and_b32_e32 v3, s9, v1
	v_and_b32_e32 v2, 1, v3
	v_add_co_u32_e32 v32, vcc, -1, v2
	v_addc_co_u32_e64 v33, s[0:1], 0, -1, vcc
	v_cmp_ne_u32_e32 vcc, 0, v2
	v_xor_b32_e32 v2, vcc_hi, v33
	v_mov_b32_e32 v1, 0
	v_and_b32_e32 v33, exec_hi, v2
	v_lshlrev_b32_e32 v2, 30, v3
	v_xor_b32_e32 v32, vcc_lo, v32
	v_cmp_gt_i64_e32 vcc, 0, v[1:2]
	v_not_b32_e32 v2, v2
	v_ashrrev_i32_e32 v2, 31, v2
	v_and_b32_e32 v32, exec_lo, v32
	v_xor_b32_e32 v35, vcc_hi, v2
	v_xor_b32_e32 v2, vcc_lo, v2
	v_and_b32_e32 v32, v32, v2
	v_lshlrev_b32_e32 v2, 29, v3
	v_cmp_gt_i64_e32 vcc, 0, v[1:2]
	v_not_b32_e32 v2, v2
	v_ashrrev_i32_e32 v2, 31, v2
	v_and_b32_e32 v33, v33, v35
	v_xor_b32_e32 v35, vcc_hi, v2
	v_xor_b32_e32 v2, vcc_lo, v2
	v_and_b32_e32 v32, v32, v2
	v_lshlrev_b32_e32 v2, 28, v3
	v_cmp_gt_i64_e32 vcc, 0, v[1:2]
	v_not_b32_e32 v2, v2
	v_ashrrev_i32_e32 v2, 31, v2
	v_and_b32_e32 v33, v33, v35
	;; [unrolled: 8-line block ×5, first 2 shown]
	v_xor_b32_e32 v35, vcc_hi, v2
	v_xor_b32_e32 v2, vcc_lo, v2
	v_and_b32_e32 v32, v32, v2
	v_lshlrev_b32_e32 v2, 24, v3
	v_cmp_gt_i64_e32 vcc, 0, v[1:2]
	v_not_b32_e32 v2, v2
	v_ashrrev_i32_e32 v2, 31, v2
	v_mad_u32_u24 v30, v3, 20, v20
	v_xor_b32_e32 v3, vcc_hi, v2
	v_xor_b32_e32 v2, vcc_lo, v2
	; wave barrier
	ds_read_b32 v29, v30 offset:16
	v_and_b32_e32 v33, v33, v35
	v_and_b32_e32 v2, v32, v2
	;; [unrolled: 1-line block ×3, first 2 shown]
	v_mbcnt_lo_u32_b32 v32, v2, 0
	v_mbcnt_hi_u32_b32 v32, v3, v32
	v_cmp_ne_u64_e32 vcc, 0, v[2:3]
	v_cmp_eq_u32_e64 s[0:1], 0, v32
	s_and_b64 s[4:5], vcc, s[0:1]
	; wave barrier
	s_and_saveexec_b64 s[0:1], s[4:5]
	s_cbranch_execz .LBB191_163
; %bb.162:
	v_bcnt_u32_b32 v2, v2, 0
	v_bcnt_u32_b32 v2, v3, v2
	s_waitcnt lgkmcnt(0)
	v_add_u32_e32 v2, v29, v2
	ds_write_b32 v30, v2 offset:16
.LBB191_163:
	s_or_b64 exec, exec, s[0:1]
	v_cmp_gt_i16_e32 vcc, 0, v31
	v_cndmask_b32_e64 v2, v4, 0, vcc
	v_xor_b32_e32 v31, v2, v31
	v_cmp_ne_u16_e32 vcc, s2, v31
	v_cndmask_b32_e32 v2, v4, v31, vcc
	v_lshrrev_b32_sdwa v2, s68, v2 dst_sel:DWORD dst_unused:UNUSED_PAD src0_sel:DWORD src1_sel:WORD_0
	v_and_b32_e32 v3, s9, v2
	v_and_b32_e32 v2, 1, v3
	v_add_co_u32_e32 v4, vcc, -1, v2
	v_addc_co_u32_e64 v37, s[0:1], 0, -1, vcc
	v_cmp_ne_u32_e32 vcc, 0, v2
	v_xor_b32_e32 v2, vcc_hi, v37
	v_and_b32_e32 v37, exec_hi, v2
	v_lshlrev_b32_e32 v2, 30, v3
	v_xor_b32_e32 v4, vcc_lo, v4
	v_cmp_gt_i64_e32 vcc, 0, v[1:2]
	v_not_b32_e32 v2, v2
	v_ashrrev_i32_e32 v2, 31, v2
	v_and_b32_e32 v4, exec_lo, v4
	v_xor_b32_e32 v39, vcc_hi, v2
	v_xor_b32_e32 v2, vcc_lo, v2
	v_and_b32_e32 v4, v4, v2
	v_lshlrev_b32_e32 v2, 29, v3
	v_cmp_gt_i64_e32 vcc, 0, v[1:2]
	v_not_b32_e32 v2, v2
	v_ashrrev_i32_e32 v2, 31, v2
	v_and_b32_e32 v37, v37, v39
	v_xor_b32_e32 v39, vcc_hi, v2
	v_xor_b32_e32 v2, vcc_lo, v2
	v_and_b32_e32 v4, v4, v2
	v_lshlrev_b32_e32 v2, 28, v3
	v_cmp_gt_i64_e32 vcc, 0, v[1:2]
	v_not_b32_e32 v2, v2
	v_ashrrev_i32_e32 v2, 31, v2
	v_and_b32_e32 v37, v37, v39
	;; [unrolled: 8-line block ×5, first 2 shown]
	v_xor_b32_e32 v39, vcc_hi, v2
	v_xor_b32_e32 v2, vcc_lo, v2
	v_and_b32_e32 v4, v4, v2
	v_lshlrev_b32_e32 v2, 24, v3
	v_cmp_gt_i64_e32 vcc, 0, v[1:2]
	v_not_b32_e32 v1, v2
	v_ashrrev_i32_e32 v1, 31, v1
	v_mad_u32_u24 v35, v3, 20, v20
	v_xor_b32_e32 v2, vcc_hi, v1
	v_xor_b32_e32 v1, vcc_lo, v1
	; wave barrier
	ds_read_b32 v33, v35 offset:16
	v_and_b32_e32 v37, v37, v39
	v_and_b32_e32 v1, v4, v1
	;; [unrolled: 1-line block ×3, first 2 shown]
	v_mbcnt_lo_u32_b32 v3, v1, 0
	v_mbcnt_hi_u32_b32 v37, v2, v3
	v_cmp_ne_u64_e32 vcc, 0, v[1:2]
	v_cmp_eq_u32_e64 s[0:1], 0, v37
	s_and_b64 s[2:3], vcc, s[0:1]
	; wave barrier
	s_and_saveexec_b64 s[0:1], s[2:3]
	s_cbranch_execz .LBB191_165
; %bb.164:
	v_bcnt_u32_b32 v1, v1, 0
	v_bcnt_u32_b32 v1, v2, v1
	s_waitcnt lgkmcnt(0)
	v_add_u32_e32 v1, v33, v1
	ds_write_b32 v35, v1 offset:16
.LBB191_165:
	s_or_b64 exec, exec, s[0:1]
	v_mov_b32_e32 v4, 0x7fff
	v_cmp_gt_i16_e32 vcc, 0, v36
	v_cndmask_b32_e64 v1, v4, 0, vcc
	v_xor_b32_e32 v36, v1, v36
	s_movk_i32 s2, 0x8000
	v_cmp_ne_u16_e32 vcc, s2, v36
	v_cndmask_b32_e32 v1, v4, v36, vcc
	v_lshrrev_b32_sdwa v1, s68, v1 dst_sel:DWORD dst_unused:UNUSED_PAD src0_sel:DWORD src1_sel:WORD_0
	v_and_b32_e32 v3, s9, v1
	v_and_b32_e32 v2, 1, v3
	v_add_co_u32_e32 v41, vcc, -1, v2
	v_addc_co_u32_e64 v42, s[0:1], 0, -1, vcc
	v_cmp_ne_u32_e32 vcc, 0, v2
	v_xor_b32_e32 v2, vcc_hi, v42
	v_mov_b32_e32 v1, 0
	v_and_b32_e32 v42, exec_hi, v2
	v_lshlrev_b32_e32 v2, 30, v3
	v_xor_b32_e32 v41, vcc_lo, v41
	v_cmp_gt_i64_e32 vcc, 0, v[1:2]
	v_not_b32_e32 v2, v2
	v_ashrrev_i32_e32 v2, 31, v2
	v_and_b32_e32 v41, exec_lo, v41
	v_xor_b32_e32 v43, vcc_hi, v2
	v_xor_b32_e32 v2, vcc_lo, v2
	v_and_b32_e32 v41, v41, v2
	v_lshlrev_b32_e32 v2, 29, v3
	v_cmp_gt_i64_e32 vcc, 0, v[1:2]
	v_not_b32_e32 v2, v2
	v_ashrrev_i32_e32 v2, 31, v2
	v_and_b32_e32 v42, v42, v43
	v_xor_b32_e32 v43, vcc_hi, v2
	v_xor_b32_e32 v2, vcc_lo, v2
	v_and_b32_e32 v41, v41, v2
	v_lshlrev_b32_e32 v2, 28, v3
	v_cmp_gt_i64_e32 vcc, 0, v[1:2]
	v_not_b32_e32 v2, v2
	v_ashrrev_i32_e32 v2, 31, v2
	v_and_b32_e32 v42, v42, v43
	v_xor_b32_e32 v43, vcc_hi, v2
	v_xor_b32_e32 v2, vcc_lo, v2
	v_and_b32_e32 v41, v41, v2
	v_lshlrev_b32_e32 v2, 27, v3
	v_cmp_gt_i64_e32 vcc, 0, v[1:2]
	v_not_b32_e32 v2, v2
	v_ashrrev_i32_e32 v2, 31, v2
	v_and_b32_e32 v42, v42, v43
	v_xor_b32_e32 v43, vcc_hi, v2
	v_xor_b32_e32 v2, vcc_lo, v2
	v_and_b32_e32 v41, v41, v2
	v_lshlrev_b32_e32 v2, 26, v3
	v_cmp_gt_i64_e32 vcc, 0, v[1:2]
	v_not_b32_e32 v2, v2
	v_ashrrev_i32_e32 v2, 31, v2
	v_and_b32_e32 v42, v42, v43
	v_xor_b32_e32 v43, vcc_hi, v2
	v_xor_b32_e32 v2, vcc_lo, v2
	v_and_b32_e32 v41, v41, v2
	v_lshlrev_b32_e32 v2, 25, v3
	v_cmp_gt_i64_e32 vcc, 0, v[1:2]
	v_not_b32_e32 v2, v2
	v_ashrrev_i32_e32 v2, 31, v2
	v_and_b32_e32 v42, v42, v43
	v_xor_b32_e32 v43, vcc_hi, v2
	v_xor_b32_e32 v2, vcc_lo, v2
	v_and_b32_e32 v41, v41, v2
	v_lshlrev_b32_e32 v2, 24, v3
	v_cmp_gt_i64_e32 vcc, 0, v[1:2]
	v_not_b32_e32 v2, v2
	v_ashrrev_i32_e32 v2, 31, v2
	v_mad_u32_u24 v40, v3, 20, v20
	v_xor_b32_e32 v3, vcc_hi, v2
	v_xor_b32_e32 v2, vcc_lo, v2
	; wave barrier
	ds_read_b32 v39, v40 offset:16
	v_and_b32_e32 v42, v42, v43
	v_and_b32_e32 v2, v41, v2
	;; [unrolled: 1-line block ×3, first 2 shown]
	v_mbcnt_lo_u32_b32 v41, v2, 0
	v_mbcnt_hi_u32_b32 v41, v3, v41
	v_cmp_ne_u64_e32 vcc, 0, v[2:3]
	v_cmp_eq_u32_e64 s[0:1], 0, v41
	s_and_b64 s[4:5], vcc, s[0:1]
	; wave barrier
	s_and_saveexec_b64 s[0:1], s[4:5]
	s_cbranch_execz .LBB191_167
; %bb.166:
	v_bcnt_u32_b32 v2, v2, 0
	v_bcnt_u32_b32 v2, v3, v2
	s_waitcnt lgkmcnt(0)
	v_add_u32_e32 v2, v39, v2
	ds_write_b32 v40, v2 offset:16
.LBB191_167:
	s_or_b64 exec, exec, s[0:1]
	v_cmp_gt_i16_e32 vcc, 0, v38
	v_cndmask_b32_e64 v2, v4, 0, vcc
	v_xor_b32_e32 v38, v2, v38
	v_cmp_ne_u16_e32 vcc, s2, v38
	v_cndmask_b32_e32 v2, v4, v38, vcc
	v_lshrrev_b32_sdwa v2, s68, v2 dst_sel:DWORD dst_unused:UNUSED_PAD src0_sel:DWORD src1_sel:WORD_0
	v_and_b32_e32 v3, s9, v2
	v_and_b32_e32 v2, 1, v3
	v_add_co_u32_e32 v4, vcc, -1, v2
	v_addc_co_u32_e64 v44, s[0:1], 0, -1, vcc
	v_cmp_ne_u32_e32 vcc, 0, v2
	v_xor_b32_e32 v2, vcc_hi, v44
	v_and_b32_e32 v44, exec_hi, v2
	v_lshlrev_b32_e32 v2, 30, v3
	v_xor_b32_e32 v4, vcc_lo, v4
	v_cmp_gt_i64_e32 vcc, 0, v[1:2]
	v_not_b32_e32 v2, v2
	v_ashrrev_i32_e32 v2, 31, v2
	v_and_b32_e32 v4, exec_lo, v4
	v_xor_b32_e32 v45, vcc_hi, v2
	v_xor_b32_e32 v2, vcc_lo, v2
	v_and_b32_e32 v4, v4, v2
	v_lshlrev_b32_e32 v2, 29, v3
	v_cmp_gt_i64_e32 vcc, 0, v[1:2]
	v_not_b32_e32 v2, v2
	v_ashrrev_i32_e32 v2, 31, v2
	v_and_b32_e32 v44, v44, v45
	v_xor_b32_e32 v45, vcc_hi, v2
	v_xor_b32_e32 v2, vcc_lo, v2
	v_and_b32_e32 v4, v4, v2
	v_lshlrev_b32_e32 v2, 28, v3
	v_cmp_gt_i64_e32 vcc, 0, v[1:2]
	v_not_b32_e32 v2, v2
	v_ashrrev_i32_e32 v2, 31, v2
	v_and_b32_e32 v44, v44, v45
	;; [unrolled: 8-line block ×5, first 2 shown]
	v_xor_b32_e32 v45, vcc_hi, v2
	v_xor_b32_e32 v2, vcc_lo, v2
	v_and_b32_e32 v4, v4, v2
	v_lshlrev_b32_e32 v2, 24, v3
	v_cmp_gt_i64_e32 vcc, 0, v[1:2]
	v_not_b32_e32 v1, v2
	v_ashrrev_i32_e32 v1, 31, v1
	v_mad_u32_u24 v43, v3, 20, v20
	v_xor_b32_e32 v2, vcc_hi, v1
	v_xor_b32_e32 v1, vcc_lo, v1
	; wave barrier
	ds_read_b32 v42, v43 offset:16
	v_and_b32_e32 v44, v44, v45
	v_and_b32_e32 v1, v4, v1
	;; [unrolled: 1-line block ×3, first 2 shown]
	v_mbcnt_lo_u32_b32 v3, v1, 0
	v_mbcnt_hi_u32_b32 v44, v2, v3
	v_cmp_ne_u64_e32 vcc, 0, v[1:2]
	v_cmp_eq_u32_e64 s[0:1], 0, v44
	s_and_b64 s[2:3], vcc, s[0:1]
	; wave barrier
	s_and_saveexec_b64 s[0:1], s[2:3]
	s_cbranch_execz .LBB191_169
; %bb.168:
	v_bcnt_u32_b32 v1, v1, 0
	v_bcnt_u32_b32 v1, v2, v1
	s_waitcnt lgkmcnt(0)
	v_add_u32_e32 v1, v42, v1
	ds_write_b32 v43, v1 offset:16
.LBB191_169:
	s_or_b64 exec, exec, s[0:1]
	v_mov_b32_e32 v4, 0x7fff
	v_cmp_gt_i16_e32 vcc, 0, v34
	v_cndmask_b32_e64 v1, v4, 0, vcc
	v_xor_b32_e32 v34, v1, v34
	s_movk_i32 s2, 0x8000
	v_cmp_ne_u16_e32 vcc, s2, v34
	v_cndmask_b32_e32 v1, v4, v34, vcc
	v_lshrrev_b32_sdwa v1, s68, v1 dst_sel:DWORD dst_unused:UNUSED_PAD src0_sel:DWORD src1_sel:WORD_0
	v_and_b32_e32 v3, s9, v1
	v_and_b32_e32 v2, 1, v3
	v_add_co_u32_e32 v47, vcc, -1, v2
	v_addc_co_u32_e64 v48, s[0:1], 0, -1, vcc
	v_cmp_ne_u32_e32 vcc, 0, v2
	v_xor_b32_e32 v2, vcc_hi, v48
	v_mov_b32_e32 v1, 0
	v_and_b32_e32 v48, exec_hi, v2
	v_lshlrev_b32_e32 v2, 30, v3
	v_xor_b32_e32 v47, vcc_lo, v47
	v_cmp_gt_i64_e32 vcc, 0, v[1:2]
	v_not_b32_e32 v2, v2
	v_ashrrev_i32_e32 v2, 31, v2
	v_and_b32_e32 v47, exec_lo, v47
	v_xor_b32_e32 v49, vcc_hi, v2
	v_xor_b32_e32 v2, vcc_lo, v2
	v_and_b32_e32 v47, v47, v2
	v_lshlrev_b32_e32 v2, 29, v3
	v_cmp_gt_i64_e32 vcc, 0, v[1:2]
	v_not_b32_e32 v2, v2
	v_ashrrev_i32_e32 v2, 31, v2
	v_and_b32_e32 v48, v48, v49
	v_xor_b32_e32 v49, vcc_hi, v2
	v_xor_b32_e32 v2, vcc_lo, v2
	v_and_b32_e32 v47, v47, v2
	v_lshlrev_b32_e32 v2, 28, v3
	v_cmp_gt_i64_e32 vcc, 0, v[1:2]
	v_not_b32_e32 v2, v2
	v_ashrrev_i32_e32 v2, 31, v2
	v_and_b32_e32 v48, v48, v49
	;; [unrolled: 8-line block ×5, first 2 shown]
	v_xor_b32_e32 v49, vcc_hi, v2
	v_xor_b32_e32 v2, vcc_lo, v2
	v_and_b32_e32 v47, v47, v2
	v_lshlrev_b32_e32 v2, 24, v3
	v_cmp_gt_i64_e32 vcc, 0, v[1:2]
	v_not_b32_e32 v2, v2
	v_ashrrev_i32_e32 v2, 31, v2
	v_mad_u32_u24 v46, v3, 20, v20
	v_xor_b32_e32 v3, vcc_hi, v2
	v_xor_b32_e32 v2, vcc_lo, v2
	; wave barrier
	ds_read_b32 v45, v46 offset:16
	v_and_b32_e32 v48, v48, v49
	v_and_b32_e32 v2, v47, v2
	v_and_b32_e32 v3, v48, v3
	v_mbcnt_lo_u32_b32 v47, v2, 0
	v_mbcnt_hi_u32_b32 v48, v3, v47
	v_cmp_ne_u64_e32 vcc, 0, v[2:3]
	v_cmp_eq_u32_e64 s[0:1], 0, v48
	s_and_b64 s[4:5], vcc, s[0:1]
	; wave barrier
	s_and_saveexec_b64 s[0:1], s[4:5]
	s_cbranch_execz .LBB191_171
; %bb.170:
	v_bcnt_u32_b32 v2, v2, 0
	v_bcnt_u32_b32 v2, v3, v2
	s_waitcnt lgkmcnt(0)
	v_add_u32_e32 v2, v45, v2
	ds_write_b32 v46, v2 offset:16
.LBB191_171:
	s_or_b64 exec, exec, s[0:1]
	v_cmp_gt_i16_e32 vcc, 0, v28
	v_cndmask_b32_e64 v2, v4, 0, vcc
	v_xor_b32_e32 v47, v2, v28
	v_cmp_ne_u16_e32 vcc, s2, v47
	v_cndmask_b32_e32 v2, v4, v47, vcc
	v_lshrrev_b32_sdwa v2, s68, v2 dst_sel:DWORD dst_unused:UNUSED_PAD src0_sel:DWORD src1_sel:WORD_0
	v_and_b32_e32 v3, s9, v2
	v_and_b32_e32 v2, 1, v3
	v_add_co_u32_e32 v4, vcc, -1, v2
	v_addc_co_u32_e64 v50, s[0:1], 0, -1, vcc
	v_cmp_ne_u32_e32 vcc, 0, v2
	v_xor_b32_e32 v2, vcc_hi, v50
	v_and_b32_e32 v50, exec_hi, v2
	v_lshlrev_b32_e32 v2, 30, v3
	v_xor_b32_e32 v4, vcc_lo, v4
	v_cmp_gt_i64_e32 vcc, 0, v[1:2]
	v_not_b32_e32 v2, v2
	v_ashrrev_i32_e32 v2, 31, v2
	v_and_b32_e32 v4, exec_lo, v4
	v_xor_b32_e32 v51, vcc_hi, v2
	v_xor_b32_e32 v2, vcc_lo, v2
	v_and_b32_e32 v4, v4, v2
	v_lshlrev_b32_e32 v2, 29, v3
	v_cmp_gt_i64_e32 vcc, 0, v[1:2]
	v_not_b32_e32 v2, v2
	v_ashrrev_i32_e32 v2, 31, v2
	v_and_b32_e32 v50, v50, v51
	v_xor_b32_e32 v51, vcc_hi, v2
	v_xor_b32_e32 v2, vcc_lo, v2
	v_and_b32_e32 v4, v4, v2
	v_lshlrev_b32_e32 v2, 28, v3
	v_cmp_gt_i64_e32 vcc, 0, v[1:2]
	v_not_b32_e32 v2, v2
	v_ashrrev_i32_e32 v2, 31, v2
	v_and_b32_e32 v50, v50, v51
	;; [unrolled: 8-line block ×5, first 2 shown]
	v_xor_b32_e32 v51, vcc_hi, v2
	v_xor_b32_e32 v2, vcc_lo, v2
	v_and_b32_e32 v4, v4, v2
	v_lshlrev_b32_e32 v2, 24, v3
	v_cmp_gt_i64_e32 vcc, 0, v[1:2]
	v_not_b32_e32 v1, v2
	v_ashrrev_i32_e32 v1, 31, v1
	v_mad_u32_u24 v28, v3, 20, v20
	v_xor_b32_e32 v2, vcc_hi, v1
	v_xor_b32_e32 v1, vcc_lo, v1
	; wave barrier
	ds_read_b32 v49, v28 offset:16
	v_and_b32_e32 v50, v50, v51
	v_and_b32_e32 v1, v4, v1
	;; [unrolled: 1-line block ×3, first 2 shown]
	v_mbcnt_lo_u32_b32 v3, v1, 0
	v_mbcnt_hi_u32_b32 v51, v2, v3
	v_cmp_ne_u64_e32 vcc, 0, v[1:2]
	v_cmp_eq_u32_e64 s[0:1], 0, v51
	s_and_b64 s[2:3], vcc, s[0:1]
	; wave barrier
	s_and_saveexec_b64 s[0:1], s[2:3]
	s_cbranch_execz .LBB191_173
; %bb.172:
	v_bcnt_u32_b32 v1, v1, 0
	v_bcnt_u32_b32 v1, v2, v1
	s_waitcnt lgkmcnt(0)
	v_add_u32_e32 v1, v49, v1
	ds_write_b32 v28, v1 offset:16
.LBB191_173:
	s_or_b64 exec, exec, s[0:1]
	v_mov_b32_e32 v4, 0x7fff
	v_cmp_gt_i16_e32 vcc, 0, v24
	v_cndmask_b32_e64 v1, v4, 0, vcc
	v_xor_b32_e32 v50, v1, v24
	s_movk_i32 s2, 0x8000
	v_cmp_ne_u16_e32 vcc, s2, v50
	v_cndmask_b32_e32 v1, v4, v50, vcc
	v_lshrrev_b32_sdwa v1, s68, v1 dst_sel:DWORD dst_unused:UNUSED_PAD src0_sel:DWORD src1_sel:WORD_0
	v_and_b32_e32 v3, s9, v1
	v_and_b32_e32 v2, 1, v3
	v_add_co_u32_e32 v53, vcc, -1, v2
	v_addc_co_u32_e64 v54, s[0:1], 0, -1, vcc
	v_cmp_ne_u32_e32 vcc, 0, v2
	v_xor_b32_e32 v2, vcc_hi, v54
	v_mov_b32_e32 v1, 0
	v_and_b32_e32 v54, exec_hi, v2
	v_lshlrev_b32_e32 v2, 30, v3
	v_xor_b32_e32 v53, vcc_lo, v53
	v_cmp_gt_i64_e32 vcc, 0, v[1:2]
	v_not_b32_e32 v2, v2
	v_ashrrev_i32_e32 v2, 31, v2
	v_and_b32_e32 v53, exec_lo, v53
	v_xor_b32_e32 v55, vcc_hi, v2
	v_xor_b32_e32 v2, vcc_lo, v2
	v_and_b32_e32 v53, v53, v2
	v_lshlrev_b32_e32 v2, 29, v3
	v_cmp_gt_i64_e32 vcc, 0, v[1:2]
	v_not_b32_e32 v2, v2
	v_ashrrev_i32_e32 v2, 31, v2
	v_and_b32_e32 v54, v54, v55
	v_xor_b32_e32 v55, vcc_hi, v2
	v_xor_b32_e32 v2, vcc_lo, v2
	v_and_b32_e32 v53, v53, v2
	v_lshlrev_b32_e32 v2, 28, v3
	v_cmp_gt_i64_e32 vcc, 0, v[1:2]
	v_not_b32_e32 v2, v2
	v_ashrrev_i32_e32 v2, 31, v2
	v_and_b32_e32 v54, v54, v55
	;; [unrolled: 8-line block ×5, first 2 shown]
	v_xor_b32_e32 v55, vcc_hi, v2
	v_xor_b32_e32 v2, vcc_lo, v2
	v_and_b32_e32 v53, v53, v2
	v_lshlrev_b32_e32 v2, 24, v3
	v_cmp_gt_i64_e32 vcc, 0, v[1:2]
	v_not_b32_e32 v2, v2
	v_ashrrev_i32_e32 v2, 31, v2
	v_mad_u32_u24 v24, v3, 20, v20
	v_xor_b32_e32 v3, vcc_hi, v2
	v_xor_b32_e32 v2, vcc_lo, v2
	; wave barrier
	ds_read_b32 v52, v24 offset:16
	v_and_b32_e32 v54, v54, v55
	v_and_b32_e32 v2, v53, v2
	;; [unrolled: 1-line block ×3, first 2 shown]
	v_mbcnt_lo_u32_b32 v53, v2, 0
	v_mbcnt_hi_u32_b32 v54, v3, v53
	v_cmp_ne_u64_e32 vcc, 0, v[2:3]
	v_cmp_eq_u32_e64 s[0:1], 0, v54
	s_and_b64 s[4:5], vcc, s[0:1]
	; wave barrier
	s_and_saveexec_b64 s[0:1], s[4:5]
	s_cbranch_execz .LBB191_175
; %bb.174:
	v_bcnt_u32_b32 v2, v2, 0
	v_bcnt_u32_b32 v2, v3, v2
	s_waitcnt lgkmcnt(0)
	v_add_u32_e32 v2, v52, v2
	ds_write_b32 v24, v2 offset:16
.LBB191_175:
	s_or_b64 exec, exec, s[0:1]
	v_cmp_gt_i16_e32 vcc, 0, v17
	v_cndmask_b32_e64 v2, v4, 0, vcc
	v_xor_b32_e32 v53, v2, v17
	v_cmp_ne_u16_e32 vcc, s2, v53
	v_cndmask_b32_e32 v2, v4, v53, vcc
	v_lshrrev_b32_sdwa v2, s68, v2 dst_sel:DWORD dst_unused:UNUSED_PAD src0_sel:DWORD src1_sel:WORD_0
	v_and_b32_e32 v3, s9, v2
	v_and_b32_e32 v2, 1, v3
	v_add_co_u32_e32 v4, vcc, -1, v2
	v_mad_u32_u24 v17, v3, 20, v20
	v_addc_co_u32_e64 v20, s[0:1], 0, -1, vcc
	v_cmp_ne_u32_e32 vcc, 0, v2
	v_xor_b32_e32 v2, vcc_hi, v20
	v_and_b32_e32 v20, exec_hi, v2
	v_lshlrev_b32_e32 v2, 30, v3
	v_xor_b32_e32 v4, vcc_lo, v4
	v_cmp_gt_i64_e32 vcc, 0, v[1:2]
	v_not_b32_e32 v2, v2
	v_ashrrev_i32_e32 v2, 31, v2
	v_and_b32_e32 v4, exec_lo, v4
	v_xor_b32_e32 v56, vcc_hi, v2
	v_xor_b32_e32 v2, vcc_lo, v2
	v_and_b32_e32 v4, v4, v2
	v_lshlrev_b32_e32 v2, 29, v3
	v_cmp_gt_i64_e32 vcc, 0, v[1:2]
	v_not_b32_e32 v2, v2
	v_ashrrev_i32_e32 v2, 31, v2
	v_and_b32_e32 v20, v20, v56
	v_xor_b32_e32 v56, vcc_hi, v2
	v_xor_b32_e32 v2, vcc_lo, v2
	v_and_b32_e32 v4, v4, v2
	v_lshlrev_b32_e32 v2, 28, v3
	v_cmp_gt_i64_e32 vcc, 0, v[1:2]
	v_not_b32_e32 v2, v2
	v_ashrrev_i32_e32 v2, 31, v2
	v_and_b32_e32 v20, v20, v56
	;; [unrolled: 8-line block ×5, first 2 shown]
	v_xor_b32_e32 v56, vcc_hi, v2
	v_xor_b32_e32 v2, vcc_lo, v2
	v_and_b32_e32 v4, v4, v2
	v_lshlrev_b32_e32 v2, 24, v3
	v_cmp_gt_i64_e32 vcc, 0, v[1:2]
	v_not_b32_e32 v1, v2
	v_ashrrev_i32_e32 v1, 31, v1
	v_xor_b32_e32 v2, vcc_hi, v1
	v_xor_b32_e32 v1, vcc_lo, v1
	; wave barrier
	ds_read_b32 v55, v17 offset:16
	v_and_b32_e32 v20, v20, v56
	v_and_b32_e32 v1, v4, v1
	;; [unrolled: 1-line block ×3, first 2 shown]
	v_mbcnt_lo_u32_b32 v3, v1, 0
	v_mbcnt_hi_u32_b32 v56, v2, v3
	v_cmp_ne_u64_e32 vcc, 0, v[1:2]
	v_cmp_eq_u32_e64 s[0:1], 0, v56
	s_and_b64 s[2:3], vcc, s[0:1]
	; wave barrier
	s_and_saveexec_b64 s[0:1], s[2:3]
	s_cbranch_execz .LBB191_177
; %bb.176:
	v_bcnt_u32_b32 v1, v1, 0
	v_bcnt_u32_b32 v1, v2, v1
	s_waitcnt lgkmcnt(0)
	v_add_u32_e32 v1, v55, v1
	ds_write_b32 v17, v1 offset:16
.LBB191_177:
	s_or_b64 exec, exec, s[0:1]
	; wave barrier
	s_waitcnt lgkmcnt(0)
	s_barrier
	ds_read2_b32 v[3:4], v6 offset0:4 offset1:5
	ds_read2_b32 v[1:2], v6 offset0:6 offset1:7
	ds_read_b32 v20, v6 offset:32
	v_min_u32_e32 v9, 0xc0, v9
	v_or_b32_e32 v9, 63, v9
	s_waitcnt lgkmcnt(1)
	v_add3_u32 v57, v4, v3, v1
	s_waitcnt lgkmcnt(0)
	v_add3_u32 v20, v57, v2, v20
	v_and_b32_e32 v57, 15, v8
	v_cmp_ne_u32_e32 vcc, 0, v57
	v_mov_b32_dpp v58, v20 row_shr:1 row_mask:0xf bank_mask:0xf
	v_cndmask_b32_e32 v58, 0, v58, vcc
	v_add_u32_e32 v20, v58, v20
	v_cmp_lt_u32_e32 vcc, 1, v57
	s_nop 0
	v_mov_b32_dpp v58, v20 row_shr:2 row_mask:0xf bank_mask:0xf
	v_cndmask_b32_e32 v58, 0, v58, vcc
	v_add_u32_e32 v20, v20, v58
	v_cmp_lt_u32_e32 vcc, 3, v57
	s_nop 0
	;; [unrolled: 5-line block ×3, first 2 shown]
	v_mov_b32_dpp v58, v20 row_shr:8 row_mask:0xf bank_mask:0xf
	v_cndmask_b32_e32 v57, 0, v58, vcc
	v_add_u32_e32 v20, v20, v57
	v_bfe_i32 v58, v8, 4, 1
	v_cmp_lt_u32_e32 vcc, 31, v8
	v_mov_b32_dpp v57, v20 row_bcast:15 row_mask:0xf bank_mask:0xf
	v_and_b32_e32 v57, v58, v57
	v_add_u32_e32 v20, v20, v57
	s_nop 1
	v_mov_b32_dpp v57, v20 row_bcast:31 row_mask:0xf bank_mask:0xf
	v_cndmask_b32_e32 v57, 0, v57, vcc
	v_add_u32_e32 v20, v20, v57
	v_lshrrev_b32_e32 v57, 6, v0
	v_cmp_eq_u32_e32 vcc, v0, v9
	s_and_saveexec_b64 s[0:1], vcc
; %bb.178:
	v_lshlrev_b32_e32 v9, 2, v57
	ds_write_b32 v9, v20
; %bb.179:
	s_or_b64 exec, exec, s[0:1]
	v_cmp_gt_u32_e32 vcc, 4, v0
	s_waitcnt lgkmcnt(0)
	s_barrier
	s_and_saveexec_b64 s[0:1], vcc
	s_cbranch_execz .LBB191_181
; %bb.180:
	v_lshlrev_b32_e32 v9, 2, v0
	ds_read_b32 v58, v9
	v_and_b32_e32 v59, 3, v8
	v_cmp_ne_u32_e32 vcc, 0, v59
	s_waitcnt lgkmcnt(0)
	v_mov_b32_dpp v60, v58 row_shr:1 row_mask:0xf bank_mask:0xf
	v_cndmask_b32_e32 v60, 0, v60, vcc
	v_add_u32_e32 v58, v60, v58
	v_cmp_lt_u32_e32 vcc, 1, v59
	s_nop 0
	v_mov_b32_dpp v60, v58 row_shr:2 row_mask:0xf bank_mask:0xf
	v_cndmask_b32_e32 v59, 0, v60, vcc
	v_add_u32_e32 v58, v58, v59
	ds_write_b32 v9, v58
.LBB191_181:
	s_or_b64 exec, exec, s[0:1]
	v_cmp_lt_u32_e32 vcc, 63, v0
	v_mov_b32_e32 v9, 0
	s_waitcnt lgkmcnt(0)
	s_barrier
	s_and_saveexec_b64 s[0:1], vcc
; %bb.182:
	v_lshl_add_u32 v9, v57, 2, -4
	ds_read_b32 v9, v9
; %bb.183:
	s_or_b64 exec, exec, s[0:1]
	v_add_u32_e32 v57, -1, v8
	v_and_b32_e32 v58, 64, v8
	v_cmp_lt_i32_e32 vcc, v57, v58
	v_cndmask_b32_e32 v57, v57, v8, vcc
	s_waitcnt lgkmcnt(0)
	v_add_u32_e32 v20, v9, v20
	v_lshlrev_b32_e32 v57, 2, v57
	ds_bpermute_b32 v20, v57, v20
	v_cmp_eq_u32_e32 vcc, 0, v8
	s_movk_i32 s0, 0x100
	s_waitcnt lgkmcnt(0)
	v_cndmask_b32_e32 v9, v20, v9, vcc
	v_cmp_ne_u32_e32 vcc, 0, v0
	v_cndmask_b32_e32 v9, 0, v9, vcc
	v_add_u32_e32 v3, v9, v3
	v_add_u32_e32 v4, v3, v4
	;; [unrolled: 1-line block ×4, first 2 shown]
	ds_write2_b32 v6, v9, v3 offset0:4 offset1:5
	ds_write2_b32 v6, v4, v1 offset0:6 offset1:7
	ds_write_b32 v6, v2 offset:32
	s_waitcnt lgkmcnt(0)
	s_barrier
	ds_read_b32 v2, v43 offset:16
	ds_read_b32 v3, v46 offset:16
	;; [unrolled: 1-line block ×13, first 2 shown]
	v_add_u32_e32 v6, 1, v0
	v_cmp_ne_u32_e32 vcc, s0, v6
	v_mov_b32_e32 v1, 0xc00
	s_and_saveexec_b64 s[0:1], vcc
; %bb.184:
	v_mul_u32_u24_e32 v1, 20, v6
	ds_read_b32 v1, v1 offset:16
; %bb.185:
	s_or_b64 exec, exec, s[0:1]
	s_waitcnt lgkmcnt(7)
	v_add_u32_e32 v28, v10, v11
	s_waitcnt lgkmcnt(6)
	v_add3_u32 v25, v15, v13, v14
	s_waitcnt lgkmcnt(5)
	v_add3_u32 v24, v22, v18, v17
	v_add3_u32 v17, v44, v42, v2
	v_lshlrev_b32_e32 v2, 1, v28
	s_waitcnt lgkmcnt(0)
	s_barrier
	ds_write_b16 v2, v5 offset:2048
	v_lshlrev_b32_e32 v2, 1, v25
	v_add3_u32 v22, v26, v23, v19
	ds_write_b16 v2, v12 offset:2048
	v_lshlrev_b32_e32 v2, 1, v24
	v_add3_u32 v20, v32, v29, v20
	;; [unrolled: 3-line block ×4, first 2 shown]
	ds_write_b16 v2, v27 offset:2048
	v_lshlrev_b32_e32 v2, 1, v19
	ds_write_b16 v2, v31 offset:2048
	v_lshlrev_b32_e32 v2, 1, v18
	v_add3_u32 v15, v48, v45, v3
	ds_write_b16 v2, v36 offset:2048
	v_lshlrev_b32_e32 v2, 1, v17
	v_add3_u32 v14, v51, v49, v4
	;; [unrolled: 3-line block ×4, first 2 shown]
	ds_write_b16 v2, v47 offset:2048
	v_lshlrev_b32_e32 v2, 1, v13
	ds_write_b16 v2, v50 offset:2048
	v_lshlrev_b32_e32 v2, 1, v11
	ds_write_b16 v2, v53 offset:2048
	v_sub_u32_e32 v10, v1, v9
	v_lshl_or_b32 v1, s6, 8, v0
	v_mov_b32_e32 v2, 0
	v_lshlrev_b64 v[3:4], 2, v[1:2]
	v_mov_b32_e32 v12, s73
	v_add_co_u32_e32 v3, vcc, s72, v3
	v_addc_co_u32_e32 v4, vcc, v12, v4, vcc
	v_or_b32_e32 v1, 2.0, v10
	s_mov_b64 s[0:1], 0
	s_brev_b32 s10, -4
	v_mov_b32_e32 v16, 0
	s_waitcnt lgkmcnt(0)
	s_barrier
	global_store_dword v[3:4], v1, off
                                        ; implicit-def: $sgpr2_sgpr3
	s_branch .LBB191_188
.LBB191_186:                            ;   in Loop: Header=BB191_188 Depth=1
	s_or_b64 exec, exec, s[4:5]
.LBB191_187:                            ;   in Loop: Header=BB191_188 Depth=1
	s_or_b64 exec, exec, s[2:3]
	v_and_b32_e32 v5, 0x3fffffff, v1
	v_add_u32_e32 v16, v5, v16
	v_cmp_gt_i32_e64 s[2:3], -2.0, v1
	s_and_b64 s[4:5], exec, s[2:3]
	s_or_b64 s[0:1], s[4:5], s[0:1]
	s_andn2_b64 exec, exec, s[0:1]
	s_cbranch_execz .LBB191_193
.LBB191_188:                            ; =>This Loop Header: Depth=1
                                        ;     Child Loop BB191_191 Depth 2
	s_or_b64 s[2:3], s[2:3], exec
	s_cmp_eq_u32 s7, 0
	s_cbranch_scc1 .LBB191_192
; %bb.189:                              ;   in Loop: Header=BB191_188 Depth=1
	s_add_i32 s7, s7, -1
	v_lshl_or_b32 v1, s7, 8, v0
	v_lshlrev_b64 v[5:6], 2, v[1:2]
	v_add_co_u32_e32 v5, vcc, s72, v5
	v_addc_co_u32_e32 v6, vcc, v12, v6, vcc
	global_load_dword v1, v[5:6], off glc
	s_waitcnt vmcnt(0)
	v_cmp_gt_u32_e32 vcc, 2.0, v1
	s_and_saveexec_b64 s[2:3], vcc
	s_cbranch_execz .LBB191_187
; %bb.190:                              ;   in Loop: Header=BB191_188 Depth=1
	s_mov_b64 s[4:5], 0
.LBB191_191:                            ;   Parent Loop BB191_188 Depth=1
                                        ; =>  This Inner Loop Header: Depth=2
	global_load_dword v1, v[5:6], off glc
	s_waitcnt vmcnt(0)
	v_cmp_lt_u32_e32 vcc, s10, v1
	s_or_b64 s[4:5], vcc, s[4:5]
	s_andn2_b64 exec, exec, s[4:5]
	s_cbranch_execnz .LBB191_191
	s_branch .LBB191_186
.LBB191_192:                            ;   in Loop: Header=BB191_188 Depth=1
                                        ; implicit-def: $sgpr7
	s_and_b64 s[4:5], exec, s[2:3]
	s_or_b64 s[0:1], s[4:5], s[0:1]
	s_andn2_b64 exec, exec, s[0:1]
	s_cbranch_execnz .LBB191_188
.LBB191_193:
	s_or_b64 exec, exec, s[0:1]
	v_add_u32_e32 v2, v16, v10
	v_or_b32_e32 v2, 0x80000000, v2
	v_lshlrev_b32_e32 v1, 3, v0
	global_store_dword v[3:4], v2, off
	global_load_dwordx2 v[2:3], v1, s[64:65]
	v_sub_co_u32_e32 v4, vcc, v16, v9
	v_subb_co_u32_e64 v5, s[0:1], 0, 0, vcc
	s_movk_i32 s0, 0x8000
	v_mad_i32_i24 v47, v0, -6, v1
	v_mov_b32_e32 v6, 0x7fff
	v_mov_b32_e32 v12, s59
	;; [unrolled: 1-line block ×4, first 2 shown]
	v_lshlrev_b32_e32 v16, 1, v0
	v_or_b32_e32 v55, 0x800, v0
	v_or_b32_e32 v56, 0x900, v0
	;; [unrolled: 1-line block ×4, first 2 shown]
	v_mad_u32_u24 v0, v0, 6, v47
	s_waitcnt vmcnt(0)
	v_add_co_u32_e32 v2, vcc, v4, v2
	v_addc_co_u32_e32 v3, vcc, v5, v3, vcc
	ds_write_b64 v1, v[2:3]
	s_waitcnt lgkmcnt(0)
	s_barrier
	ds_read_u16 v2, v47 offset:2048
	ds_read_u16 v3, v47 offset:2560
	;; [unrolled: 1-line block ×8, first 2 shown]
	s_waitcnt lgkmcnt(7)
	v_cmp_ne_u16_e32 vcc, s0, v2
	v_cndmask_b32_e32 v5, v6, v2, vcc
	v_cmp_gt_i16_e32 vcc, 0, v2
	v_cndmask_b32_e64 v26, v6, 0, vcc
	s_waitcnt lgkmcnt(6)
	v_cmp_ne_u16_e32 vcc, s0, v3
	v_cndmask_b32_e32 v27, v6, v3, vcc
	v_cmp_gt_i16_e32 vcc, 0, v3
	v_cndmask_b32_e64 v29, v6, 0, vcc
	;; [unrolled: 5-line block ×3, first 2 shown]
	s_waitcnt lgkmcnt(4)
	v_cmp_ne_u16_e32 vcc, s0, v33
	v_cndmask_b32_e32 v32, v6, v33, vcc
	s_waitcnt lgkmcnt(3)
	v_cmp_ne_u16_e32 vcc, s0, v34
	v_cndmask_b32_e32 v38, v6, v34, vcc
	v_xor_b32_e32 v39, v26, v2
	v_lshrrev_b32_sdwa v2, s68, v27 dst_sel:DWORD dst_unused:UNUSED_PAD src0_sel:DWORD src1_sel:WORD_0
	v_lshrrev_b32_sdwa v5, s68, v5 dst_sel:DWORD dst_unused:UNUSED_PAD src0_sel:DWORD src1_sel:WORD_0
	v_xor_b32_e32 v40, v29, v3
	v_lshrrev_b32_sdwa v3, s68, v30 dst_sel:DWORD dst_unused:UNUSED_PAD src0_sel:DWORD src1_sel:WORD_0
	v_xor_b32_e32 v41, v31, v4
	v_lshrrev_b32_sdwa v4, s68, v32 dst_sel:DWORD dst_unused:UNUSED_PAD src0_sel:DWORD src1_sel:WORD_0
	v_lshrrev_b32_sdwa v26, s68, v38 dst_sel:DWORD dst_unused:UNUSED_PAD src0_sel:DWORD src1_sel:WORD_0
	v_and_b32_e32 v2, s9, v2
	v_and_b32_e32 v5, s9, v5
	;; [unrolled: 1-line block ×5, first 2 shown]
	v_lshlrev_b32_e32 v49, 3, v2
	v_lshlrev_b32_e32 v48, 3, v5
	;; [unrolled: 1-line block ×5, first 2 shown]
	ds_read_b64 v[2:3], v49
	ds_read_b64 v[4:5], v50
	;; [unrolled: 1-line block ×5, first 2 shown]
	ds_read_u16 v38, v47 offset:6144
	ds_read_u16 v42, v47 offset:6656
	;; [unrolled: 1-line block ×4, first 2 shown]
	s_waitcnt lgkmcnt(4)
	v_lshlrev_b64 v[31:32], 1, v[31:32]
	v_lshlrev_b64 v[2:3], 1, v[2:3]
	v_add_co_u32_e32 v31, vcc, s58, v31
	v_addc_co_u32_e32 v12, vcc, v12, v32, vcc
	v_lshlrev_b64 v[4:5], 1, v[4:5]
	v_add_co_u32_e32 v32, vcc, s58, v2
	v_addc_co_u32_e32 v21, vcc, v21, v3, vcc
	v_add_co_u32_e32 v45, vcc, s58, v4
	v_addc_co_u32_e32 v23, vcc, v23, v5, vcc
	;; [unrolled: 2-line block ×4, first 2 shown]
	global_store_short v[2:3], v39, off
	global_store_short v[4:5], v40, off offset:512
	v_add_co_u32_e32 v2, vcc, v45, v16
	v_addc_co_u32_e32 v3, vcc, 0, v23, vcc
	v_cmp_gt_i16_e32 vcc, 0, v33
	global_store_short v[2:3], v41, off offset:1024
	v_cndmask_b32_e64 v2, v6, 0, vcc
	v_xor_b32_e32 v4, v2, v33
	v_lshlrev_b64 v[2:3], 1, v[26:27]
	v_mov_b32_e32 v5, s59
	v_add_co_u32_e32 v2, vcc, s58, v2
	v_addc_co_u32_e32 v3, vcc, v5, v3, vcc
	v_add_co_u32_e32 v2, vcc, v2, v16
	v_addc_co_u32_e32 v3, vcc, 0, v3, vcc
	v_cmp_gt_i16_e32 vcc, 0, v34
	global_store_short v[2:3], v4, off offset:1536
	v_cndmask_b32_e64 v2, v6, 0, vcc
	v_xor_b32_e32 v4, v2, v34
	v_lshlrev_b64 v[2:3], 1, v[29:30]
	v_mov_b32_e32 v31, s59
	v_add_co_u32_e32 v2, vcc, s58, v2
	v_addc_co_u32_e32 v3, vcc, v5, v3, vcc
	v_add_co_u32_e32 v2, vcc, v2, v16
	v_addc_co_u32_e32 v3, vcc, 0, v3, vcc
	v_cmp_ne_u16_e32 vcc, s0, v35
	global_store_short v[2:3], v4, off offset:2048
	v_cndmask_b32_e32 v2, v6, v35, vcc
	v_lshrrev_b32_sdwa v2, s68, v2 dst_sel:DWORD dst_unused:UNUSED_PAD src0_sel:DWORD src1_sel:WORD_0
	v_and_b32_e32 v2, s9, v2
	v_cmp_gt_i16_e32 vcc, 0, v35
	v_cndmask_b32_e64 v3, v6, 0, vcc
	v_lshlrev_b32_e32 v21, 3, v2
	v_xor_b32_e32 v12, v3, v35
	ds_read_b64 v[2:3], v21
	v_cmp_ne_u16_e32 vcc, s0, v36
	v_cndmask_b32_e32 v4, v6, v36, vcc
	v_lshrrev_b32_sdwa v4, s68, v4 dst_sel:DWORD dst_unused:UNUSED_PAD src0_sel:DWORD src1_sel:WORD_0
	v_and_b32_e32 v4, s9, v4
	v_cmp_ne_u16_e32 vcc, s0, v37
	v_lshlrev_b32_e32 v23, 3, v4
	v_cndmask_b32_e32 v4, v6, v37, vcc
	v_lshrrev_b32_sdwa v4, s68, v4 dst_sel:DWORD dst_unused:UNUSED_PAD src0_sel:DWORD src1_sel:WORD_0
	s_waitcnt lgkmcnt(0)
	v_lshlrev_b64 v[2:3], 1, v[2:3]
	v_and_b32_e32 v4, s9, v4
	v_cmp_ne_u16_e32 vcc, s0, v38
	v_lshlrev_b32_e32 v53, 3, v4
	v_cndmask_b32_e32 v4, v6, v38, vcc
	v_add_co_u32_e32 v2, vcc, s58, v2
	v_lshrrev_b32_sdwa v4, s68, v4 dst_sel:DWORD dst_unused:UNUSED_PAD src0_sel:DWORD src1_sel:WORD_0
	v_addc_co_u32_e32 v3, vcc, v31, v3, vcc
	v_and_b32_e32 v4, s9, v4
	v_add_co_u32_e32 v2, vcc, v2, v16
	v_lshlrev_b32_e32 v54, 3, v4
	ds_read_b64 v[4:5], v23
	ds_read_b64 v[26:27], v53
	;; [unrolled: 1-line block ×3, first 2 shown]
	v_addc_co_u32_e32 v3, vcc, 0, v3, vcc
	v_cmp_gt_i16_e32 vcc, 0, v36
	global_store_short v[2:3], v12, off offset:2560
	v_cndmask_b32_e64 v2, v6, 0, vcc
	v_xor_b32_e32 v12, v2, v36
	s_waitcnt lgkmcnt(2)
	v_lshlrev_b64 v[2:3], 1, v[4:5]
	v_mov_b32_e32 v4, s59
	v_add_co_u32_e32 v2, vcc, s58, v2
	v_addc_co_u32_e32 v3, vcc, v4, v3, vcc
	v_add_co_u32_e32 v2, vcc, v2, v16
	v_addc_co_u32_e32 v3, vcc, 0, v3, vcc
	v_cmp_gt_i16_e32 vcc, 0, v37
	global_store_short v[2:3], v12, off offset:3072
	v_cndmask_b32_e64 v2, v6, 0, vcc
	v_xor_b32_e32 v4, v2, v37
	s_waitcnt lgkmcnt(1)
	v_lshlrev_b64 v[2:3], 1, v[26:27]
	v_mov_b32_e32 v5, s59
	v_add_co_u32_e32 v2, vcc, s58, v2
	v_addc_co_u32_e32 v3, vcc, v5, v3, vcc
	v_add_co_u32_e32 v2, vcc, v2, v16
	v_addc_co_u32_e32 v3, vcc, 0, v3, vcc
	v_cmp_gt_i16_e32 vcc, 0, v38
	global_store_short v[2:3], v4, off offset:3584
	v_cndmask_b32_e64 v2, v6, 0, vcc
	v_xor_b32_e32 v4, v2, v38
	s_waitcnt lgkmcnt(0)
	v_lshlrev_b64 v[2:3], 1, v[29:30]
	v_mov_b32_e32 v16, s59
	v_add_co_u32_e32 v2, vcc, s58, v2
	v_addc_co_u32_e32 v3, vcc, v5, v3, vcc
	v_lshlrev_b32_e32 v5, 1, v55
	v_add_co_u32_e32 v2, vcc, v2, v5
	v_addc_co_u32_e32 v3, vcc, 0, v3, vcc
	v_cmp_ne_u16_e32 vcc, s0, v42
	global_store_short v[2:3], v4, off
	v_cndmask_b32_e32 v2, v6, v42, vcc
	v_lshrrev_b32_sdwa v2, s68, v2 dst_sel:DWORD dst_unused:UNUSED_PAD src0_sel:DWORD src1_sel:WORD_0
	v_and_b32_e32 v2, s9, v2
	v_cmp_gt_i16_e32 vcc, 0, v42
	v_cndmask_b32_e64 v3, v6, 0, vcc
	v_lshlrev_b32_e32 v57, 3, v2
	v_xor_b32_e32 v12, v3, v42
	ds_read_b64 v[2:3], v57
	v_cmp_ne_u16_e32 vcc, s0, v43
	v_cndmask_b32_e32 v4, v6, v43, vcc
	v_lshrrev_b32_sdwa v4, s68, v4 dst_sel:DWORD dst_unused:UNUSED_PAD src0_sel:DWORD src1_sel:WORD_0
	v_and_b32_e32 v4, s9, v4
	v_cmp_ne_u16_e32 vcc, s0, v44
	s_waitcnt lgkmcnt(0)
	v_lshlrev_b64 v[2:3], 1, v[2:3]
	v_lshlrev_b32_e32 v58, 3, v4
	v_cndmask_b32_e32 v4, v6, v44, vcc
	v_lshrrev_b32_sdwa v4, s68, v4 dst_sel:DWORD dst_unused:UNUSED_PAD src0_sel:DWORD src1_sel:WORD_0
	v_add_co_u32_e32 v2, vcc, s58, v2
	v_and_b32_e32 v4, s9, v4
	v_addc_co_u32_e32 v3, vcc, v16, v3, vcc
	v_lshlrev_b32_e32 v16, 1, v56
	v_lshlrev_b32_e32 v59, 3, v4
	ds_read_b64 v[4:5], v58
	ds_read_b64 v[26:27], v59
	v_add_co_u32_e32 v2, vcc, v2, v16
	v_addc_co_u32_e32 v3, vcc, 0, v3, vcc
	v_cmp_gt_i16_e32 vcc, 0, v43
	global_store_short v[2:3], v12, off
	v_cndmask_b32_e64 v2, v6, 0, vcc
	v_xor_b32_e32 v12, v2, v43
	s_waitcnt lgkmcnt(1)
	v_lshlrev_b64 v[2:3], 1, v[4:5]
	v_mov_b32_e32 v4, s59
	v_add_co_u32_e32 v2, vcc, s58, v2
	v_addc_co_u32_e32 v3, vcc, v4, v3, vcc
	v_lshlrev_b32_e32 v4, 1, v60
	v_add_co_u32_e32 v2, vcc, v2, v4
	v_addc_co_u32_e32 v3, vcc, 0, v3, vcc
	v_cmp_gt_i16_e32 vcc, 0, v44
	global_store_short v[2:3], v12, off
	v_cndmask_b32_e64 v2, v6, 0, vcc
	v_xor_b32_e32 v4, v2, v44
	s_waitcnt lgkmcnt(0)
	v_lshlrev_b64 v[2:3], 1, v[26:27]
	v_mov_b32_e32 v5, s59
	v_add_co_u32_e32 v2, vcc, s58, v2
	v_addc_co_u32_e32 v3, vcc, v5, v3, vcc
	v_lshlrev_b32_e32 v5, 1, v61
	v_add_co_u32_e32 v2, vcc, v2, v5
	s_lshl_b64 s[0:1], s[54:55], 3
	v_addc_co_u32_e32 v3, vcc, 0, v3, vcc
	s_add_u32 s0, s60, s0
	global_store_short v[2:3], v4, off
	s_addc_u32 s1, s61, s1
	v_lshlrev_b32_e32 v2, 3, v8
	v_mov_b32_e32 v3, s1
	v_add_co_u32_e32 v2, vcc, s0, v2
	v_addc_co_u32_e32 v3, vcc, 0, v3, vcc
	v_lshlrev_b32_e32 v4, 3, v7
	v_add_co_u32_e32 v2, vcc, v2, v4
	v_addc_co_u32_e32 v3, vcc, 0, v3, vcc
	global_load_dwordx2 v[4:5], v[2:3], off
	global_load_dwordx2 v[6:7], v[2:3], off offset:512
	global_load_dwordx2 v[26:27], v[2:3], off offset:1024
	;; [unrolled: 1-line block ×7, first 2 shown]
	s_movk_i32 s0, 0x1000
	v_add_co_u32_e32 v2, vcc, s0, v2
	v_addc_co_u32_e32 v3, vcc, 0, v3, vcc
	global_load_dwordx2 v[39:40], v[2:3], off
	global_load_dwordx2 v[41:42], v[2:3], off offset:512
	global_load_dwordx2 v[43:44], v[2:3], off offset:1024
	;; [unrolled: 1-line block ×3, first 2 shown]
	v_lshlrev_b32_e32 v2, 3, v28
	s_waitcnt vmcnt(0)
	s_barrier
	v_mov_b32_e32 v8, s63
	s_add_i32 s8, s8, -1
	s_cmp_lg_u32 s6, s8
	ds_write_b64 v2, v[4:5] offset:2048
	v_lshlrev_b32_e32 v2, 3, v25
	ds_write_b64 v2, v[6:7] offset:2048
	v_lshlrev_b32_e32 v2, 3, v24
	;; [unrolled: 2-line block ×11, first 2 shown]
	ds_write_b64 v2, v[45:46] offset:2048
	s_waitcnt lgkmcnt(0)
	s_barrier
	ds_read_b64 v[6:7], v48
	ds_read2st64_b64 v[2:5], v0 offset0:4 offset1:8
	ds_read_b64 v[11:12], v49
	ds_read_b64 v[13:14], v50
	;; [unrolled: 1-line block ×3, first 2 shown]
	s_waitcnt lgkmcnt(4)
	v_lshlrev_b64 v[6:7], 3, v[6:7]
	v_add_co_u32_e32 v6, vcc, s62, v6
	v_addc_co_u32_e32 v7, vcc, v8, v7, vcc
	v_add_co_u32_e32 v6, vcc, v6, v1
	v_addc_co_u32_e32 v7, vcc, 0, v7, vcc
	s_waitcnt lgkmcnt(3)
	global_store_dwordx2 v[6:7], v[2:3], off
	s_waitcnt lgkmcnt(2)
	v_lshlrev_b64 v[2:3], 3, v[11:12]
	v_mov_b32_e32 v6, s63
	v_add_co_u32_e32 v2, vcc, s62, v2
	v_addc_co_u32_e32 v3, vcc, v6, v3, vcc
	v_add_co_u32_e32 v2, vcc, v2, v1
	v_addc_co_u32_e32 v3, vcc, 0, v3, vcc
	s_waitcnt lgkmcnt(1)
	v_lshlrev_b64 v[6:7], 3, v[13:14]
	global_store_dwordx2 v[2:3], v[4:5], off offset:2048
	ds_read2st64_b64 v[2:5], v0 offset0:12 offset1:16
	v_add_co_u32_e32 v6, vcc, s62, v6
	v_addc_co_u32_e32 v7, vcc, v8, v7, vcc
	v_or_b32_e32 v8, 0x1000, v1
	v_add_co_u32_e32 v6, vcc, v6, v8
	v_addc_co_u32_e32 v7, vcc, 0, v7, vcc
	s_waitcnt lgkmcnt(0)
	global_store_dwordx2 v[6:7], v[2:3], off
	v_lshlrev_b64 v[2:3], 3, v[15:16]
	v_mov_b32_e32 v6, s63
	v_add_co_u32_e32 v2, vcc, s62, v2
	v_addc_co_u32_e32 v3, vcc, v6, v3, vcc
	v_or_b32_e32 v6, 0x1800, v1
	v_add_co_u32_e32 v2, vcc, v2, v6
	v_addc_co_u32_e32 v3, vcc, 0, v3, vcc
	global_store_dwordx2 v[2:3], v[4:5], off
	ds_read_b64 v[6:7], v52
	ds_read2st64_b64 v[2:5], v0 offset0:20 offset1:24
	ds_read_b64 v[11:12], v21
	ds_read_b64 v[13:14], v23
	ds_read_b64 v[15:16], v53
	s_waitcnt lgkmcnt(4)
	v_lshlrev_b64 v[6:7], 3, v[6:7]
	v_mov_b32_e32 v8, s63
	v_add_co_u32_e32 v6, vcc, s62, v6
	v_addc_co_u32_e32 v7, vcc, v8, v7, vcc
	v_or_b32_e32 v8, 0x2000, v1
	v_add_co_u32_e32 v6, vcc, v6, v8
	v_addc_co_u32_e32 v7, vcc, 0, v7, vcc
	s_waitcnt lgkmcnt(3)
	global_store_dwordx2 v[6:7], v[2:3], off
	s_waitcnt lgkmcnt(2)
	v_lshlrev_b64 v[2:3], 3, v[11:12]
	v_mov_b32_e32 v6, s63
	v_add_co_u32_e32 v2, vcc, s62, v2
	v_addc_co_u32_e32 v3, vcc, v6, v3, vcc
	v_or_b32_e32 v6, 0x2800, v1
	v_add_co_u32_e32 v2, vcc, v2, v6
	v_addc_co_u32_e32 v3, vcc, 0, v3, vcc
	s_waitcnt lgkmcnt(1)
	v_lshlrev_b64 v[6:7], 3, v[13:14]
	global_store_dwordx2 v[2:3], v[4:5], off
	ds_read2st64_b64 v[2:5], v0 offset0:28 offset1:32
	v_mov_b32_e32 v8, s63
	v_add_co_u32_e32 v6, vcc, s62, v6
	v_addc_co_u32_e32 v7, vcc, v8, v7, vcc
	v_or_b32_e32 v8, 0x3000, v1
	v_add_co_u32_e32 v6, vcc, v6, v8
	v_addc_co_u32_e32 v7, vcc, 0, v7, vcc
	s_waitcnt lgkmcnt(0)
	global_store_dwordx2 v[6:7], v[2:3], off
	v_lshlrev_b64 v[2:3], 3, v[15:16]
	v_mov_b32_e32 v6, s63
	v_add_co_u32_e32 v2, vcc, s62, v2
	v_addc_co_u32_e32 v3, vcc, v6, v3, vcc
	v_or_b32_e32 v6, 0x3800, v1
	v_add_co_u32_e32 v2, vcc, v2, v6
	v_addc_co_u32_e32 v3, vcc, 0, v3, vcc
	global_store_dwordx2 v[2:3], v[4:5], off
	ds_read_b64 v[6:7], v54
	ds_read2st64_b64 v[2:5], v0 offset0:36 offset1:40
	ds_read_b64 v[11:12], v57
	ds_read_b64 v[13:14], v58
	;; [unrolled: 1-line block ×3, first 2 shown]
	s_waitcnt lgkmcnt(4)
	v_lshlrev_b64 v[6:7], 3, v[6:7]
	v_mov_b32_e32 v8, s63
	v_add_co_u32_e32 v6, vcc, s62, v6
	v_addc_co_u32_e32 v7, vcc, v8, v7, vcc
	v_lshlrev_b32_e32 v8, 3, v55
	v_add_co_u32_e32 v6, vcc, v6, v8
	v_addc_co_u32_e32 v7, vcc, 0, v7, vcc
	s_waitcnt lgkmcnt(3)
	global_store_dwordx2 v[6:7], v[2:3], off
	s_waitcnt lgkmcnt(2)
	v_lshlrev_b64 v[2:3], 3, v[11:12]
	v_mov_b32_e32 v6, s63
	v_add_co_u32_e32 v2, vcc, s62, v2
	v_addc_co_u32_e32 v3, vcc, v6, v3, vcc
	v_lshlrev_b32_e32 v6, 3, v56
	v_add_co_u32_e32 v2, vcc, v2, v6
	v_addc_co_u32_e32 v3, vcc, 0, v3, vcc
	s_waitcnt lgkmcnt(1)
	v_lshlrev_b64 v[6:7], 3, v[13:14]
	global_store_dwordx2 v[2:3], v[4:5], off
	ds_read2st64_b64 v[2:5], v0 offset0:44 offset1:48
	v_mov_b32_e32 v0, s63
	v_add_co_u32_e32 v6, vcc, s62, v6
	v_addc_co_u32_e32 v0, vcc, v0, v7, vcc
	v_lshlrev_b32_e32 v7, 3, v60
	v_add_co_u32_e32 v6, vcc, v6, v7
	v_addc_co_u32_e32 v7, vcc, 0, v0, vcc
	s_waitcnt lgkmcnt(0)
	global_store_dwordx2 v[6:7], v[2:3], off
	v_lshlrev_b64 v[2:3], 3, v[15:16]
	v_mov_b32_e32 v0, s63
	v_add_co_u32_e32 v2, vcc, s62, v2
	v_addc_co_u32_e32 v0, vcc, v0, v3, vcc
	v_lshlrev_b32_e32 v3, 3, v61
	v_add_co_u32_e32 v2, vcc, v2, v3
	v_addc_co_u32_e32 v3, vcc, 0, v0, vcc
	global_store_dwordx2 v[2:3], v[4:5], off
	s_cbranch_scc1 .LBB191_195
; %bb.194:
	ds_read_b64 v[2:3], v1
	v_add_co_u32_e32 v0, vcc, v10, v9
	v_addc_co_u32_e64 v4, s[0:1], 0, 0, vcc
	s_waitcnt lgkmcnt(0)
	v_add_co_u32_e32 v2, vcc, v0, v2
	v_addc_co_u32_e32 v3, vcc, v4, v3, vcc
	global_store_dwordx2 v1, v[2:3], s[66:67]
.LBB191_195:
	s_endpgm
.LBB191_196:
	s_or_b64 exec, exec, s[0:1]
	s_and_saveexec_b64 s[0:1], s[26:27]
	s_cbranch_execz .LBB191_139
.LBB191_197:
	v_lshlrev_b32_e32 v3, 3, v60
	ds_read_b64 v[3:4], v3
	ds_read_b64 v[5:6], v32 offset:4096
	v_mov_b32_e32 v7, s63
	s_waitcnt lgkmcnt(1)
	v_lshlrev_b64 v[3:4], 3, v[3:4]
	v_add_co_u32_e32 v3, vcc, s62, v3
	v_addc_co_u32_e32 v4, vcc, v7, v4, vcc
	v_add_co_u32_e32 v3, vcc, v3, v32
	v_addc_co_u32_e32 v4, vcc, 0, v4, vcc
	s_waitcnt lgkmcnt(0)
	global_store_dwordx2 v[3:4], v[5:6], off offset:2048
	s_or_b64 exec, exec, s[0:1]
	s_and_saveexec_b64 s[0:1], s[28:29]
	s_cbranch_execnz .LBB191_140
.LBB191_198:
	s_or_b64 exec, exec, s[0:1]
	s_and_saveexec_b64 s[0:1], s[30:31]
	s_cbranch_execz .LBB191_141
.LBB191_199:
	v_lshlrev_b32_e32 v3, 3, v58
	ds_read_b64 v[3:4], v3
	ds_read_b64 v[5:6], v32 offset:8192
	v_mov_b32_e32 v7, s63
	s_waitcnt lgkmcnt(1)
	v_lshlrev_b64 v[3:4], 3, v[3:4]
	v_add_co_u32_e32 v3, vcc, s62, v3
	v_addc_co_u32_e32 v4, vcc, v7, v4, vcc
	v_lshlrev_b32_e32 v7, 3, v46
	v_add_co_u32_e32 v3, vcc, v3, v7
	v_addc_co_u32_e32 v4, vcc, 0, v4, vcc
	s_waitcnt lgkmcnt(0)
	global_store_dwordx2 v[3:4], v[5:6], off
	s_or_b64 exec, exec, s[0:1]
	s_and_saveexec_b64 s[0:1], s[34:35]
	s_cbranch_execnz .LBB191_142
.LBB191_200:
	s_or_b64 exec, exec, s[0:1]
	s_and_saveexec_b64 s[0:1], s[36:37]
	s_cbranch_execz .LBB191_143
.LBB191_201:
	v_lshlrev_b32_e32 v3, 3, v56
	ds_read_b64 v[3:4], v3
	ds_read_b64 v[5:6], v32 offset:12288
	v_mov_b32_e32 v7, s63
	s_waitcnt lgkmcnt(1)
	v_lshlrev_b64 v[3:4], 3, v[3:4]
	v_add_co_u32_e32 v3, vcc, s62, v3
	v_addc_co_u32_e32 v4, vcc, v7, v4, vcc
	v_lshlrev_b32_e32 v7, 3, v48
	v_add_co_u32_e32 v3, vcc, v3, v7
	v_addc_co_u32_e32 v4, vcc, 0, v4, vcc
	s_waitcnt lgkmcnt(0)
	global_store_dwordx2 v[3:4], v[5:6], off
	s_or_b64 exec, exec, s[0:1]
	s_and_saveexec_b64 s[0:1], s[38:39]
	s_cbranch_execnz .LBB191_144
.LBB191_202:
	s_or_b64 exec, exec, s[0:1]
	s_and_saveexec_b64 s[0:1], s[40:41]
	s_cbranch_execz .LBB191_145
.LBB191_203:
	v_lshlrev_b32_e32 v3, 3, v55
	ds_read_b64 v[3:4], v3
	ds_read_b64 v[5:6], v32 offset:16384
	v_mov_b32_e32 v7, s63
	s_waitcnt lgkmcnt(1)
	v_lshlrev_b64 v[3:4], 3, v[3:4]
	v_add_co_u32_e32 v3, vcc, s62, v3
	v_addc_co_u32_e32 v4, vcc, v7, v4, vcc
	v_lshlrev_b32_e32 v7, 3, v50
	v_add_co_u32_e32 v3, vcc, v3, v7
	v_addc_co_u32_e32 v4, vcc, 0, v4, vcc
	s_waitcnt lgkmcnt(0)
	global_store_dwordx2 v[3:4], v[5:6], off
	s_or_b64 exec, exec, s[0:1]
	s_and_saveexec_b64 s[0:1], s[42:43]
	s_cbranch_execnz .LBB191_146
.LBB191_204:
	s_or_b64 exec, exec, s[0:1]
	s_and_saveexec_b64 s[0:1], s[44:45]
	s_cbranch_execz .LBB191_147
.LBB191_205:
	v_lshlrev_b32_e32 v3, 3, v28
	ds_read_b64 v[3:4], v3
	ds_read_b64 v[5:6], v32 offset:20480
	v_mov_b32_e32 v7, s63
	s_waitcnt lgkmcnt(1)
	v_lshlrev_b64 v[3:4], 3, v[3:4]
	v_add_co_u32_e32 v3, vcc, s62, v3
	v_addc_co_u32_e32 v4, vcc, v7, v4, vcc
	v_lshlrev_b32_e32 v7, 3, v52
	v_add_co_u32_e32 v3, vcc, v3, v7
	v_addc_co_u32_e32 v4, vcc, 0, v4, vcc
	s_waitcnt lgkmcnt(0)
	global_store_dwordx2 v[3:4], v[5:6], off
	s_or_b64 exec, exec, s[0:1]
	s_and_saveexec_b64 s[0:1], s[46:47]
	s_cbranch_execnz .LBB191_148
.LBB191_206:
	s_or_b64 exec, exec, s[0:1]
	s_and_saveexec_b64 s[0:1], s[48:49]
	s_cbranch_execz .LBB191_149
.LBB191_207:
	v_lshlrev_b32_e32 v3, 3, v27
	ds_read_b64 v[3:4], v3
	ds_read_b64 v[5:6], v32 offset:24576
	v_mov_b32_e32 v7, s63
	s_waitcnt lgkmcnt(1)
	v_lshlrev_b64 v[3:4], 3, v[3:4]
	v_add_co_u32_e32 v3, vcc, s62, v3
	v_addc_co_u32_e32 v4, vcc, v7, v4, vcc
	v_lshlrev_b32_e32 v7, 3, v54
	v_add_co_u32_e32 v3, vcc, v3, v7
	v_addc_co_u32_e32 v4, vcc, 0, v4, vcc
	s_waitcnt lgkmcnt(0)
	global_store_dwordx2 v[3:4], v[5:6], off
	s_or_b64 exec, exec, s[0:1]
	s_add_i32 s33, s33, -1
	s_cmp_eq_u32 s6, s33
	s_cbranch_scc1 .LBB191_150
	s_branch .LBB191_151
	.section	.rodata,"a",@progbits
	.p2align	6, 0x0
	.amdhsa_kernel _ZN7rocprim17ROCPRIM_304000_NS6detail25onesweep_iteration_kernelINS1_34wrapped_radix_sort_onesweep_configINS0_14default_configE6__halfN2at4cuda3cub6detail10OpaqueTypeILi8EEEEELb1EPKS5_PS5_PKSB_PSB_mNS0_19identity_decomposerEEEvT1_T2_T3_T4_jPT5_SP_PNS1_23onesweep_lookback_stateET6_jjj
		.amdhsa_group_segment_fixed_size 26624
		.amdhsa_private_segment_fixed_size 0
		.amdhsa_kernarg_size 336
		.amdhsa_user_sgpr_count 6
		.amdhsa_user_sgpr_private_segment_buffer 1
		.amdhsa_user_sgpr_dispatch_ptr 0
		.amdhsa_user_sgpr_queue_ptr 0
		.amdhsa_user_sgpr_kernarg_segment_ptr 1
		.amdhsa_user_sgpr_dispatch_id 0
		.amdhsa_user_sgpr_flat_scratch_init 0
		.amdhsa_user_sgpr_private_segment_size 0
		.amdhsa_uses_dynamic_stack 0
		.amdhsa_system_sgpr_private_segment_wavefront_offset 0
		.amdhsa_system_sgpr_workgroup_id_x 1
		.amdhsa_system_sgpr_workgroup_id_y 0
		.amdhsa_system_sgpr_workgroup_id_z 0
		.amdhsa_system_sgpr_workgroup_info 0
		.amdhsa_system_vgpr_workitem_id 2
		.amdhsa_next_free_vgpr 85
		.amdhsa_next_free_sgpr 98
		.amdhsa_reserve_vcc 1
		.amdhsa_reserve_flat_scratch 0
		.amdhsa_float_round_mode_32 0
		.amdhsa_float_round_mode_16_64 0
		.amdhsa_float_denorm_mode_32 3
		.amdhsa_float_denorm_mode_16_64 3
		.amdhsa_dx10_clamp 1
		.amdhsa_ieee_mode 1
		.amdhsa_fp16_overflow 0
		.amdhsa_exception_fp_ieee_invalid_op 0
		.amdhsa_exception_fp_denorm_src 0
		.amdhsa_exception_fp_ieee_div_zero 0
		.amdhsa_exception_fp_ieee_overflow 0
		.amdhsa_exception_fp_ieee_underflow 0
		.amdhsa_exception_fp_ieee_inexact 0
		.amdhsa_exception_int_div_zero 0
	.end_amdhsa_kernel
	.section	.text._ZN7rocprim17ROCPRIM_304000_NS6detail25onesweep_iteration_kernelINS1_34wrapped_radix_sort_onesweep_configINS0_14default_configE6__halfN2at4cuda3cub6detail10OpaqueTypeILi8EEEEELb1EPKS5_PS5_PKSB_PSB_mNS0_19identity_decomposerEEEvT1_T2_T3_T4_jPT5_SP_PNS1_23onesweep_lookback_stateET6_jjj,"axG",@progbits,_ZN7rocprim17ROCPRIM_304000_NS6detail25onesweep_iteration_kernelINS1_34wrapped_radix_sort_onesweep_configINS0_14default_configE6__halfN2at4cuda3cub6detail10OpaqueTypeILi8EEEEELb1EPKS5_PS5_PKSB_PSB_mNS0_19identity_decomposerEEEvT1_T2_T3_T4_jPT5_SP_PNS1_23onesweep_lookback_stateET6_jjj,comdat
.Lfunc_end191:
	.size	_ZN7rocprim17ROCPRIM_304000_NS6detail25onesweep_iteration_kernelINS1_34wrapped_radix_sort_onesweep_configINS0_14default_configE6__halfN2at4cuda3cub6detail10OpaqueTypeILi8EEEEELb1EPKS5_PS5_PKSB_PSB_mNS0_19identity_decomposerEEEvT1_T2_T3_T4_jPT5_SP_PNS1_23onesweep_lookback_stateET6_jjj, .Lfunc_end191-_ZN7rocprim17ROCPRIM_304000_NS6detail25onesweep_iteration_kernelINS1_34wrapped_radix_sort_onesweep_configINS0_14default_configE6__halfN2at4cuda3cub6detail10OpaqueTypeILi8EEEEELb1EPKS5_PS5_PKSB_PSB_mNS0_19identity_decomposerEEEvT1_T2_T3_T4_jPT5_SP_PNS1_23onesweep_lookback_stateET6_jjj
                                        ; -- End function
	.set _ZN7rocprim17ROCPRIM_304000_NS6detail25onesweep_iteration_kernelINS1_34wrapped_radix_sort_onesweep_configINS0_14default_configE6__halfN2at4cuda3cub6detail10OpaqueTypeILi8EEEEELb1EPKS5_PS5_PKSB_PSB_mNS0_19identity_decomposerEEEvT1_T2_T3_T4_jPT5_SP_PNS1_23onesweep_lookback_stateET6_jjj.num_vgpr, 66
	.set _ZN7rocprim17ROCPRIM_304000_NS6detail25onesweep_iteration_kernelINS1_34wrapped_radix_sort_onesweep_configINS0_14default_configE6__halfN2at4cuda3cub6detail10OpaqueTypeILi8EEEEELb1EPKS5_PS5_PKSB_PSB_mNS0_19identity_decomposerEEEvT1_T2_T3_T4_jPT5_SP_PNS1_23onesweep_lookback_stateET6_jjj.num_agpr, 0
	.set _ZN7rocprim17ROCPRIM_304000_NS6detail25onesweep_iteration_kernelINS1_34wrapped_radix_sort_onesweep_configINS0_14default_configE6__halfN2at4cuda3cub6detail10OpaqueTypeILi8EEEEELb1EPKS5_PS5_PKSB_PSB_mNS0_19identity_decomposerEEEvT1_T2_T3_T4_jPT5_SP_PNS1_23onesweep_lookback_stateET6_jjj.numbered_sgpr, 75
	.set _ZN7rocprim17ROCPRIM_304000_NS6detail25onesweep_iteration_kernelINS1_34wrapped_radix_sort_onesweep_configINS0_14default_configE6__halfN2at4cuda3cub6detail10OpaqueTypeILi8EEEEELb1EPKS5_PS5_PKSB_PSB_mNS0_19identity_decomposerEEEvT1_T2_T3_T4_jPT5_SP_PNS1_23onesweep_lookback_stateET6_jjj.num_named_barrier, 0
	.set _ZN7rocprim17ROCPRIM_304000_NS6detail25onesweep_iteration_kernelINS1_34wrapped_radix_sort_onesweep_configINS0_14default_configE6__halfN2at4cuda3cub6detail10OpaqueTypeILi8EEEEELb1EPKS5_PS5_PKSB_PSB_mNS0_19identity_decomposerEEEvT1_T2_T3_T4_jPT5_SP_PNS1_23onesweep_lookback_stateET6_jjj.private_seg_size, 0
	.set _ZN7rocprim17ROCPRIM_304000_NS6detail25onesweep_iteration_kernelINS1_34wrapped_radix_sort_onesweep_configINS0_14default_configE6__halfN2at4cuda3cub6detail10OpaqueTypeILi8EEEEELb1EPKS5_PS5_PKSB_PSB_mNS0_19identity_decomposerEEEvT1_T2_T3_T4_jPT5_SP_PNS1_23onesweep_lookback_stateET6_jjj.uses_vcc, 1
	.set _ZN7rocprim17ROCPRIM_304000_NS6detail25onesweep_iteration_kernelINS1_34wrapped_radix_sort_onesweep_configINS0_14default_configE6__halfN2at4cuda3cub6detail10OpaqueTypeILi8EEEEELb1EPKS5_PS5_PKSB_PSB_mNS0_19identity_decomposerEEEvT1_T2_T3_T4_jPT5_SP_PNS1_23onesweep_lookback_stateET6_jjj.uses_flat_scratch, 0
	.set _ZN7rocprim17ROCPRIM_304000_NS6detail25onesweep_iteration_kernelINS1_34wrapped_radix_sort_onesweep_configINS0_14default_configE6__halfN2at4cuda3cub6detail10OpaqueTypeILi8EEEEELb1EPKS5_PS5_PKSB_PSB_mNS0_19identity_decomposerEEEvT1_T2_T3_T4_jPT5_SP_PNS1_23onesweep_lookback_stateET6_jjj.has_dyn_sized_stack, 0
	.set _ZN7rocprim17ROCPRIM_304000_NS6detail25onesweep_iteration_kernelINS1_34wrapped_radix_sort_onesweep_configINS0_14default_configE6__halfN2at4cuda3cub6detail10OpaqueTypeILi8EEEEELb1EPKS5_PS5_PKSB_PSB_mNS0_19identity_decomposerEEEvT1_T2_T3_T4_jPT5_SP_PNS1_23onesweep_lookback_stateET6_jjj.has_recursion, 0
	.set _ZN7rocprim17ROCPRIM_304000_NS6detail25onesweep_iteration_kernelINS1_34wrapped_radix_sort_onesweep_configINS0_14default_configE6__halfN2at4cuda3cub6detail10OpaqueTypeILi8EEEEELb1EPKS5_PS5_PKSB_PSB_mNS0_19identity_decomposerEEEvT1_T2_T3_T4_jPT5_SP_PNS1_23onesweep_lookback_stateET6_jjj.has_indirect_call, 0
	.section	.AMDGPU.csdata,"",@progbits
; Kernel info:
; codeLenInByte = 20624
; TotalNumSgprs: 79
; NumVgprs: 66
; ScratchSize: 0
; MemoryBound: 0
; FloatMode: 240
; IeeeMode: 1
; LDSByteSize: 26624 bytes/workgroup (compile time only)
; SGPRBlocks: 12
; VGPRBlocks: 21
; NumSGPRsForWavesPerEU: 102
; NumVGPRsForWavesPerEU: 85
; Occupancy: 2
; WaveLimiterHint : 1
; COMPUTE_PGM_RSRC2:SCRATCH_EN: 0
; COMPUTE_PGM_RSRC2:USER_SGPR: 6
; COMPUTE_PGM_RSRC2:TRAP_HANDLER: 0
; COMPUTE_PGM_RSRC2:TGID_X_EN: 1
; COMPUTE_PGM_RSRC2:TGID_Y_EN: 0
; COMPUTE_PGM_RSRC2:TGID_Z_EN: 0
; COMPUTE_PGM_RSRC2:TIDIG_COMP_CNT: 2
	.section	.text._ZN7rocprim17ROCPRIM_304000_NS6detail25onesweep_iteration_kernelINS1_34wrapped_radix_sort_onesweep_configINS0_14default_configE6__halfN2at4cuda3cub6detail10OpaqueTypeILi8EEEEELb1EPS5_SD_PSB_SE_mNS0_19identity_decomposerEEEvT1_T2_T3_T4_jPT5_SL_PNS1_23onesweep_lookback_stateET6_jjj,"axG",@progbits,_ZN7rocprim17ROCPRIM_304000_NS6detail25onesweep_iteration_kernelINS1_34wrapped_radix_sort_onesweep_configINS0_14default_configE6__halfN2at4cuda3cub6detail10OpaqueTypeILi8EEEEELb1EPS5_SD_PSB_SE_mNS0_19identity_decomposerEEEvT1_T2_T3_T4_jPT5_SL_PNS1_23onesweep_lookback_stateET6_jjj,comdat
	.protected	_ZN7rocprim17ROCPRIM_304000_NS6detail25onesweep_iteration_kernelINS1_34wrapped_radix_sort_onesweep_configINS0_14default_configE6__halfN2at4cuda3cub6detail10OpaqueTypeILi8EEEEELb1EPS5_SD_PSB_SE_mNS0_19identity_decomposerEEEvT1_T2_T3_T4_jPT5_SL_PNS1_23onesweep_lookback_stateET6_jjj ; -- Begin function _ZN7rocprim17ROCPRIM_304000_NS6detail25onesweep_iteration_kernelINS1_34wrapped_radix_sort_onesweep_configINS0_14default_configE6__halfN2at4cuda3cub6detail10OpaqueTypeILi8EEEEELb1EPS5_SD_PSB_SE_mNS0_19identity_decomposerEEEvT1_T2_T3_T4_jPT5_SL_PNS1_23onesweep_lookback_stateET6_jjj
	.globl	_ZN7rocprim17ROCPRIM_304000_NS6detail25onesweep_iteration_kernelINS1_34wrapped_radix_sort_onesweep_configINS0_14default_configE6__halfN2at4cuda3cub6detail10OpaqueTypeILi8EEEEELb1EPS5_SD_PSB_SE_mNS0_19identity_decomposerEEEvT1_T2_T3_T4_jPT5_SL_PNS1_23onesweep_lookback_stateET6_jjj
	.p2align	8
	.type	_ZN7rocprim17ROCPRIM_304000_NS6detail25onesweep_iteration_kernelINS1_34wrapped_radix_sort_onesweep_configINS0_14default_configE6__halfN2at4cuda3cub6detail10OpaqueTypeILi8EEEEELb1EPS5_SD_PSB_SE_mNS0_19identity_decomposerEEEvT1_T2_T3_T4_jPT5_SL_PNS1_23onesweep_lookback_stateET6_jjj,@function
_ZN7rocprim17ROCPRIM_304000_NS6detail25onesweep_iteration_kernelINS1_34wrapped_radix_sort_onesweep_configINS0_14default_configE6__halfN2at4cuda3cub6detail10OpaqueTypeILi8EEEEELb1EPS5_SD_PSB_SE_mNS0_19identity_decomposerEEEvT1_T2_T3_T4_jPT5_SL_PNS1_23onesweep_lookback_stateET6_jjj: ; @_ZN7rocprim17ROCPRIM_304000_NS6detail25onesweep_iteration_kernelINS1_34wrapped_radix_sort_onesweep_configINS0_14default_configE6__halfN2at4cuda3cub6detail10OpaqueTypeILi8EEEEELb1EPS5_SD_PSB_SE_mNS0_19identity_decomposerEEEvT1_T2_T3_T4_jPT5_SL_PNS1_23onesweep_lookback_stateET6_jjj
; %bb.0:
	s_load_dwordx8 s[56:63], s[4:5], 0x0
	s_load_dwordx4 s[68:71], s[4:5], 0x44
	s_load_dwordx4 s[64:67], s[4:5], 0x28
	s_load_dwordx2 s[72:73], s[4:5], 0x38
	s_mov_b32 s7, s6
	s_mov_b64 s[0:1], -1
	s_waitcnt lgkmcnt(0)
	s_cmp_ge_u32 s6, s70
	s_mul_i32 s54, s6, 0xc00
	v_mbcnt_lo_u32_b32 v29, -1, 0
	s_cbranch_scc0 .LBB192_152
; %bb.1:
	s_load_dword s2, s[4:5], 0x20
	s_mulk_i32 s70, 0xf400
	s_mov_b32 s55, 0
	s_lshl_b64 s[0:1], s[54:55], 1
	v_mbcnt_hi_u32_b32 v9, -1, v29
	s_waitcnt lgkmcnt(0)
	s_add_i32 s70, s70, s2
	s_add_u32 s0, s56, s0
	s_addc_u32 s1, s57, s1
	v_and_b32_e32 v7, 0xc0, v0
	v_lshlrev_b32_e32 v3, 1, v9
	v_mul_u32_u24_e32 v10, 12, v7
	v_mov_b32_e32 v4, s1
	v_add_co_u32_e32 v3, vcc, s0, v3
	v_addc_co_u32_e32 v4, vcc, 0, v4, vcc
	v_lshlrev_b32_e32 v5, 1, v10
	v_add_co_u32_e32 v3, vcc, v3, v5
	v_addc_co_u32_e32 v4, vcc, 0, v4, vcc
	v_or_b32_e32 v8, v9, v10
	v_cmp_gt_u32_e32 vcc, s70, v8
	v_mov_b32_e32 v13, -1
	v_mov_b32_e32 v5, -1
	s_and_saveexec_b64 s[0:1], vcc
	s_cbranch_execz .LBB192_3
; %bb.2:
	global_load_ushort v5, v[3:4], off
.LBB192_3:
	s_or_b64 exec, exec, s[0:1]
	v_add_u32_e32 v6, 64, v8
	v_cmp_gt_u32_e64 s[0:1], s70, v6
	s_and_saveexec_b64 s[2:3], s[0:1]
	s_cbranch_execz .LBB192_5
; %bb.4:
	global_load_ushort v13, v[3:4], off offset:128
.LBB192_5:
	s_or_b64 exec, exec, s[2:3]
	v_add_u32_e32 v6, 0x80, v8
	v_cmp_gt_u32_e64 s[2:3], s70, v6
	v_mov_b32_e32 v22, -1
	v_mov_b32_e32 v18, -1
	s_and_saveexec_b64 s[8:9], s[2:3]
	s_cbranch_execz .LBB192_7
; %bb.6:
	global_load_ushort v18, v[3:4], off offset:256
.LBB192_7:
	s_or_b64 exec, exec, s[8:9]
	v_add_u32_e32 v6, 0xc0, v8
	v_cmp_gt_u32_e64 s[50:51], s70, v6
	s_and_saveexec_b64 s[8:9], s[50:51]
	s_cbranch_execz .LBB192_9
; %bb.8:
	global_load_ushort v22, v[3:4], off offset:384
.LBB192_9:
	s_or_b64 exec, exec, s[8:9]
	v_add_u32_e32 v6, 0x100, v8
	v_cmp_gt_u32_e64 s[8:9], s70, v6
	v_mov_b32_e32 v36, -1
	v_mov_b32_e32 v31, -1
	s_and_saveexec_b64 s[10:11], s[8:9]
	s_cbranch_execz .LBB192_11
; %bb.10:
	global_load_ushort v31, v[3:4], off offset:512
.LBB192_11:
	;; [unrolled: 18-line block ×5, first 2 shown]
	s_or_b64 exec, exec, s[10:11]
	v_add_u32_e32 v8, 0x2c0, v8
	v_cmp_gt_u32_e64 s[10:11], s70, v8
	s_and_saveexec_b64 s[24:25], s[10:11]
	s_cbranch_execz .LBB192_25
; %bb.24:
	global_load_ushort v6, v[3:4], off offset:1408
.LBB192_25:
	s_or_b64 exec, exec, s[24:25]
	s_load_dword s24, s[4:5], 0x5c
	s_load_dword s33, s[4:5], 0x50
	s_add_u32 s25, s4, 0x50
	s_addc_u32 s26, s5, 0
	v_mov_b32_e32 v3, 0
	s_waitcnt lgkmcnt(0)
	s_lshr_b32 s27, s24, 16
	s_cmp_lt_u32 s6, s33
	s_cselect_b32 s24, 12, 18
	s_add_u32 s24, s25, s24
	s_addc_u32 s25, s26, 0
	global_load_ushort v12, v3, s[24:25]
	v_mov_b32_e32 v15, 0x7fff
	s_waitcnt vmcnt(1)
	v_cmp_gt_i16_e64 s[24:25], 0, v5
	v_cndmask_b32_e64 v4, v15, 0, s[24:25]
	s_movk_i32 s28, 0x8000
	v_xor_b32_e32 v8, v4, v5
	v_cmp_ne_u16_e64 s[24:25], s28, v8
	v_cndmask_b32_e64 v4, v15, v8, s[24:25]
	s_lshl_b32 s24, -1, s69
	v_lshrrev_b32_sdwa v4, s68, v4 dst_sel:DWORD dst_unused:UNUSED_PAD src0_sel:DWORD src1_sel:WORD_0
	s_not_b32 s74, s24
	v_and_b32_e32 v14, s74, v4
	v_and_b32_e32 v16, 1, v14
	v_add_co_u32_e64 v17, s[24:25], -1, v16
	v_lshlrev_b32_e32 v4, 30, v14
	v_addc_co_u32_e64 v19, s[24:25], 0, -1, s[24:25]
	v_mad_u32_u24 v5, v2, s27, v1
	v_cmp_ne_u32_e64 s[24:25], 0, v16
	v_cmp_gt_i64_e64 s[26:27], 0, v[3:4]
	v_not_b32_e32 v16, v4
	v_lshlrev_b32_e32 v4, 29, v14
	v_xor_b32_e32 v19, s25, v19
	v_xor_b32_e32 v17, s24, v17
	v_ashrrev_i32_e32 v16, 31, v16
	v_cmp_gt_i64_e64 s[24:25], 0, v[3:4]
	v_not_b32_e32 v20, v4
	v_lshlrev_b32_e32 v4, 28, v14
	v_and_b32_e32 v19, exec_hi, v19
	v_and_b32_e32 v17, exec_lo, v17
	v_xor_b32_e32 v23, s27, v16
	v_xor_b32_e32 v16, s26, v16
	v_ashrrev_i32_e32 v20, 31, v20
	v_cmp_gt_i64_e64 s[26:27], 0, v[3:4]
	v_not_b32_e32 v24, v4
	v_lshlrev_b32_e32 v4, 27, v14
	v_and_b32_e32 v19, v19, v23
	v_and_b32_e32 v16, v17, v16
	v_xor_b32_e32 v17, s25, v20
	v_xor_b32_e32 v20, s24, v20
	v_ashrrev_i32_e32 v23, 31, v24
	v_cmp_gt_i64_e64 s[24:25], 0, v[3:4]
	v_not_b32_e32 v24, v4
	v_lshlrev_b32_e32 v4, 26, v14
	v_and_b32_e32 v17, v19, v17
	v_and_b32_e32 v16, v16, v20
	;; [unrolled: 8-line block ×4, first 2 shown]
	v_xor_b32_e32 v19, s27, v23
	v_xor_b32_e32 v20, s26, v23
	v_ashrrev_i32_e32 v23, 31, v24
	v_cmp_gt_i64_e64 s[26:27], 0, v[3:4]
	v_not_b32_e32 v24, v4
	v_and_b32_e32 v17, v17, v19
	v_and_b32_e32 v16, v16, v20
	v_xor_b32_e32 v19, s25, v23
	v_xor_b32_e32 v20, s24, v23
	v_and_b32_e32 v16, v16, v20
	v_mul_u32_u24_e32 v11, 20, v0
	ds_write2_b32 v11, v3, v3 offset0:4 offset1:5
	ds_write2_b32 v11, v3, v3 offset0:6 offset1:7
	ds_write_b32 v11, v3 offset:32
	s_waitcnt vmcnt(0) lgkmcnt(0)
	s_barrier
	; wave barrier
	v_mad_u64_u32 v[4:5], s[24:25], v5, v12, v[0:1]
	v_ashrrev_i32_e32 v5, 31, v24
	v_and_b32_e32 v12, v17, v19
	v_lshrrev_b32_e32 v4, 6, v4
	v_lshlrev_b32_e32 v24, 2, v4
	v_xor_b32_e32 v4, s27, v5
	v_xor_b32_e32 v17, s26, v5
	v_and_b32_e32 v5, v12, v4
	v_and_b32_e32 v4, v16, v17
	v_mbcnt_lo_u32_b32 v12, v4, 0
	v_mbcnt_hi_u32_b32 v12, v5, v12
	v_cmp_ne_u64_e64 s[24:25], 0, v[4:5]
	v_cmp_eq_u32_e64 s[26:27], 0, v12
	v_mad_u32_u24 v14, v14, 20, v24
	s_and_b64 s[26:27], s[24:25], s[26:27]
	s_and_saveexec_b64 s[24:25], s[26:27]
; %bb.26:
	v_bcnt_u32_b32 v4, v4, 0
	v_bcnt_u32_b32 v4, v5, v4
	ds_write_b32 v14, v4 offset:16
; %bb.27:
	s_or_b64 exec, exec, s[24:25]
	v_cmp_gt_i16_e64 s[24:25], 0, v13
	v_cndmask_b32_e64 v4, v15, 0, s[24:25]
	v_xor_b32_e32 v13, v4, v13
	v_cmp_ne_u16_e64 s[24:25], s28, v13
	v_cndmask_b32_e64 v4, v15, v13, s[24:25]
	v_lshrrev_b32_sdwa v4, s68, v4 dst_sel:DWORD dst_unused:UNUSED_PAD src0_sel:DWORD src1_sel:WORD_0
	v_and_b32_e32 v5, s74, v4
	v_and_b32_e32 v4, 1, v5
	v_add_co_u32_e64 v17, s[24:25], -1, v4
	v_addc_co_u32_e64 v19, s[24:25], 0, -1, s[24:25]
	v_cmp_ne_u32_e64 s[24:25], 0, v4
	v_xor_b32_e32 v4, s25, v19
	v_and_b32_e32 v19, exec_hi, v4
	v_lshlrev_b32_e32 v4, 30, v5
	v_xor_b32_e32 v17, s24, v17
	v_cmp_gt_i64_e64 s[24:25], 0, v[3:4]
	v_not_b32_e32 v4, v4
	v_ashrrev_i32_e32 v4, 31, v4
	v_and_b32_e32 v17, exec_lo, v17
	v_xor_b32_e32 v20, s25, v4
	v_xor_b32_e32 v4, s24, v4
	v_and_b32_e32 v17, v17, v4
	v_lshlrev_b32_e32 v4, 29, v5
	v_cmp_gt_i64_e64 s[24:25], 0, v[3:4]
	v_not_b32_e32 v4, v4
	v_ashrrev_i32_e32 v4, 31, v4
	v_and_b32_e32 v19, v19, v20
	v_xor_b32_e32 v20, s25, v4
	v_xor_b32_e32 v4, s24, v4
	v_and_b32_e32 v17, v17, v4
	v_lshlrev_b32_e32 v4, 28, v5
	v_cmp_gt_i64_e64 s[24:25], 0, v[3:4]
	v_not_b32_e32 v4, v4
	v_ashrrev_i32_e32 v4, 31, v4
	v_and_b32_e32 v19, v19, v20
	v_xor_b32_e32 v20, s25, v4
	v_xor_b32_e32 v4, s24, v4
	v_and_b32_e32 v17, v17, v4
	v_lshlrev_b32_e32 v4, 27, v5
	v_cmp_gt_i64_e64 s[24:25], 0, v[3:4]
	v_not_b32_e32 v4, v4
	v_ashrrev_i32_e32 v4, 31, v4
	v_and_b32_e32 v19, v19, v20
	v_xor_b32_e32 v20, s25, v4
	v_xor_b32_e32 v4, s24, v4
	v_and_b32_e32 v17, v17, v4
	v_lshlrev_b32_e32 v4, 26, v5
	v_cmp_gt_i64_e64 s[24:25], 0, v[3:4]
	v_not_b32_e32 v4, v4
	v_ashrrev_i32_e32 v4, 31, v4
	v_and_b32_e32 v19, v19, v20
	v_xor_b32_e32 v20, s25, v4
	v_xor_b32_e32 v4, s24, v4
	v_and_b32_e32 v17, v17, v4
	v_lshlrev_b32_e32 v4, 25, v5
	v_cmp_gt_i64_e64 s[24:25], 0, v[3:4]
	v_not_b32_e32 v4, v4
	v_ashrrev_i32_e32 v4, 31, v4
	v_and_b32_e32 v19, v19, v20
	v_xor_b32_e32 v20, s25, v4
	v_xor_b32_e32 v4, s24, v4
	v_and_b32_e32 v17, v17, v4
	v_lshlrev_b32_e32 v4, 24, v5
	v_cmp_gt_i64_e64 s[24:25], 0, v[3:4]
	v_not_b32_e32 v3, v4
	v_ashrrev_i32_e32 v3, 31, v3
	v_mad_u32_u24 v16, v5, 20, v24
	v_xor_b32_e32 v4, s25, v3
	v_xor_b32_e32 v3, s24, v3
	; wave barrier
	ds_read_b32 v15, v16 offset:16
	v_and_b32_e32 v19, v19, v20
	v_and_b32_e32 v3, v17, v3
	;; [unrolled: 1-line block ×3, first 2 shown]
	v_mbcnt_lo_u32_b32 v5, v3, 0
	v_mbcnt_hi_u32_b32 v17, v4, v5
	v_cmp_ne_u64_e64 s[24:25], 0, v[3:4]
	v_cmp_eq_u32_e64 s[26:27], 0, v17
	s_and_b64 s[26:27], s[24:25], s[26:27]
	; wave barrier
	s_and_saveexec_b64 s[24:25], s[26:27]
	s_cbranch_execz .LBB192_29
; %bb.28:
	v_bcnt_u32_b32 v3, v3, 0
	v_bcnt_u32_b32 v3, v4, v3
	s_waitcnt lgkmcnt(0)
	v_add_u32_e32 v3, v15, v3
	ds_write_b32 v16, v3 offset:16
.LBB192_29:
	s_or_b64 exec, exec, s[24:25]
	v_mov_b32_e32 v25, 0x7fff
	v_cmp_gt_i16_e64 s[24:25], 0, v18
	v_cndmask_b32_e64 v3, v25, 0, s[24:25]
	v_xor_b32_e32 v18, v3, v18
	v_cmp_ne_u16_e64 s[24:25], s28, v18
	v_cndmask_b32_e64 v3, v25, v18, s[24:25]
	v_lshrrev_b32_sdwa v3, s68, v3 dst_sel:DWORD dst_unused:UNUSED_PAD src0_sel:DWORD src1_sel:WORD_0
	v_and_b32_e32 v5, s74, v3
	v_and_b32_e32 v4, 1, v5
	v_add_co_u32_e64 v23, s[24:25], -1, v4
	v_addc_co_u32_e64 v27, s[24:25], 0, -1, s[24:25]
	v_cmp_ne_u32_e64 s[24:25], 0, v4
	v_xor_b32_e32 v4, s25, v27
	v_mov_b32_e32 v3, 0
	v_and_b32_e32 v27, exec_hi, v4
	v_lshlrev_b32_e32 v4, 30, v5
	v_xor_b32_e32 v23, s24, v23
	v_cmp_gt_i64_e64 s[24:25], 0, v[3:4]
	v_not_b32_e32 v4, v4
	v_ashrrev_i32_e32 v4, 31, v4
	v_and_b32_e32 v23, exec_lo, v23
	v_xor_b32_e32 v28, s25, v4
	v_xor_b32_e32 v4, s24, v4
	v_and_b32_e32 v23, v23, v4
	v_lshlrev_b32_e32 v4, 29, v5
	v_cmp_gt_i64_e64 s[24:25], 0, v[3:4]
	v_not_b32_e32 v4, v4
	v_ashrrev_i32_e32 v4, 31, v4
	v_and_b32_e32 v27, v27, v28
	v_xor_b32_e32 v28, s25, v4
	v_xor_b32_e32 v4, s24, v4
	v_and_b32_e32 v23, v23, v4
	v_lshlrev_b32_e32 v4, 28, v5
	v_cmp_gt_i64_e64 s[24:25], 0, v[3:4]
	v_not_b32_e32 v4, v4
	v_ashrrev_i32_e32 v4, 31, v4
	v_and_b32_e32 v27, v27, v28
	;; [unrolled: 8-line block ×5, first 2 shown]
	v_xor_b32_e32 v28, s25, v4
	v_xor_b32_e32 v4, s24, v4
	v_and_b32_e32 v23, v23, v4
	v_lshlrev_b32_e32 v4, 24, v5
	v_cmp_gt_i64_e64 s[24:25], 0, v[3:4]
	v_not_b32_e32 v4, v4
	v_ashrrev_i32_e32 v4, 31, v4
	v_mad_u32_u24 v20, v5, 20, v24
	v_xor_b32_e32 v5, s25, v4
	v_xor_b32_e32 v4, s24, v4
	; wave barrier
	ds_read_b32 v19, v20 offset:16
	v_and_b32_e32 v27, v27, v28
	v_and_b32_e32 v4, v23, v4
	;; [unrolled: 1-line block ×3, first 2 shown]
	v_mbcnt_lo_u32_b32 v23, v4, 0
	v_mbcnt_hi_u32_b32 v23, v5, v23
	v_cmp_ne_u64_e64 s[24:25], 0, v[4:5]
	v_cmp_eq_u32_e64 s[26:27], 0, v23
	s_and_b64 s[26:27], s[24:25], s[26:27]
	; wave barrier
	s_and_saveexec_b64 s[24:25], s[26:27]
	s_cbranch_execz .LBB192_31
; %bb.30:
	v_bcnt_u32_b32 v4, v4, 0
	v_bcnt_u32_b32 v4, v5, v4
	s_waitcnt lgkmcnt(0)
	v_add_u32_e32 v4, v19, v4
	ds_write_b32 v20, v4 offset:16
.LBB192_31:
	s_or_b64 exec, exec, s[24:25]
	v_cmp_gt_i16_e64 s[24:25], 0, v22
	v_cndmask_b32_e64 v4, v25, 0, s[24:25]
	v_xor_b32_e32 v22, v4, v22
	v_cmp_ne_u16_e64 s[24:25], s28, v22
	v_cndmask_b32_e64 v4, v25, v22, s[24:25]
	v_lshrrev_b32_sdwa v4, s68, v4 dst_sel:DWORD dst_unused:UNUSED_PAD src0_sel:DWORD src1_sel:WORD_0
	v_and_b32_e32 v5, s74, v4
	v_and_b32_e32 v4, 1, v5
	v_add_co_u32_e64 v28, s[24:25], -1, v4
	v_addc_co_u32_e64 v32, s[24:25], 0, -1, s[24:25]
	v_cmp_ne_u32_e64 s[24:25], 0, v4
	v_xor_b32_e32 v4, s25, v32
	v_and_b32_e32 v32, exec_hi, v4
	v_lshlrev_b32_e32 v4, 30, v5
	v_xor_b32_e32 v28, s24, v28
	v_cmp_gt_i64_e64 s[24:25], 0, v[3:4]
	v_not_b32_e32 v4, v4
	v_ashrrev_i32_e32 v4, 31, v4
	v_and_b32_e32 v28, exec_lo, v28
	v_xor_b32_e32 v33, s25, v4
	v_xor_b32_e32 v4, s24, v4
	v_and_b32_e32 v28, v28, v4
	v_lshlrev_b32_e32 v4, 29, v5
	v_cmp_gt_i64_e64 s[24:25], 0, v[3:4]
	v_not_b32_e32 v4, v4
	v_ashrrev_i32_e32 v4, 31, v4
	v_and_b32_e32 v32, v32, v33
	v_xor_b32_e32 v33, s25, v4
	v_xor_b32_e32 v4, s24, v4
	v_and_b32_e32 v28, v28, v4
	v_lshlrev_b32_e32 v4, 28, v5
	v_cmp_gt_i64_e64 s[24:25], 0, v[3:4]
	v_not_b32_e32 v4, v4
	v_ashrrev_i32_e32 v4, 31, v4
	v_and_b32_e32 v32, v32, v33
	;; [unrolled: 8-line block ×5, first 2 shown]
	v_xor_b32_e32 v33, s25, v4
	v_xor_b32_e32 v4, s24, v4
	v_and_b32_e32 v28, v28, v4
	v_lshlrev_b32_e32 v4, 24, v5
	v_cmp_gt_i64_e64 s[24:25], 0, v[3:4]
	v_not_b32_e32 v3, v4
	v_ashrrev_i32_e32 v3, 31, v3
	v_mad_u32_u24 v27, v5, 20, v24
	v_xor_b32_e32 v4, s25, v3
	v_xor_b32_e32 v3, s24, v3
	; wave barrier
	ds_read_b32 v25, v27 offset:16
	v_and_b32_e32 v32, v32, v33
	v_and_b32_e32 v3, v28, v3
	;; [unrolled: 1-line block ×3, first 2 shown]
	v_mbcnt_lo_u32_b32 v5, v3, 0
	v_mbcnt_hi_u32_b32 v28, v4, v5
	v_cmp_ne_u64_e64 s[24:25], 0, v[3:4]
	v_cmp_eq_u32_e64 s[26:27], 0, v28
	s_and_b64 s[26:27], s[24:25], s[26:27]
	; wave barrier
	s_and_saveexec_b64 s[24:25], s[26:27]
	s_cbranch_execz .LBB192_33
; %bb.32:
	v_bcnt_u32_b32 v3, v3, 0
	v_bcnt_u32_b32 v3, v4, v3
	s_waitcnt lgkmcnt(0)
	v_add_u32_e32 v3, v25, v3
	ds_write_b32 v27, v3 offset:16
.LBB192_33:
	s_or_b64 exec, exec, s[24:25]
	v_mov_b32_e32 v37, 0x7fff
	v_cmp_gt_i16_e64 s[24:25], 0, v31
	v_cndmask_b32_e64 v3, v37, 0, s[24:25]
	v_xor_b32_e32 v31, v3, v31
	v_cmp_ne_u16_e64 s[24:25], s28, v31
	v_cndmask_b32_e64 v3, v37, v31, s[24:25]
	v_lshrrev_b32_sdwa v3, s68, v3 dst_sel:DWORD dst_unused:UNUSED_PAD src0_sel:DWORD src1_sel:WORD_0
	v_and_b32_e32 v5, s74, v3
	v_and_b32_e32 v4, 1, v5
	v_add_co_u32_e64 v34, s[24:25], -1, v4
	v_addc_co_u32_e64 v38, s[24:25], 0, -1, s[24:25]
	v_cmp_ne_u32_e64 s[24:25], 0, v4
	v_xor_b32_e32 v4, s25, v38
	v_mov_b32_e32 v3, 0
	v_and_b32_e32 v38, exec_hi, v4
	v_lshlrev_b32_e32 v4, 30, v5
	v_xor_b32_e32 v34, s24, v34
	v_cmp_gt_i64_e64 s[24:25], 0, v[3:4]
	v_not_b32_e32 v4, v4
	v_ashrrev_i32_e32 v4, 31, v4
	v_and_b32_e32 v34, exec_lo, v34
	v_xor_b32_e32 v40, s25, v4
	v_xor_b32_e32 v4, s24, v4
	v_and_b32_e32 v34, v34, v4
	v_lshlrev_b32_e32 v4, 29, v5
	v_cmp_gt_i64_e64 s[24:25], 0, v[3:4]
	v_not_b32_e32 v4, v4
	v_ashrrev_i32_e32 v4, 31, v4
	v_and_b32_e32 v38, v38, v40
	v_xor_b32_e32 v40, s25, v4
	v_xor_b32_e32 v4, s24, v4
	v_and_b32_e32 v34, v34, v4
	v_lshlrev_b32_e32 v4, 28, v5
	v_cmp_gt_i64_e64 s[24:25], 0, v[3:4]
	v_not_b32_e32 v4, v4
	v_ashrrev_i32_e32 v4, 31, v4
	v_and_b32_e32 v38, v38, v40
	v_xor_b32_e32 v40, s25, v4
	v_xor_b32_e32 v4, s24, v4
	v_and_b32_e32 v34, v34, v4
	v_lshlrev_b32_e32 v4, 27, v5
	v_cmp_gt_i64_e64 s[24:25], 0, v[3:4]
	v_not_b32_e32 v4, v4
	v_ashrrev_i32_e32 v4, 31, v4
	v_and_b32_e32 v38, v38, v40
	v_xor_b32_e32 v40, s25, v4
	v_xor_b32_e32 v4, s24, v4
	v_and_b32_e32 v34, v34, v4
	v_lshlrev_b32_e32 v4, 26, v5
	v_cmp_gt_i64_e64 s[24:25], 0, v[3:4]
	v_not_b32_e32 v4, v4
	v_ashrrev_i32_e32 v4, 31, v4
	v_and_b32_e32 v38, v38, v40
	v_xor_b32_e32 v40, s25, v4
	v_xor_b32_e32 v4, s24, v4
	v_and_b32_e32 v34, v34, v4
	v_lshlrev_b32_e32 v4, 25, v5
	v_cmp_gt_i64_e64 s[24:25], 0, v[3:4]
	v_not_b32_e32 v4, v4
	v_ashrrev_i32_e32 v4, 31, v4
	v_and_b32_e32 v38, v38, v40
	v_xor_b32_e32 v40, s25, v4
	v_xor_b32_e32 v4, s24, v4
	v_and_b32_e32 v34, v34, v4
	v_lshlrev_b32_e32 v4, 24, v5
	v_cmp_gt_i64_e64 s[24:25], 0, v[3:4]
	v_not_b32_e32 v4, v4
	v_ashrrev_i32_e32 v4, 31, v4
	v_mad_u32_u24 v33, v5, 20, v24
	v_xor_b32_e32 v5, s25, v4
	v_xor_b32_e32 v4, s24, v4
	; wave barrier
	ds_read_b32 v32, v33 offset:16
	v_and_b32_e32 v38, v38, v40
	v_and_b32_e32 v4, v34, v4
	v_and_b32_e32 v5, v38, v5
	v_mbcnt_lo_u32_b32 v34, v4, 0
	v_mbcnt_hi_u32_b32 v34, v5, v34
	v_cmp_ne_u64_e64 s[24:25], 0, v[4:5]
	v_cmp_eq_u32_e64 s[26:27], 0, v34
	s_and_b64 s[26:27], s[24:25], s[26:27]
	; wave barrier
	s_and_saveexec_b64 s[24:25], s[26:27]
	s_cbranch_execz .LBB192_35
; %bb.34:
	v_bcnt_u32_b32 v4, v4, 0
	v_bcnt_u32_b32 v4, v5, v4
	s_waitcnt lgkmcnt(0)
	v_add_u32_e32 v4, v32, v4
	ds_write_b32 v33, v4 offset:16
.LBB192_35:
	s_or_b64 exec, exec, s[24:25]
	v_cmp_gt_i16_e64 s[24:25], 0, v36
	v_cndmask_b32_e64 v4, v37, 0, s[24:25]
	v_xor_b32_e32 v45, v4, v36
	v_cmp_ne_u16_e64 s[24:25], s28, v45
	v_cndmask_b32_e64 v4, v37, v45, s[24:25]
	v_lshrrev_b32_sdwa v4, s68, v4 dst_sel:DWORD dst_unused:UNUSED_PAD src0_sel:DWORD src1_sel:WORD_0
	v_and_b32_e32 v5, s74, v4
	v_and_b32_e32 v4, 1, v5
	v_add_co_u32_e64 v38, s[24:25], -1, v4
	v_addc_co_u32_e64 v40, s[24:25], 0, -1, s[24:25]
	v_cmp_ne_u32_e64 s[24:25], 0, v4
	v_xor_b32_e32 v4, s25, v40
	v_and_b32_e32 v40, exec_hi, v4
	v_lshlrev_b32_e32 v4, 30, v5
	v_xor_b32_e32 v38, s24, v38
	v_cmp_gt_i64_e64 s[24:25], 0, v[3:4]
	v_not_b32_e32 v4, v4
	v_ashrrev_i32_e32 v4, 31, v4
	v_and_b32_e32 v38, exec_lo, v38
	v_xor_b32_e32 v41, s25, v4
	v_xor_b32_e32 v4, s24, v4
	v_and_b32_e32 v38, v38, v4
	v_lshlrev_b32_e32 v4, 29, v5
	v_cmp_gt_i64_e64 s[24:25], 0, v[3:4]
	v_not_b32_e32 v4, v4
	v_ashrrev_i32_e32 v4, 31, v4
	v_and_b32_e32 v40, v40, v41
	v_xor_b32_e32 v41, s25, v4
	v_xor_b32_e32 v4, s24, v4
	v_and_b32_e32 v38, v38, v4
	v_lshlrev_b32_e32 v4, 28, v5
	v_cmp_gt_i64_e64 s[24:25], 0, v[3:4]
	v_not_b32_e32 v4, v4
	v_ashrrev_i32_e32 v4, 31, v4
	v_and_b32_e32 v40, v40, v41
	;; [unrolled: 8-line block ×5, first 2 shown]
	v_xor_b32_e32 v41, s25, v4
	v_xor_b32_e32 v4, s24, v4
	v_and_b32_e32 v38, v38, v4
	v_lshlrev_b32_e32 v4, 24, v5
	v_cmp_gt_i64_e64 s[24:25], 0, v[3:4]
	v_not_b32_e32 v3, v4
	v_ashrrev_i32_e32 v3, 31, v3
	v_mad_u32_u24 v37, v5, 20, v24
	v_xor_b32_e32 v4, s25, v3
	v_xor_b32_e32 v3, s24, v3
	; wave barrier
	ds_read_b32 v36, v37 offset:16
	v_and_b32_e32 v40, v40, v41
	v_and_b32_e32 v3, v38, v3
	;; [unrolled: 1-line block ×3, first 2 shown]
	v_mbcnt_lo_u32_b32 v5, v3, 0
	v_mbcnt_hi_u32_b32 v38, v4, v5
	v_cmp_ne_u64_e64 s[24:25], 0, v[3:4]
	v_cmp_eq_u32_e64 s[26:27], 0, v38
	s_and_b64 s[26:27], s[24:25], s[26:27]
	; wave barrier
	s_and_saveexec_b64 s[24:25], s[26:27]
	s_cbranch_execz .LBB192_37
; %bb.36:
	v_bcnt_u32_b32 v3, v3, 0
	v_bcnt_u32_b32 v3, v4, v3
	s_waitcnt lgkmcnt(0)
	v_add_u32_e32 v3, v36, v3
	ds_write_b32 v37, v3 offset:16
.LBB192_37:
	s_or_b64 exec, exec, s[24:25]
	v_mov_b32_e32 v40, 0x7fff
	v_cmp_gt_i16_e64 s[24:25], 0, v39
	v_cndmask_b32_e64 v3, v40, 0, s[24:25]
	v_xor_b32_e32 v46, v3, v39
	v_cmp_ne_u16_e64 s[24:25], s28, v46
	v_cndmask_b32_e64 v3, v40, v46, s[24:25]
	v_lshrrev_b32_sdwa v3, s68, v3 dst_sel:DWORD dst_unused:UNUSED_PAD src0_sel:DWORD src1_sel:WORD_0
	v_and_b32_e32 v5, s74, v3
	v_and_b32_e32 v4, 1, v5
	v_add_co_u32_e64 v41, s[24:25], -1, v4
	v_addc_co_u32_e64 v42, s[24:25], 0, -1, s[24:25]
	v_cmp_ne_u32_e64 s[24:25], 0, v4
	v_xor_b32_e32 v4, s25, v42
	v_mov_b32_e32 v3, 0
	v_and_b32_e32 v42, exec_hi, v4
	v_lshlrev_b32_e32 v4, 30, v5
	v_xor_b32_e32 v41, s24, v41
	v_cmp_gt_i64_e64 s[24:25], 0, v[3:4]
	v_not_b32_e32 v4, v4
	v_ashrrev_i32_e32 v4, 31, v4
	v_and_b32_e32 v41, exec_lo, v41
	v_xor_b32_e32 v43, s25, v4
	v_xor_b32_e32 v4, s24, v4
	v_and_b32_e32 v41, v41, v4
	v_lshlrev_b32_e32 v4, 29, v5
	v_cmp_gt_i64_e64 s[24:25], 0, v[3:4]
	v_not_b32_e32 v4, v4
	v_ashrrev_i32_e32 v4, 31, v4
	v_and_b32_e32 v42, v42, v43
	v_xor_b32_e32 v43, s25, v4
	v_xor_b32_e32 v4, s24, v4
	v_and_b32_e32 v41, v41, v4
	v_lshlrev_b32_e32 v4, 28, v5
	v_cmp_gt_i64_e64 s[24:25], 0, v[3:4]
	v_not_b32_e32 v4, v4
	v_ashrrev_i32_e32 v4, 31, v4
	v_and_b32_e32 v42, v42, v43
	;; [unrolled: 8-line block ×5, first 2 shown]
	v_xor_b32_e32 v43, s25, v4
	v_xor_b32_e32 v4, s24, v4
	v_and_b32_e32 v41, v41, v4
	v_lshlrev_b32_e32 v4, 24, v5
	v_cmp_gt_i64_e64 s[24:25], 0, v[3:4]
	v_not_b32_e32 v4, v4
	v_ashrrev_i32_e32 v4, 31, v4
	v_mad_u32_u24 v39, v5, 20, v24
	v_xor_b32_e32 v5, s25, v4
	v_xor_b32_e32 v4, s24, v4
	; wave barrier
	ds_read_b32 v47, v39 offset:16
	v_and_b32_e32 v42, v42, v43
	v_and_b32_e32 v4, v41, v4
	;; [unrolled: 1-line block ×3, first 2 shown]
	v_mbcnt_lo_u32_b32 v41, v4, 0
	v_mbcnt_hi_u32_b32 v49, v5, v41
	v_cmp_ne_u64_e64 s[24:25], 0, v[4:5]
	v_cmp_eq_u32_e64 s[26:27], 0, v49
	s_and_b64 s[26:27], s[24:25], s[26:27]
	; wave barrier
	s_and_saveexec_b64 s[24:25], s[26:27]
	s_cbranch_execz .LBB192_39
; %bb.38:
	v_bcnt_u32_b32 v4, v4, 0
	v_bcnt_u32_b32 v4, v5, v4
	s_waitcnt lgkmcnt(0)
	v_add_u32_e32 v4, v47, v4
	ds_write_b32 v39, v4 offset:16
.LBB192_39:
	s_or_b64 exec, exec, s[24:25]
	v_cmp_gt_i16_e64 s[24:25], 0, v35
	v_cndmask_b32_e64 v4, v40, 0, s[24:25]
	v_xor_b32_e32 v48, v4, v35
	v_cmp_ne_u16_e64 s[24:25], s28, v48
	v_cndmask_b32_e64 v4, v40, v48, s[24:25]
	v_lshrrev_b32_sdwa v4, s68, v4 dst_sel:DWORD dst_unused:UNUSED_PAD src0_sel:DWORD src1_sel:WORD_0
	v_and_b32_e32 v5, s74, v4
	v_and_b32_e32 v4, 1, v5
	v_add_co_u32_e64 v41, s[24:25], -1, v4
	v_addc_co_u32_e64 v42, s[24:25], 0, -1, s[24:25]
	v_cmp_ne_u32_e64 s[24:25], 0, v4
	v_xor_b32_e32 v4, s25, v42
	v_and_b32_e32 v42, exec_hi, v4
	v_lshlrev_b32_e32 v4, 30, v5
	v_xor_b32_e32 v41, s24, v41
	v_cmp_gt_i64_e64 s[24:25], 0, v[3:4]
	v_not_b32_e32 v4, v4
	v_ashrrev_i32_e32 v4, 31, v4
	v_and_b32_e32 v41, exec_lo, v41
	v_xor_b32_e32 v43, s25, v4
	v_xor_b32_e32 v4, s24, v4
	v_and_b32_e32 v41, v41, v4
	v_lshlrev_b32_e32 v4, 29, v5
	v_cmp_gt_i64_e64 s[24:25], 0, v[3:4]
	v_not_b32_e32 v4, v4
	v_ashrrev_i32_e32 v4, 31, v4
	v_and_b32_e32 v42, v42, v43
	v_xor_b32_e32 v43, s25, v4
	v_xor_b32_e32 v4, s24, v4
	v_and_b32_e32 v41, v41, v4
	v_lshlrev_b32_e32 v4, 28, v5
	v_cmp_gt_i64_e64 s[24:25], 0, v[3:4]
	v_not_b32_e32 v4, v4
	v_ashrrev_i32_e32 v4, 31, v4
	v_and_b32_e32 v42, v42, v43
	;; [unrolled: 8-line block ×5, first 2 shown]
	v_xor_b32_e32 v43, s25, v4
	v_xor_b32_e32 v4, s24, v4
	v_and_b32_e32 v41, v41, v4
	v_lshlrev_b32_e32 v4, 24, v5
	v_cmp_gt_i64_e64 s[24:25], 0, v[3:4]
	v_not_b32_e32 v3, v4
	v_ashrrev_i32_e32 v3, 31, v3
	v_mad_u32_u24 v40, v5, 20, v24
	v_xor_b32_e32 v4, s25, v3
	v_xor_b32_e32 v3, s24, v3
	; wave barrier
	ds_read_b32 v35, v40 offset:16
	v_and_b32_e32 v42, v42, v43
	v_and_b32_e32 v3, v41, v3
	v_and_b32_e32 v4, v42, v4
	v_mbcnt_lo_u32_b32 v5, v3, 0
	v_mbcnt_hi_u32_b32 v51, v4, v5
	v_cmp_ne_u64_e64 s[24:25], 0, v[3:4]
	v_cmp_eq_u32_e64 s[26:27], 0, v51
	s_and_b64 s[26:27], s[24:25], s[26:27]
	; wave barrier
	s_and_saveexec_b64 s[24:25], s[26:27]
	s_cbranch_execz .LBB192_41
; %bb.40:
	v_bcnt_u32_b32 v3, v3, 0
	v_bcnt_u32_b32 v3, v4, v3
	s_waitcnt lgkmcnt(0)
	v_add_u32_e32 v3, v35, v3
	ds_write_b32 v40, v3 offset:16
.LBB192_41:
	s_or_b64 exec, exec, s[24:25]
	v_mov_b32_e32 v41, 0x7fff
	v_cmp_gt_i16_e64 s[24:25], 0, v30
	v_cndmask_b32_e64 v3, v41, 0, s[24:25]
	v_xor_b32_e32 v50, v3, v30
	v_cmp_ne_u16_e64 s[24:25], s28, v50
	v_cndmask_b32_e64 v3, v41, v50, s[24:25]
	v_lshrrev_b32_sdwa v3, s68, v3 dst_sel:DWORD dst_unused:UNUSED_PAD src0_sel:DWORD src1_sel:WORD_0
	v_and_b32_e32 v5, s74, v3
	v_and_b32_e32 v4, 1, v5
	v_add_co_u32_e64 v42, s[24:25], -1, v4
	v_addc_co_u32_e64 v43, s[24:25], 0, -1, s[24:25]
	v_cmp_ne_u32_e64 s[24:25], 0, v4
	v_xor_b32_e32 v4, s25, v43
	v_mov_b32_e32 v3, 0
	v_and_b32_e32 v43, exec_hi, v4
	v_lshlrev_b32_e32 v4, 30, v5
	v_xor_b32_e32 v42, s24, v42
	v_cmp_gt_i64_e64 s[24:25], 0, v[3:4]
	v_not_b32_e32 v4, v4
	v_ashrrev_i32_e32 v4, 31, v4
	v_and_b32_e32 v42, exec_lo, v42
	v_xor_b32_e32 v44, s25, v4
	v_xor_b32_e32 v4, s24, v4
	v_and_b32_e32 v42, v42, v4
	v_lshlrev_b32_e32 v4, 29, v5
	v_cmp_gt_i64_e64 s[24:25], 0, v[3:4]
	v_not_b32_e32 v4, v4
	v_ashrrev_i32_e32 v4, 31, v4
	v_and_b32_e32 v43, v43, v44
	v_xor_b32_e32 v44, s25, v4
	v_xor_b32_e32 v4, s24, v4
	v_and_b32_e32 v42, v42, v4
	v_lshlrev_b32_e32 v4, 28, v5
	v_cmp_gt_i64_e64 s[24:25], 0, v[3:4]
	v_not_b32_e32 v4, v4
	v_ashrrev_i32_e32 v4, 31, v4
	v_and_b32_e32 v43, v43, v44
	v_xor_b32_e32 v44, s25, v4
	v_xor_b32_e32 v4, s24, v4
	v_and_b32_e32 v42, v42, v4
	v_lshlrev_b32_e32 v4, 27, v5
	v_cmp_gt_i64_e64 s[24:25], 0, v[3:4]
	v_not_b32_e32 v4, v4
	v_ashrrev_i32_e32 v4, 31, v4
	v_and_b32_e32 v43, v43, v44
	v_xor_b32_e32 v44, s25, v4
	v_xor_b32_e32 v4, s24, v4
	v_and_b32_e32 v42, v42, v4
	v_lshlrev_b32_e32 v4, 26, v5
	v_cmp_gt_i64_e64 s[24:25], 0, v[3:4]
	v_not_b32_e32 v4, v4
	v_ashrrev_i32_e32 v4, 31, v4
	v_and_b32_e32 v43, v43, v44
	v_xor_b32_e32 v44, s25, v4
	v_xor_b32_e32 v4, s24, v4
	v_and_b32_e32 v42, v42, v4
	v_lshlrev_b32_e32 v4, 25, v5
	v_cmp_gt_i64_e64 s[24:25], 0, v[3:4]
	v_not_b32_e32 v4, v4
	v_ashrrev_i32_e32 v4, 31, v4
	v_and_b32_e32 v43, v43, v44
	v_xor_b32_e32 v44, s25, v4
	v_xor_b32_e32 v4, s24, v4
	v_and_b32_e32 v42, v42, v4
	v_lshlrev_b32_e32 v4, 24, v5
	v_cmp_gt_i64_e64 s[24:25], 0, v[3:4]
	v_not_b32_e32 v4, v4
	v_ashrrev_i32_e32 v4, 31, v4
	v_mad_u32_u24 v30, v5, 20, v24
	v_xor_b32_e32 v5, s25, v4
	v_xor_b32_e32 v4, s24, v4
	; wave barrier
	ds_read_b32 v52, v30 offset:16
	v_and_b32_e32 v43, v43, v44
	v_and_b32_e32 v4, v42, v4
	;; [unrolled: 1-line block ×3, first 2 shown]
	v_mbcnt_lo_u32_b32 v42, v4, 0
	v_mbcnt_hi_u32_b32 v53, v5, v42
	v_cmp_ne_u64_e64 s[24:25], 0, v[4:5]
	v_cmp_eq_u32_e64 s[26:27], 0, v53
	s_and_b64 s[26:27], s[24:25], s[26:27]
	; wave barrier
	s_and_saveexec_b64 s[24:25], s[26:27]
	s_cbranch_execz .LBB192_43
; %bb.42:
	v_bcnt_u32_b32 v4, v4, 0
	v_bcnt_u32_b32 v4, v5, v4
	s_waitcnt lgkmcnt(0)
	v_add_u32_e32 v4, v52, v4
	ds_write_b32 v30, v4 offset:16
.LBB192_43:
	s_or_b64 exec, exec, s[24:25]
	v_cmp_gt_i16_e64 s[24:25], 0, v26
	v_cndmask_b32_e64 v4, v41, 0, s[24:25]
	v_xor_b32_e32 v26, v4, v26
	v_cmp_ne_u16_e64 s[24:25], s28, v26
	v_cndmask_b32_e64 v4, v41, v26, s[24:25]
	v_lshrrev_b32_sdwa v4, s68, v4 dst_sel:DWORD dst_unused:UNUSED_PAD src0_sel:DWORD src1_sel:WORD_0
	v_and_b32_e32 v5, s74, v4
	v_and_b32_e32 v4, 1, v5
	v_add_co_u32_e64 v42, s[24:25], -1, v4
	v_addc_co_u32_e64 v43, s[24:25], 0, -1, s[24:25]
	v_cmp_ne_u32_e64 s[24:25], 0, v4
	v_xor_b32_e32 v4, s25, v43
	v_and_b32_e32 v43, exec_hi, v4
	v_lshlrev_b32_e32 v4, 30, v5
	v_xor_b32_e32 v42, s24, v42
	v_cmp_gt_i64_e64 s[24:25], 0, v[3:4]
	v_not_b32_e32 v4, v4
	v_ashrrev_i32_e32 v4, 31, v4
	v_and_b32_e32 v42, exec_lo, v42
	v_xor_b32_e32 v44, s25, v4
	v_xor_b32_e32 v4, s24, v4
	v_and_b32_e32 v42, v42, v4
	v_lshlrev_b32_e32 v4, 29, v5
	v_cmp_gt_i64_e64 s[24:25], 0, v[3:4]
	v_not_b32_e32 v4, v4
	v_ashrrev_i32_e32 v4, 31, v4
	v_and_b32_e32 v43, v43, v44
	v_xor_b32_e32 v44, s25, v4
	v_xor_b32_e32 v4, s24, v4
	v_and_b32_e32 v42, v42, v4
	v_lshlrev_b32_e32 v4, 28, v5
	v_cmp_gt_i64_e64 s[24:25], 0, v[3:4]
	v_not_b32_e32 v4, v4
	v_ashrrev_i32_e32 v4, 31, v4
	v_and_b32_e32 v43, v43, v44
	;; [unrolled: 8-line block ×5, first 2 shown]
	v_xor_b32_e32 v44, s25, v4
	v_xor_b32_e32 v4, s24, v4
	v_and_b32_e32 v42, v42, v4
	v_lshlrev_b32_e32 v4, 24, v5
	v_cmp_gt_i64_e64 s[24:25], 0, v[3:4]
	v_not_b32_e32 v3, v4
	v_ashrrev_i32_e32 v3, 31, v3
	v_mad_u32_u24 v41, v5, 20, v24
	v_xor_b32_e32 v4, s25, v3
	v_xor_b32_e32 v3, s24, v3
	; wave barrier
	ds_read_b32 v54, v41 offset:16
	v_and_b32_e32 v43, v43, v44
	v_and_b32_e32 v3, v42, v3
	;; [unrolled: 1-line block ×3, first 2 shown]
	v_mbcnt_lo_u32_b32 v5, v3, 0
	v_mbcnt_hi_u32_b32 v55, v4, v5
	v_cmp_ne_u64_e64 s[24:25], 0, v[3:4]
	v_cmp_eq_u32_e64 s[26:27], 0, v55
	s_and_b64 s[26:27], s[24:25], s[26:27]
	; wave barrier
	s_and_saveexec_b64 s[24:25], s[26:27]
	s_cbranch_execz .LBB192_45
; %bb.44:
	v_bcnt_u32_b32 v3, v3, 0
	v_bcnt_u32_b32 v3, v4, v3
	s_waitcnt lgkmcnt(0)
	v_add_u32_e32 v3, v54, v3
	ds_write_b32 v41, v3 offset:16
.LBB192_45:
	s_or_b64 exec, exec, s[24:25]
	v_mov_b32_e32 v43, 0x7fff
	v_cmp_gt_i16_e64 s[24:25], 0, v21
	v_cndmask_b32_e64 v3, v43, 0, s[24:25]
	v_xor_b32_e32 v21, v3, v21
	v_cmp_ne_u16_e64 s[24:25], s28, v21
	v_cndmask_b32_e64 v3, v43, v21, s[24:25]
	v_lshrrev_b32_sdwa v3, s68, v3 dst_sel:DWORD dst_unused:UNUSED_PAD src0_sel:DWORD src1_sel:WORD_0
	v_and_b32_e32 v5, s74, v3
	v_and_b32_e32 v4, 1, v5
	v_add_co_u32_e64 v44, s[24:25], -1, v4
	v_addc_co_u32_e64 v57, s[24:25], 0, -1, s[24:25]
	v_cmp_ne_u32_e64 s[24:25], 0, v4
	v_xor_b32_e32 v4, s25, v57
	v_mov_b32_e32 v3, 0
	v_and_b32_e32 v57, exec_hi, v4
	v_lshlrev_b32_e32 v4, 30, v5
	v_xor_b32_e32 v44, s24, v44
	v_cmp_gt_i64_e64 s[24:25], 0, v[3:4]
	v_not_b32_e32 v4, v4
	v_ashrrev_i32_e32 v4, 31, v4
	v_and_b32_e32 v44, exec_lo, v44
	v_xor_b32_e32 v58, s25, v4
	v_xor_b32_e32 v4, s24, v4
	v_and_b32_e32 v44, v44, v4
	v_lshlrev_b32_e32 v4, 29, v5
	v_cmp_gt_i64_e64 s[24:25], 0, v[3:4]
	v_not_b32_e32 v4, v4
	v_ashrrev_i32_e32 v4, 31, v4
	v_and_b32_e32 v57, v57, v58
	v_xor_b32_e32 v58, s25, v4
	v_xor_b32_e32 v4, s24, v4
	v_and_b32_e32 v44, v44, v4
	v_lshlrev_b32_e32 v4, 28, v5
	v_cmp_gt_i64_e64 s[24:25], 0, v[3:4]
	v_not_b32_e32 v4, v4
	v_ashrrev_i32_e32 v4, 31, v4
	v_and_b32_e32 v57, v57, v58
	;; [unrolled: 8-line block ×5, first 2 shown]
	v_xor_b32_e32 v58, s25, v4
	v_xor_b32_e32 v4, s24, v4
	v_and_b32_e32 v44, v44, v4
	v_lshlrev_b32_e32 v4, 24, v5
	v_cmp_gt_i64_e64 s[24:25], 0, v[3:4]
	v_not_b32_e32 v4, v4
	v_ashrrev_i32_e32 v4, 31, v4
	v_mad_u32_u24 v42, v5, 20, v24
	v_xor_b32_e32 v5, s25, v4
	v_xor_b32_e32 v4, s24, v4
	; wave barrier
	ds_read_b32 v56, v42 offset:16
	v_and_b32_e32 v57, v57, v58
	v_and_b32_e32 v4, v44, v4
	;; [unrolled: 1-line block ×3, first 2 shown]
	v_mbcnt_lo_u32_b32 v44, v4, 0
	v_mbcnt_hi_u32_b32 v58, v5, v44
	v_cmp_ne_u64_e64 s[24:25], 0, v[4:5]
	v_cmp_eq_u32_e64 s[26:27], 0, v58
	s_and_b64 s[26:27], s[24:25], s[26:27]
	; wave barrier
	s_and_saveexec_b64 s[24:25], s[26:27]
	s_cbranch_execz .LBB192_47
; %bb.46:
	v_bcnt_u32_b32 v4, v4, 0
	v_bcnt_u32_b32 v4, v5, v4
	s_waitcnt lgkmcnt(0)
	v_add_u32_e32 v4, v56, v4
	ds_write_b32 v42, v4 offset:16
.LBB192_47:
	s_or_b64 exec, exec, s[24:25]
	v_cmp_gt_i16_e64 s[24:25], 0, v6
	v_cndmask_b32_e64 v4, v43, 0, s[24:25]
	v_xor_b32_e32 v57, v4, v6
	v_cmp_ne_u16_e64 s[24:25], s28, v57
	v_cndmask_b32_e64 v4, v43, v57, s[24:25]
	v_lshrrev_b32_sdwa v4, s68, v4 dst_sel:DWORD dst_unused:UNUSED_PAD src0_sel:DWORD src1_sel:WORD_0
	v_and_b32_e32 v5, s74, v4
	v_and_b32_e32 v4, 1, v5
	v_add_co_u32_e64 v6, s[24:25], -1, v4
	v_addc_co_u32_e64 v44, s[24:25], 0, -1, s[24:25]
	v_cmp_ne_u32_e64 s[24:25], 0, v4
	v_xor_b32_e32 v4, s25, v44
	v_and_b32_e32 v44, exec_hi, v4
	v_lshlrev_b32_e32 v4, 30, v5
	v_xor_b32_e32 v6, s24, v6
	v_cmp_gt_i64_e64 s[24:25], 0, v[3:4]
	v_not_b32_e32 v4, v4
	v_ashrrev_i32_e32 v4, 31, v4
	v_and_b32_e32 v6, exec_lo, v6
	v_xor_b32_e32 v59, s25, v4
	v_xor_b32_e32 v4, s24, v4
	v_and_b32_e32 v6, v6, v4
	v_lshlrev_b32_e32 v4, 29, v5
	v_cmp_gt_i64_e64 s[24:25], 0, v[3:4]
	v_not_b32_e32 v4, v4
	v_ashrrev_i32_e32 v4, 31, v4
	v_and_b32_e32 v44, v44, v59
	v_xor_b32_e32 v59, s25, v4
	v_xor_b32_e32 v4, s24, v4
	v_and_b32_e32 v6, v6, v4
	v_lshlrev_b32_e32 v4, 28, v5
	v_cmp_gt_i64_e64 s[24:25], 0, v[3:4]
	v_not_b32_e32 v4, v4
	v_ashrrev_i32_e32 v4, 31, v4
	v_and_b32_e32 v44, v44, v59
	v_xor_b32_e32 v59, s25, v4
	v_xor_b32_e32 v4, s24, v4
	v_and_b32_e32 v6, v6, v4
	v_lshlrev_b32_e32 v4, 27, v5
	v_cmp_gt_i64_e64 s[24:25], 0, v[3:4]
	v_not_b32_e32 v4, v4
	v_ashrrev_i32_e32 v4, 31, v4
	v_and_b32_e32 v44, v44, v59
	v_xor_b32_e32 v59, s25, v4
	v_xor_b32_e32 v4, s24, v4
	v_and_b32_e32 v6, v6, v4
	v_lshlrev_b32_e32 v4, 26, v5
	v_cmp_gt_i64_e64 s[24:25], 0, v[3:4]
	v_not_b32_e32 v4, v4
	v_ashrrev_i32_e32 v4, 31, v4
	v_and_b32_e32 v44, v44, v59
	v_xor_b32_e32 v59, s25, v4
	v_xor_b32_e32 v4, s24, v4
	v_and_b32_e32 v6, v6, v4
	v_lshlrev_b32_e32 v4, 25, v5
	v_cmp_gt_i64_e64 s[24:25], 0, v[3:4]
	v_not_b32_e32 v4, v4
	v_ashrrev_i32_e32 v4, 31, v4
	v_and_b32_e32 v44, v44, v59
	v_xor_b32_e32 v59, s25, v4
	v_xor_b32_e32 v4, s24, v4
	v_and_b32_e32 v6, v6, v4
	v_lshlrev_b32_e32 v4, 24, v5
	v_cmp_gt_i64_e64 s[24:25], 0, v[3:4]
	v_not_b32_e32 v3, v4
	v_ashrrev_i32_e32 v3, 31, v3
	v_mad_u32_u24 v43, v5, 20, v24
	v_xor_b32_e32 v4, s25, v3
	v_xor_b32_e32 v3, s24, v3
	; wave barrier
	ds_read_b32 v24, v43 offset:16
	v_and_b32_e32 v44, v44, v59
	v_and_b32_e32 v3, v6, v3
	;; [unrolled: 1-line block ×3, first 2 shown]
	v_mbcnt_lo_u32_b32 v5, v3, 0
	v_mbcnt_hi_u32_b32 v59, v4, v5
	v_cmp_ne_u64_e64 s[24:25], 0, v[3:4]
	v_cmp_eq_u32_e64 s[26:27], 0, v59
	s_and_b64 s[26:27], s[24:25], s[26:27]
	; wave barrier
	s_and_saveexec_b64 s[24:25], s[26:27]
	s_cbranch_execz .LBB192_49
; %bb.48:
	v_bcnt_u32_b32 v3, v3, 0
	v_bcnt_u32_b32 v3, v4, v3
	s_waitcnt lgkmcnt(0)
	v_add_u32_e32 v3, v24, v3
	ds_write_b32 v43, v3 offset:16
.LBB192_49:
	s_or_b64 exec, exec, s[24:25]
	; wave barrier
	s_waitcnt lgkmcnt(0)
	s_barrier
	ds_read2_b32 v[5:6], v11 offset0:4 offset1:5
	ds_read2_b32 v[3:4], v11 offset0:6 offset1:7
	ds_read_b32 v44, v11 offset:32
	v_min_u32_e32 v7, 0xc0, v7
	v_or_b32_e32 v7, 63, v7
	s_waitcnt lgkmcnt(1)
	v_add3_u32 v60, v6, v5, v3
	s_waitcnt lgkmcnt(0)
	v_add3_u32 v44, v60, v4, v44
	v_and_b32_e32 v60, 15, v9
	v_cmp_ne_u32_e64 s[24:25], 0, v60
	v_mov_b32_dpp v61, v44 row_shr:1 row_mask:0xf bank_mask:0xf
	v_cndmask_b32_e64 v61, 0, v61, s[24:25]
	v_add_u32_e32 v44, v61, v44
	v_cmp_lt_u32_e64 s[24:25], 1, v60
	s_nop 0
	v_mov_b32_dpp v61, v44 row_shr:2 row_mask:0xf bank_mask:0xf
	v_cndmask_b32_e64 v61, 0, v61, s[24:25]
	v_add_u32_e32 v44, v44, v61
	v_cmp_lt_u32_e64 s[24:25], 3, v60
	s_nop 0
	;; [unrolled: 5-line block ×3, first 2 shown]
	v_mov_b32_dpp v61, v44 row_shr:8 row_mask:0xf bank_mask:0xf
	v_cndmask_b32_e64 v60, 0, v61, s[24:25]
	v_add_u32_e32 v44, v44, v60
	v_bfe_i32 v61, v9, 4, 1
	v_cmp_lt_u32_e64 s[24:25], 31, v9
	v_mov_b32_dpp v60, v44 row_bcast:15 row_mask:0xf bank_mask:0xf
	v_and_b32_e32 v60, v61, v60
	v_add_u32_e32 v44, v44, v60
	s_nop 1
	v_mov_b32_dpp v60, v44 row_bcast:31 row_mask:0xf bank_mask:0xf
	v_cndmask_b32_e64 v60, 0, v60, s[24:25]
	v_add_u32_e32 v44, v44, v60
	v_lshrrev_b32_e32 v60, 6, v0
	v_cmp_eq_u32_e64 s[24:25], v0, v7
	s_and_saveexec_b64 s[26:27], s[24:25]
; %bb.50:
	v_lshlrev_b32_e32 v7, 2, v60
	ds_write_b32 v7, v44
; %bb.51:
	s_or_b64 exec, exec, s[26:27]
	v_cmp_gt_u32_e64 s[24:25], 4, v0
	s_waitcnt lgkmcnt(0)
	s_barrier
	s_and_saveexec_b64 s[26:27], s[24:25]
	s_cbranch_execz .LBB192_53
; %bb.52:
	v_lshlrev_b32_e32 v7, 2, v0
	ds_read_b32 v61, v7
	v_and_b32_e32 v62, 3, v9
	v_cmp_ne_u32_e64 s[24:25], 0, v62
	s_waitcnt lgkmcnt(0)
	v_mov_b32_dpp v63, v61 row_shr:1 row_mask:0xf bank_mask:0xf
	v_cndmask_b32_e64 v63, 0, v63, s[24:25]
	v_add_u32_e32 v61, v63, v61
	v_cmp_lt_u32_e64 s[24:25], 1, v62
	s_nop 0
	v_mov_b32_dpp v63, v61 row_shr:2 row_mask:0xf bank_mask:0xf
	v_cndmask_b32_e64 v62, 0, v63, s[24:25]
	v_add_u32_e32 v61, v61, v62
	ds_write_b32 v7, v61
.LBB192_53:
	s_or_b64 exec, exec, s[26:27]
	v_cmp_lt_u32_e64 s[24:25], 63, v0
	v_mov_b32_e32 v7, 0
	s_waitcnt lgkmcnt(0)
	s_barrier
	s_and_saveexec_b64 s[26:27], s[24:25]
; %bb.54:
	v_lshl_add_u32 v7, v60, 2, -4
	ds_read_b32 v7, v7
; %bb.55:
	s_or_b64 exec, exec, s[26:27]
	v_add_u32_e32 v60, -1, v9
	v_and_b32_e32 v61, 64, v9
	v_cmp_lt_i32_e64 s[24:25], v60, v61
	v_cndmask_b32_e64 v60, v60, v9, s[24:25]
	s_waitcnt lgkmcnt(0)
	v_add_u32_e32 v44, v7, v44
	v_lshlrev_b32_e32 v60, 2, v60
	ds_bpermute_b32 v44, v60, v44
	v_cmp_eq_u32_e64 s[24:25], 0, v9
	s_waitcnt lgkmcnt(0)
	v_cndmask_b32_e64 v7, v44, v7, s[24:25]
	v_cmp_ne_u32_e64 s[24:25], 0, v0
	v_cndmask_b32_e64 v7, 0, v7, s[24:25]
	v_add_u32_e32 v5, v7, v5
	v_add_u32_e32 v6, v5, v6
	;; [unrolled: 1-line block ×4, first 2 shown]
	ds_write2_b32 v11, v7, v5 offset0:4 offset1:5
	ds_write2_b32 v11, v6, v3 offset0:6 offset1:7
	ds_write_b32 v11, v4 offset:32
	s_waitcnt lgkmcnt(0)
	s_barrier
	ds_read_b32 v4, v40 offset:16
	ds_read_b32 v5, v30 offset:16
	;; [unrolled: 1-line block ×13, first 2 shown]
	v_add_u32_e32 v11, 1, v0
	s_movk_i32 s24, 0x100
	v_cmp_ne_u32_e64 s[24:25], s24, v11
	v_mov_b32_e32 v3, 0xc00
	s_and_saveexec_b64 s[26:27], s[24:25]
; %bb.56:
	v_mul_u32_u24_e32 v3, 20, v11
	ds_read_b32 v3, v3 offset:16
; %bb.57:
	s_or_b64 exec, exec, s[26:27]
	s_waitcnt lgkmcnt(7)
	v_add_u32_e32 v44, v14, v12
	s_waitcnt lgkmcnt(6)
	v_add3_u32 v43, v17, v15, v16
	s_waitcnt lgkmcnt(2)
	v_add3_u32 v39, v38, v36, v37
	v_add3_u32 v37, v51, v35, v4
	v_lshlrev_b32_e32 v4, 1, v44
	v_add3_u32 v42, v23, v19, v20
	s_waitcnt lgkmcnt(0)
	s_barrier
	ds_write_b16 v4, v8 offset:2048
	v_lshlrev_b32_e32 v4, 1, v43
	v_add3_u32 v41, v28, v25, v27
	ds_write_b16 v4, v13 offset:2048
	v_lshlrev_b32_e32 v4, 1, v42
	v_add3_u32 v40, v34, v32, v33
	ds_write_b16 v4, v18 offset:2048
	v_lshlrev_b32_e32 v4, 1, v41
	ds_write_b16 v4, v22 offset:2048
	v_lshlrev_b32_e32 v4, 1, v40
	v_add3_u32 v38, v49, v47, v61
	ds_write_b16 v4, v31 offset:2048
	v_lshlrev_b32_e32 v4, 1, v39
	;; [unrolled: 5-line block ×3, first 2 shown]
	v_add3_u32 v35, v55, v54, v6
	ds_write_b16 v4, v48 offset:2048
	v_lshlrev_b32_e32 v4, 1, v36
	v_add3_u32 v34, v58, v56, v7
	ds_write_b16 v4, v50 offset:2048
	v_lshlrev_b32_e32 v4, 1, v35
	;; [unrolled: 3-line block ×3, first 2 shown]
	ds_write_b16 v4, v21 offset:2048
	v_lshlrev_b32_e32 v4, 1, v33
	ds_write_b16 v4, v57 offset:2048
	v_sub_u32_e32 v31, v3, v30
	v_lshl_or_b32 v3, s6, 8, v0
	v_mov_b32_e32 v4, 0
	v_lshlrev_b64 v[5:6], 2, v[3:4]
	v_mov_b32_e32 v11, s73
	v_add_co_u32_e64 v5, s[24:25], s72, v5
	v_addc_co_u32_e64 v6, s[24:25], v11, v6, s[24:25]
	v_or_b32_e32 v3, 2.0, v31
	s_mov_b64 s[26:27], 0
	s_brev_b32 s34, -4
	s_mov_b32 s35, s7
	v_mov_b32_e32 v12, 0
	s_waitcnt lgkmcnt(0)
	s_barrier
	global_store_dword v[5:6], v3, off
                                        ; implicit-def: $sgpr24_sgpr25
	s_branch .LBB192_60
.LBB192_58:                             ;   in Loop: Header=BB192_60 Depth=1
	s_or_b64 exec, exec, s[30:31]
.LBB192_59:                             ;   in Loop: Header=BB192_60 Depth=1
	s_or_b64 exec, exec, s[28:29]
	v_and_b32_e32 v7, 0x3fffffff, v3
	v_add_u32_e32 v12, v7, v12
	v_cmp_gt_i32_e64 s[24:25], -2.0, v3
	s_and_b64 s[28:29], exec, s[24:25]
	s_or_b64 s[26:27], s[28:29], s[26:27]
	s_andn2_b64 exec, exec, s[26:27]
	s_cbranch_execz .LBB192_65
.LBB192_60:                             ; =>This Loop Header: Depth=1
                                        ;     Child Loop BB192_63 Depth 2
	s_or_b64 s[24:25], s[24:25], exec
	s_cmp_eq_u32 s35, 0
	s_cbranch_scc1 .LBB192_64
; %bb.61:                               ;   in Loop: Header=BB192_60 Depth=1
	s_add_i32 s35, s35, -1
	v_lshl_or_b32 v3, s35, 8, v0
	v_lshlrev_b64 v[7:8], 2, v[3:4]
	v_add_co_u32_e64 v7, s[24:25], s72, v7
	v_addc_co_u32_e64 v8, s[24:25], v11, v8, s[24:25]
	global_load_dword v3, v[7:8], off glc
	s_waitcnt vmcnt(0)
	v_cmp_gt_u32_e64 s[24:25], 2.0, v3
	s_and_saveexec_b64 s[28:29], s[24:25]
	s_cbranch_execz .LBB192_59
; %bb.62:                               ;   in Loop: Header=BB192_60 Depth=1
	s_mov_b64 s[30:31], 0
.LBB192_63:                             ;   Parent Loop BB192_60 Depth=1
                                        ; =>  This Inner Loop Header: Depth=2
	global_load_dword v3, v[7:8], off glc
	s_waitcnt vmcnt(0)
	v_cmp_lt_u32_e64 s[24:25], s34, v3
	s_or_b64 s[30:31], s[24:25], s[30:31]
	s_andn2_b64 exec, exec, s[30:31]
	s_cbranch_execnz .LBB192_63
	s_branch .LBB192_58
.LBB192_64:                             ;   in Loop: Header=BB192_60 Depth=1
                                        ; implicit-def: $sgpr35
	s_and_b64 s[28:29], exec, s[24:25]
	s_or_b64 s[26:27], s[28:29], s[26:27]
	s_andn2_b64 exec, exec, s[26:27]
	s_cbranch_execnz .LBB192_60
.LBB192_65:
	s_or_b64 exec, exec, s[26:27]
	v_add_u32_e32 v3, v12, v31
	v_or_b32_e32 v3, 0x80000000, v3
	v_lshlrev_b32_e32 v32, 3, v0
	global_store_dword v[5:6], v3, off
	global_load_dwordx2 v[3:4], v32, s[64:65]
	v_sub_co_u32_e64 v5, s[24:25], v12, v30
	v_subb_co_u32_e64 v6, s[24:25], 0, 0, s[24:25]
	s_waitcnt vmcnt(0)
	v_add_co_u32_e64 v3, s[24:25], v5, v3
	v_addc_co_u32_e64 v4, s[24:25], v6, v4, s[24:25]
	v_cmp_gt_u32_e64 s[24:25], s70, v0
	ds_write_b64 v32, v[3:4]
	s_waitcnt lgkmcnt(0)
	s_barrier
	s_and_saveexec_b64 s[28:29], s[24:25]
	s_cbranch_execz .LBB192_67
; %bb.66:
	v_mad_i32_i24 v3, v0, -6, v32
	ds_read_u16 v5, v3 offset:2048
	s_movk_i32 s26, 0x8000
	v_mov_b32_e32 v6, 0x7fff
	v_mov_b32_e32 v7, s59
	s_waitcnt lgkmcnt(0)
	v_cmp_ne_u16_e64 s[26:27], s26, v5
	v_cndmask_b32_e64 v3, v6, v5, s[26:27]
	v_lshrrev_b32_sdwa v3, s68, v3 dst_sel:DWORD dst_unused:UNUSED_PAD src0_sel:DWORD src1_sel:WORD_0
	v_and_b32_e32 v3, s74, v3
	v_lshlrev_b32_e32 v3, 3, v3
	ds_read_b64 v[3:4], v3
	v_cmp_gt_i16_e64 s[26:27], 0, v5
	v_cndmask_b32_e64 v6, v6, 0, s[26:27]
	v_xor_b32_e32 v5, v6, v5
	v_lshlrev_b32_e32 v6, 1, v0
	s_waitcnt lgkmcnt(0)
	v_lshlrev_b64 v[3:4], 1, v[3:4]
	v_add_co_u32_e64 v3, s[26:27], s58, v3
	v_addc_co_u32_e64 v4, s[26:27], v7, v4, s[26:27]
	v_add_co_u32_e64 v3, s[26:27], v3, v6
	v_addc_co_u32_e64 v4, s[26:27], 0, v4, s[26:27]
	global_store_short v[3:4], v5, off
.LBB192_67:
	s_or_b64 exec, exec, s[28:29]
	v_or_b32_e32 v3, 0x100, v0
	v_cmp_gt_u32_e64 s[26:27], s70, v3
	s_and_saveexec_b64 s[30:31], s[26:27]
	s_cbranch_execz .LBB192_69
; %bb.68:
	v_mad_i32_i24 v3, v0, -6, v32
	ds_read_u16 v5, v3 offset:2560
	s_movk_i32 s28, 0x8000
	v_mov_b32_e32 v6, 0x7fff
	v_mov_b32_e32 v7, s59
	s_waitcnt lgkmcnt(0)
	v_cmp_ne_u16_e64 s[28:29], s28, v5
	v_cndmask_b32_e64 v3, v6, v5, s[28:29]
	v_lshrrev_b32_sdwa v3, s68, v3 dst_sel:DWORD dst_unused:UNUSED_PAD src0_sel:DWORD src1_sel:WORD_0
	v_and_b32_e32 v3, s74, v3
	v_lshlrev_b32_e32 v3, 3, v3
	ds_read_b64 v[3:4], v3
	v_cmp_gt_i16_e64 s[28:29], 0, v5
	v_cndmask_b32_e64 v6, v6, 0, s[28:29]
	v_xor_b32_e32 v5, v6, v5
	v_lshlrev_b32_e32 v6, 1, v0
	s_waitcnt lgkmcnt(0)
	v_lshlrev_b64 v[3:4], 1, v[3:4]
	v_add_co_u32_e64 v3, s[28:29], s58, v3
	v_addc_co_u32_e64 v4, s[28:29], v7, v4, s[28:29]
	v_add_co_u32_e64 v3, s[28:29], v3, v6
	v_addc_co_u32_e64 v4, s[28:29], 0, v4, s[28:29]
	global_store_short v[3:4], v5, off offset:512
.LBB192_69:
	s_or_b64 exec, exec, s[30:31]
	v_or_b32_e32 v45, 0x200, v0
	v_cmp_gt_u32_e64 s[28:29], s70, v45
	s_and_saveexec_b64 s[34:35], s[28:29]
	s_cbranch_execz .LBB192_71
; %bb.70:
	v_mad_i32_i24 v3, v0, -6, v32
	ds_read_u16 v5, v3 offset:3072
	s_movk_i32 s30, 0x8000
	v_mov_b32_e32 v6, 0x7fff
	v_mov_b32_e32 v7, s59
	s_waitcnt lgkmcnt(0)
	v_cmp_ne_u16_e64 s[30:31], s30, v5
	v_cndmask_b32_e64 v3, v6, v5, s[30:31]
	v_lshrrev_b32_sdwa v3, s68, v3 dst_sel:DWORD dst_unused:UNUSED_PAD src0_sel:DWORD src1_sel:WORD_0
	v_and_b32_e32 v3, s74, v3
	v_lshlrev_b32_e32 v3, 3, v3
	ds_read_b64 v[3:4], v3
	v_cmp_gt_i16_e64 s[30:31], 0, v5
	v_cndmask_b32_e64 v6, v6, 0, s[30:31]
	v_xor_b32_e32 v5, v6, v5
	v_lshlrev_b32_e32 v6, 1, v0
	s_waitcnt lgkmcnt(0)
	v_lshlrev_b64 v[3:4], 1, v[3:4]
	v_add_co_u32_e64 v3, s[30:31], s58, v3
	v_addc_co_u32_e64 v4, s[30:31], v7, v4, s[30:31]
	v_add_co_u32_e64 v3, s[30:31], v3, v6
	v_addc_co_u32_e64 v4, s[30:31], 0, v4, s[30:31]
	global_store_short v[3:4], v5, off offset:1024
.LBB192_71:
	s_or_b64 exec, exec, s[34:35]
	v_or_b32_e32 v46, 0x300, v0
	v_cmp_gt_u32_e64 s[30:31], s70, v46
	s_and_saveexec_b64 s[36:37], s[30:31]
	s_cbranch_execz .LBB192_73
; %bb.72:
	v_mad_i32_i24 v3, v0, -6, v32
	ds_read_u16 v5, v3 offset:3584
	s_movk_i32 s34, 0x8000
	v_mov_b32_e32 v6, 0x7fff
	v_mov_b32_e32 v7, s59
	s_waitcnt lgkmcnt(0)
	v_cmp_ne_u16_e64 s[34:35], s34, v5
	v_cndmask_b32_e64 v3, v6, v5, s[34:35]
	v_lshrrev_b32_sdwa v3, s68, v3 dst_sel:DWORD dst_unused:UNUSED_PAD src0_sel:DWORD src1_sel:WORD_0
	v_and_b32_e32 v3, s74, v3
	v_lshlrev_b32_e32 v3, 3, v3
	ds_read_b64 v[3:4], v3
	v_cmp_gt_i16_e64 s[34:35], 0, v5
	v_cndmask_b32_e64 v6, v6, 0, s[34:35]
	v_xor_b32_e32 v5, v6, v5
	v_lshlrev_b32_e32 v6, 1, v0
	s_waitcnt lgkmcnt(0)
	v_lshlrev_b64 v[3:4], 1, v[3:4]
	v_add_co_u32_e64 v3, s[34:35], s58, v3
	v_addc_co_u32_e64 v4, s[34:35], v7, v4, s[34:35]
	v_add_co_u32_e64 v3, s[34:35], v3, v6
	v_addc_co_u32_e64 v4, s[34:35], 0, v4, s[34:35]
	global_store_short v[3:4], v5, off offset:1536
.LBB192_73:
	s_or_b64 exec, exec, s[36:37]
	v_or_b32_e32 v47, 0x400, v0
	v_cmp_gt_u32_e64 s[34:35], s70, v47
	s_and_saveexec_b64 s[38:39], s[34:35]
	s_cbranch_execz .LBB192_75
; %bb.74:
	v_mad_i32_i24 v3, v0, -6, v32
	ds_read_u16 v5, v3 offset:4096
	s_movk_i32 s36, 0x8000
	v_mov_b32_e32 v6, 0x7fff
	v_mov_b32_e32 v7, s59
	s_waitcnt lgkmcnt(0)
	v_cmp_ne_u16_e64 s[36:37], s36, v5
	v_cndmask_b32_e64 v3, v6, v5, s[36:37]
	v_lshrrev_b32_sdwa v3, s68, v3 dst_sel:DWORD dst_unused:UNUSED_PAD src0_sel:DWORD src1_sel:WORD_0
	v_and_b32_e32 v3, s74, v3
	v_lshlrev_b32_e32 v3, 3, v3
	ds_read_b64 v[3:4], v3
	v_cmp_gt_i16_e64 s[36:37], 0, v5
	v_cndmask_b32_e64 v6, v6, 0, s[36:37]
	v_xor_b32_e32 v5, v6, v5
	v_lshlrev_b32_e32 v6, 1, v0
	s_waitcnt lgkmcnt(0)
	v_lshlrev_b64 v[3:4], 1, v[3:4]
	v_add_co_u32_e64 v3, s[36:37], s58, v3
	v_addc_co_u32_e64 v4, s[36:37], v7, v4, s[36:37]
	v_add_co_u32_e64 v3, s[36:37], v3, v6
	v_addc_co_u32_e64 v4, s[36:37], 0, v4, s[36:37]
	global_store_short v[3:4], v5, off offset:2048
.LBB192_75:
	s_or_b64 exec, exec, s[38:39]
	v_or_b32_e32 v48, 0x500, v0
	v_cmp_gt_u32_e64 s[36:37], s70, v48
	s_and_saveexec_b64 s[40:41], s[36:37]
	s_cbranch_execz .LBB192_77
; %bb.76:
	v_mad_i32_i24 v3, v0, -6, v32
	ds_read_u16 v5, v3 offset:4608
	s_movk_i32 s38, 0x8000
	v_mov_b32_e32 v6, 0x7fff
	v_mov_b32_e32 v7, s59
	s_waitcnt lgkmcnt(0)
	v_cmp_ne_u16_e64 s[38:39], s38, v5
	v_cndmask_b32_e64 v3, v6, v5, s[38:39]
	v_lshrrev_b32_sdwa v3, s68, v3 dst_sel:DWORD dst_unused:UNUSED_PAD src0_sel:DWORD src1_sel:WORD_0
	v_and_b32_e32 v3, s74, v3
	v_lshlrev_b32_e32 v3, 3, v3
	ds_read_b64 v[3:4], v3
	v_cmp_gt_i16_e64 s[38:39], 0, v5
	v_cndmask_b32_e64 v6, v6, 0, s[38:39]
	v_xor_b32_e32 v5, v6, v5
	v_lshlrev_b32_e32 v6, 1, v0
	s_waitcnt lgkmcnt(0)
	v_lshlrev_b64 v[3:4], 1, v[3:4]
	v_add_co_u32_e64 v3, s[38:39], s58, v3
	v_addc_co_u32_e64 v4, s[38:39], v7, v4, s[38:39]
	v_add_co_u32_e64 v3, s[38:39], v3, v6
	v_addc_co_u32_e64 v4, s[38:39], 0, v4, s[38:39]
	global_store_short v[3:4], v5, off offset:2560
.LBB192_77:
	s_or_b64 exec, exec, s[40:41]
	v_or_b32_e32 v49, 0x600, v0
	v_cmp_gt_u32_e64 s[38:39], s70, v49
	s_and_saveexec_b64 s[42:43], s[38:39]
	s_cbranch_execz .LBB192_79
; %bb.78:
	v_mad_i32_i24 v3, v0, -6, v32
	ds_read_u16 v5, v3 offset:5120
	s_movk_i32 s40, 0x8000
	v_mov_b32_e32 v6, 0x7fff
	v_mov_b32_e32 v7, s59
	s_waitcnt lgkmcnt(0)
	v_cmp_ne_u16_e64 s[40:41], s40, v5
	v_cndmask_b32_e64 v3, v6, v5, s[40:41]
	v_lshrrev_b32_sdwa v3, s68, v3 dst_sel:DWORD dst_unused:UNUSED_PAD src0_sel:DWORD src1_sel:WORD_0
	v_and_b32_e32 v3, s74, v3
	v_lshlrev_b32_e32 v3, 3, v3
	ds_read_b64 v[3:4], v3
	v_cmp_gt_i16_e64 s[40:41], 0, v5
	v_cndmask_b32_e64 v6, v6, 0, s[40:41]
	v_xor_b32_e32 v5, v6, v5
	v_lshlrev_b32_e32 v6, 1, v0
	s_waitcnt lgkmcnt(0)
	v_lshlrev_b64 v[3:4], 1, v[3:4]
	v_add_co_u32_e64 v3, s[40:41], s58, v3
	v_addc_co_u32_e64 v4, s[40:41], v7, v4, s[40:41]
	v_add_co_u32_e64 v3, s[40:41], v3, v6
	v_addc_co_u32_e64 v4, s[40:41], 0, v4, s[40:41]
	global_store_short v[3:4], v5, off offset:3072
.LBB192_79:
	s_or_b64 exec, exec, s[42:43]
	v_or_b32_e32 v50, 0x700, v0
	v_cmp_gt_u32_e64 s[40:41], s70, v50
	s_and_saveexec_b64 s[44:45], s[40:41]
	s_cbranch_execz .LBB192_81
; %bb.80:
	v_lshlrev_b32_e32 v5, 1, v0
	ds_read_u16 v6, v5 offset:5632
	s_movk_i32 s42, 0x8000
	v_mov_b32_e32 v7, 0x7fff
	v_mov_b32_e32 v8, s59
	s_waitcnt lgkmcnt(0)
	v_cmp_ne_u16_e64 s[42:43], s42, v6
	v_cndmask_b32_e64 v3, v7, v6, s[42:43]
	v_lshrrev_b32_sdwa v3, s68, v3 dst_sel:DWORD dst_unused:UNUSED_PAD src0_sel:DWORD src1_sel:WORD_0
	v_and_b32_e32 v3, s74, v3
	v_lshlrev_b32_e32 v3, 3, v3
	ds_read_b64 v[3:4], v3
	v_cmp_gt_i16_e64 s[42:43], 0, v6
	v_cndmask_b32_e64 v7, v7, 0, s[42:43]
	v_xor_b32_e32 v6, v7, v6
	s_waitcnt lgkmcnt(0)
	v_lshlrev_b64 v[3:4], 1, v[3:4]
	v_add_co_u32_e64 v3, s[42:43], s58, v3
	v_addc_co_u32_e64 v4, s[42:43], v8, v4, s[42:43]
	v_add_co_u32_e64 v3, s[42:43], v3, v5
	v_addc_co_u32_e64 v4, s[42:43], 0, v4, s[42:43]
	global_store_short v[3:4], v6, off offset:3584
.LBB192_81:
	s_or_b64 exec, exec, s[44:45]
	v_or_b32_e32 v51, 0x800, v0
	v_cmp_gt_u32_e64 s[42:43], s70, v51
	s_and_saveexec_b64 s[46:47], s[42:43]
	s_cbranch_execz .LBB192_83
; %bb.82:
	v_lshlrev_b32_e32 v3, 1, v0
	ds_read_u16 v5, v3 offset:6144
	s_movk_i32 s44, 0x8000
	v_mov_b32_e32 v6, 0x7fff
	v_mov_b32_e32 v7, s59
	s_waitcnt lgkmcnt(0)
	v_cmp_ne_u16_e64 s[44:45], s44, v5
	v_cndmask_b32_e64 v3, v6, v5, s[44:45]
	v_lshrrev_b32_sdwa v3, s68, v3 dst_sel:DWORD dst_unused:UNUSED_PAD src0_sel:DWORD src1_sel:WORD_0
	v_and_b32_e32 v3, s74, v3
	v_lshlrev_b32_e32 v3, 3, v3
	ds_read_b64 v[3:4], v3
	v_cmp_gt_i16_e64 s[44:45], 0, v5
	v_cndmask_b32_e64 v6, v6, 0, s[44:45]
	v_xor_b32_e32 v5, v6, v5
	v_lshlrev_b32_e32 v6, 1, v51
	s_waitcnt lgkmcnt(0)
	v_lshlrev_b64 v[3:4], 1, v[3:4]
	v_add_co_u32_e64 v3, s[44:45], s58, v3
	v_addc_co_u32_e64 v4, s[44:45], v7, v4, s[44:45]
	v_add_co_u32_e64 v3, s[44:45], v3, v6
	v_addc_co_u32_e64 v4, s[44:45], 0, v4, s[44:45]
	global_store_short v[3:4], v5, off
.LBB192_83:
	s_or_b64 exec, exec, s[46:47]
	v_or_b32_e32 v52, 0x900, v0
	v_cmp_gt_u32_e64 s[44:45], s70, v52
	s_and_saveexec_b64 s[48:49], s[44:45]
	s_cbranch_execz .LBB192_85
; %bb.84:
	v_lshlrev_b32_e32 v3, 1, v0
	ds_read_u16 v5, v3 offset:6656
	s_movk_i32 s46, 0x8000
	v_mov_b32_e32 v6, 0x7fff
	v_mov_b32_e32 v7, s59
	s_waitcnt lgkmcnt(0)
	v_cmp_ne_u16_e64 s[46:47], s46, v5
	v_cndmask_b32_e64 v3, v6, v5, s[46:47]
	v_lshrrev_b32_sdwa v3, s68, v3 dst_sel:DWORD dst_unused:UNUSED_PAD src0_sel:DWORD src1_sel:WORD_0
	v_and_b32_e32 v3, s74, v3
	v_lshlrev_b32_e32 v3, 3, v3
	ds_read_b64 v[3:4], v3
	v_cmp_gt_i16_e64 s[46:47], 0, v5
	v_cndmask_b32_e64 v6, v6, 0, s[46:47]
	v_xor_b32_e32 v5, v6, v5
	v_lshlrev_b32_e32 v6, 1, v52
	s_waitcnt lgkmcnt(0)
	v_lshlrev_b64 v[3:4], 1, v[3:4]
	v_add_co_u32_e64 v3, s[46:47], s58, v3
	v_addc_co_u32_e64 v4, s[46:47], v7, v4, s[46:47]
	v_add_co_u32_e64 v3, s[46:47], v3, v6
	v_addc_co_u32_e64 v4, s[46:47], 0, v4, s[46:47]
	global_store_short v[3:4], v5, off
.LBB192_85:
	;; [unrolled: 30-line block ×4, first 2 shown]
	s_or_b64 exec, exec, s[70:71]
	s_lshl_b64 s[52:53], s[54:55], 3
	s_add_u32 s52, s60, s52
	s_addc_u32 s53, s61, s53
	v_lshlrev_b32_e32 v3, 3, v9
	v_mov_b32_e32 v4, s53
	v_add_co_u32_e64 v3, s[52:53], s52, v3
	v_addc_co_u32_e64 v4, s[52:53], 0, v4, s[52:53]
	v_lshlrev_b32_e32 v5, 3, v10
	v_add_co_u32_e64 v27, s[52:53], v3, v5
	v_addc_co_u32_e64 v28, s[52:53], 0, v4, s[52:53]
                                        ; implicit-def: $vgpr3_vgpr4
	s_and_saveexec_b64 s[52:53], vcc
	s_xor_b64 s[52:53], exec, s[52:53]
	s_cbranch_execz .LBB192_101
; %bb.90:
	global_load_dwordx2 v[3:4], v[27:28], off
	s_or_b64 exec, exec, s[52:53]
                                        ; implicit-def: $vgpr5_vgpr6
	s_and_saveexec_b64 s[52:53], s[0:1]
	s_cbranch_execnz .LBB192_102
.LBB192_91:
	s_or_b64 exec, exec, s[52:53]
                                        ; implicit-def: $vgpr7_vgpr8
	s_and_saveexec_b64 s[0:1], s[2:3]
	s_cbranch_execz .LBB192_103
.LBB192_92:
	global_load_dwordx2 v[7:8], v[27:28], off offset:1024
	s_or_b64 exec, exec, s[0:1]
                                        ; implicit-def: $vgpr9_vgpr10
	s_and_saveexec_b64 s[0:1], s[50:51]
	s_cbranch_execnz .LBB192_104
.LBB192_93:
	s_or_b64 exec, exec, s[0:1]
                                        ; implicit-def: $vgpr11_vgpr12
	s_and_saveexec_b64 s[0:1], s[8:9]
	s_cbranch_execz .LBB192_105
.LBB192_94:
	global_load_dwordx2 v[11:12], v[27:28], off offset:2048
	s_or_b64 exec, exec, s[0:1]
                                        ; implicit-def: $vgpr13_vgpr14
	s_and_saveexec_b64 s[0:1], s[12:13]
	s_cbranch_execnz .LBB192_106
.LBB192_95:
	s_or_b64 exec, exec, s[0:1]
                                        ; implicit-def: $vgpr15_vgpr16
	s_and_saveexec_b64 s[0:1], s[16:17]
	s_cbranch_execz .LBB192_107
.LBB192_96:
	global_load_dwordx2 v[15:16], v[27:28], off offset:3072
	s_or_b64 exec, exec, s[0:1]
                                        ; implicit-def: $vgpr17_vgpr18
	s_and_saveexec_b64 s[0:1], s[20:21]
	s_cbranch_execnz .LBB192_108
.LBB192_97:
	s_or_b64 exec, exec, s[0:1]
                                        ; implicit-def: $vgpr19_vgpr20
	s_and_saveexec_b64 s[0:1], s[22:23]
	s_cbranch_execz .LBB192_109
.LBB192_98:
	v_add_co_u32_e32 v19, vcc, 0x1000, v27
	v_addc_co_u32_e32 v20, vcc, 0, v28, vcc
	global_load_dwordx2 v[19:20], v[19:20], off
	s_or_b64 exec, exec, s[0:1]
                                        ; implicit-def: $vgpr21_vgpr22
	s_and_saveexec_b64 s[0:1], s[18:19]
	s_cbranch_execnz .LBB192_110
.LBB192_99:
	s_or_b64 exec, exec, s[0:1]
                                        ; implicit-def: $vgpr23_vgpr24
	s_and_saveexec_b64 s[0:1], s[14:15]
	s_cbranch_execz .LBB192_111
.LBB192_100:
	v_add_co_u32_e32 v23, vcc, 0x1000, v27
	v_addc_co_u32_e32 v24, vcc, 0, v28, vcc
	global_load_dwordx2 v[23:24], v[23:24], off offset:1024
	s_or_b64 exec, exec, s[0:1]
                                        ; implicit-def: $vgpr25_vgpr26
	s_and_saveexec_b64 s[0:1], s[10:11]
	s_cbranch_execnz .LBB192_112
	s_branch .LBB192_113
.LBB192_101:
	s_or_b64 exec, exec, s[52:53]
                                        ; implicit-def: $vgpr5_vgpr6
	s_and_saveexec_b64 s[52:53], s[0:1]
	s_cbranch_execz .LBB192_91
.LBB192_102:
	global_load_dwordx2 v[5:6], v[27:28], off offset:512
	s_or_b64 exec, exec, s[52:53]
                                        ; implicit-def: $vgpr7_vgpr8
	s_and_saveexec_b64 s[0:1], s[2:3]
	s_cbranch_execnz .LBB192_92
.LBB192_103:
	s_or_b64 exec, exec, s[0:1]
                                        ; implicit-def: $vgpr9_vgpr10
	s_and_saveexec_b64 s[0:1], s[50:51]
	s_cbranch_execz .LBB192_93
.LBB192_104:
	global_load_dwordx2 v[9:10], v[27:28], off offset:1536
	s_or_b64 exec, exec, s[0:1]
                                        ; implicit-def: $vgpr11_vgpr12
	s_and_saveexec_b64 s[0:1], s[8:9]
	s_cbranch_execnz .LBB192_94
.LBB192_105:
	s_or_b64 exec, exec, s[0:1]
                                        ; implicit-def: $vgpr13_vgpr14
	s_and_saveexec_b64 s[0:1], s[12:13]
	s_cbranch_execz .LBB192_95
.LBB192_106:
	global_load_dwordx2 v[13:14], v[27:28], off offset:2560
	s_or_b64 exec, exec, s[0:1]
                                        ; implicit-def: $vgpr15_vgpr16
	s_and_saveexec_b64 s[0:1], s[16:17]
	s_cbranch_execnz .LBB192_96
.LBB192_107:
	s_or_b64 exec, exec, s[0:1]
                                        ; implicit-def: $vgpr17_vgpr18
	s_and_saveexec_b64 s[0:1], s[20:21]
	s_cbranch_execz .LBB192_97
.LBB192_108:
	global_load_dwordx2 v[17:18], v[27:28], off offset:3584
	s_or_b64 exec, exec, s[0:1]
                                        ; implicit-def: $vgpr19_vgpr20
	s_and_saveexec_b64 s[0:1], s[22:23]
	s_cbranch_execnz .LBB192_98
.LBB192_109:
	s_or_b64 exec, exec, s[0:1]
                                        ; implicit-def: $vgpr21_vgpr22
	s_and_saveexec_b64 s[0:1], s[18:19]
	s_cbranch_execz .LBB192_99
.LBB192_110:
	v_add_co_u32_e32 v21, vcc, 0x1000, v27
	v_addc_co_u32_e32 v22, vcc, 0, v28, vcc
	global_load_dwordx2 v[21:22], v[21:22], off offset:512
	s_or_b64 exec, exec, s[0:1]
                                        ; implicit-def: $vgpr23_vgpr24
	s_and_saveexec_b64 s[0:1], s[14:15]
	s_cbranch_execnz .LBB192_100
.LBB192_111:
	s_or_b64 exec, exec, s[0:1]
                                        ; implicit-def: $vgpr25_vgpr26
	s_and_saveexec_b64 s[0:1], s[10:11]
	s_cbranch_execz .LBB192_113
.LBB192_112:
	v_add_co_u32_e32 v25, vcc, 0x1000, v27
	v_addc_co_u32_e32 v26, vcc, 0, v28, vcc
	global_load_dwordx2 v[25:26], v[25:26], off offset:1536
.LBB192_113:
	s_or_b64 exec, exec, s[0:1]
	v_mov_b32_e32 v60, 0
	v_mov_b32_e32 v64, 0
	s_and_saveexec_b64 s[0:1], s[24:25]
	s_cbranch_execz .LBB192_115
; %bb.114:
	v_lshlrev_b32_e32 v27, 1, v0
	ds_read_u16 v27, v27 offset:2048
	s_movk_i32 s2, 0x8000
	v_mov_b32_e32 v28, 0x7fff
	s_waitcnt lgkmcnt(0)
	v_cmp_ne_u16_e32 vcc, s2, v27
	v_cndmask_b32_e32 v27, v28, v27, vcc
	v_lshrrev_b32_sdwa v27, s68, v27 dst_sel:DWORD dst_unused:UNUSED_PAD src0_sel:DWORD src1_sel:WORD_0
	v_and_b32_e32 v64, s74, v27
.LBB192_115:
	s_or_b64 exec, exec, s[0:1]
	s_and_saveexec_b64 s[0:1], s[26:27]
	s_cbranch_execz .LBB192_117
; %bb.116:
	v_lshlrev_b32_e32 v27, 1, v0
	ds_read_u16 v27, v27 offset:2560
	s_movk_i32 s2, 0x8000
	v_mov_b32_e32 v28, 0x7fff
	s_waitcnt lgkmcnt(0)
	v_cmp_ne_u16_e32 vcc, s2, v27
	v_cndmask_b32_e32 v27, v28, v27, vcc
	v_lshrrev_b32_sdwa v27, s68, v27 dst_sel:DWORD dst_unused:UNUSED_PAD src0_sel:DWORD src1_sel:WORD_0
	v_and_b32_e32 v60, s74, v27
.LBB192_117:
	s_or_b64 exec, exec, s[0:1]
	v_mov_b32_e32 v58, 0
	v_mov_b32_e32 v63, 0
	s_and_saveexec_b64 s[0:1], s[28:29]
	s_cbranch_execz .LBB192_119
; %bb.118:
	v_lshlrev_b32_e32 v27, 1, v0
	ds_read_u16 v27, v27 offset:3072
	s_movk_i32 s2, 0x8000
	v_mov_b32_e32 v28, 0x7fff
	s_waitcnt lgkmcnt(0)
	v_cmp_ne_u16_e32 vcc, s2, v27
	v_cndmask_b32_e32 v27, v28, v27, vcc
	v_lshrrev_b32_sdwa v27, s68, v27 dst_sel:DWORD dst_unused:UNUSED_PAD src0_sel:DWORD src1_sel:WORD_0
	v_and_b32_e32 v63, s74, v27
.LBB192_119:
	s_or_b64 exec, exec, s[0:1]
	s_and_saveexec_b64 s[0:1], s[30:31]
	s_cbranch_execz .LBB192_121
; %bb.120:
	v_lshlrev_b32_e32 v27, 1, v0
	ds_read_u16 v27, v27 offset:3584
	s_movk_i32 s2, 0x8000
	v_mov_b32_e32 v28, 0x7fff
	s_waitcnt lgkmcnt(0)
	v_cmp_ne_u16_e32 vcc, s2, v27
	v_cndmask_b32_e32 v27, v28, v27, vcc
	v_lshrrev_b32_sdwa v27, s68, v27 dst_sel:DWORD dst_unused:UNUSED_PAD src0_sel:DWORD src1_sel:WORD_0
	v_and_b32_e32 v58, s74, v27
.LBB192_121:
	;; [unrolled: 30-line block ×6, first 2 shown]
	s_or_b64 exec, exec, s[0:1]
	v_lshlrev_b32_e32 v44, 3, v44
	s_waitcnt vmcnt(0)
	s_barrier
	ds_write_b64 v44, v[3:4] offset:2048
	v_lshlrev_b32_e32 v3, 3, v43
	ds_write_b64 v3, v[5:6] offset:2048
	v_lshlrev_b32_e32 v3, 3, v42
	;; [unrolled: 2-line block ×11, first 2 shown]
	ds_write_b64 v3, v[25:26] offset:2048
	s_waitcnt lgkmcnt(0)
	s_barrier
	s_and_saveexec_b64 s[0:1], s[24:25]
	s_cbranch_execz .LBB192_196
; %bb.138:
	v_lshlrev_b32_e32 v3, 3, v64
	ds_read_b64 v[3:4], v3
	ds_read_b64 v[5:6], v32 offset:2048
	v_mov_b32_e32 v7, s63
	s_waitcnt lgkmcnt(1)
	v_lshlrev_b64 v[3:4], 3, v[3:4]
	v_add_co_u32_e32 v3, vcc, s62, v3
	v_addc_co_u32_e32 v4, vcc, v7, v4, vcc
	v_add_co_u32_e32 v3, vcc, v3, v32
	v_addc_co_u32_e32 v4, vcc, 0, v4, vcc
	s_waitcnt lgkmcnt(0)
	global_store_dwordx2 v[3:4], v[5:6], off
	s_or_b64 exec, exec, s[0:1]
	s_and_saveexec_b64 s[0:1], s[26:27]
	s_cbranch_execnz .LBB192_197
.LBB192_139:
	s_or_b64 exec, exec, s[0:1]
	s_and_saveexec_b64 s[0:1], s[28:29]
	s_cbranch_execz .LBB192_198
.LBB192_140:
	v_lshlrev_b32_e32 v3, 3, v63
	ds_read_b64 v[3:4], v3
	ds_read_b64 v[5:6], v32 offset:6144
	v_mov_b32_e32 v7, s63
	s_waitcnt lgkmcnt(1)
	v_lshlrev_b64 v[3:4], 3, v[3:4]
	v_add_co_u32_e32 v3, vcc, s62, v3
	v_addc_co_u32_e32 v4, vcc, v7, v4, vcc
	v_lshlrev_b32_e32 v7, 3, v45
	v_add_co_u32_e32 v3, vcc, v3, v7
	v_addc_co_u32_e32 v4, vcc, 0, v4, vcc
	s_waitcnt lgkmcnt(0)
	global_store_dwordx2 v[3:4], v[5:6], off
	s_or_b64 exec, exec, s[0:1]
	s_and_saveexec_b64 s[0:1], s[30:31]
	s_cbranch_execnz .LBB192_199
.LBB192_141:
	s_or_b64 exec, exec, s[0:1]
	s_and_saveexec_b64 s[0:1], s[34:35]
	s_cbranch_execz .LBB192_200
.LBB192_142:
	v_lshlrev_b32_e32 v3, 3, v62
	ds_read_b64 v[3:4], v3
	ds_read_b64 v[5:6], v32 offset:10240
	v_mov_b32_e32 v7, s63
	s_waitcnt lgkmcnt(1)
	v_lshlrev_b64 v[3:4], 3, v[3:4]
	v_add_co_u32_e32 v3, vcc, s62, v3
	v_addc_co_u32_e32 v4, vcc, v7, v4, vcc
	v_lshlrev_b32_e32 v7, 3, v47
	v_add_co_u32_e32 v3, vcc, v3, v7
	v_addc_co_u32_e32 v4, vcc, 0, v4, vcc
	s_waitcnt lgkmcnt(0)
	global_store_dwordx2 v[3:4], v[5:6], off
	s_or_b64 exec, exec, s[0:1]
	s_and_saveexec_b64 s[0:1], s[36:37]
	s_cbranch_execnz .LBB192_201
.LBB192_143:
	s_or_b64 exec, exec, s[0:1]
	s_and_saveexec_b64 s[0:1], s[38:39]
	s_cbranch_execz .LBB192_202
.LBB192_144:
	v_lshlrev_b32_e32 v3, 3, v61
	ds_read_b64 v[3:4], v3
	ds_read_b64 v[5:6], v32 offset:14336
	v_mov_b32_e32 v7, s63
	s_waitcnt lgkmcnt(1)
	v_lshlrev_b64 v[3:4], 3, v[3:4]
	v_add_co_u32_e32 v3, vcc, s62, v3
	v_addc_co_u32_e32 v4, vcc, v7, v4, vcc
	v_lshlrev_b32_e32 v7, 3, v49
	v_add_co_u32_e32 v3, vcc, v3, v7
	v_addc_co_u32_e32 v4, vcc, 0, v4, vcc
	s_waitcnt lgkmcnt(0)
	global_store_dwordx2 v[3:4], v[5:6], off
	s_or_b64 exec, exec, s[0:1]
	s_and_saveexec_b64 s[0:1], s[40:41]
	s_cbranch_execnz .LBB192_203
.LBB192_145:
	s_or_b64 exec, exec, s[0:1]
	s_and_saveexec_b64 s[0:1], s[42:43]
	s_cbranch_execz .LBB192_204
.LBB192_146:
	v_lshlrev_b32_e32 v3, 3, v59
	ds_read_b64 v[3:4], v3
	ds_read_b64 v[5:6], v32 offset:18432
	v_mov_b32_e32 v7, s63
	s_waitcnt lgkmcnt(1)
	v_lshlrev_b64 v[3:4], 3, v[3:4]
	v_add_co_u32_e32 v3, vcc, s62, v3
	v_addc_co_u32_e32 v4, vcc, v7, v4, vcc
	v_lshlrev_b32_e32 v7, 3, v51
	v_add_co_u32_e32 v3, vcc, v3, v7
	v_addc_co_u32_e32 v4, vcc, 0, v4, vcc
	s_waitcnt lgkmcnt(0)
	global_store_dwordx2 v[3:4], v[5:6], off
	s_or_b64 exec, exec, s[0:1]
	s_and_saveexec_b64 s[0:1], s[44:45]
	s_cbranch_execnz .LBB192_205
.LBB192_147:
	s_or_b64 exec, exec, s[0:1]
	s_and_saveexec_b64 s[0:1], s[46:47]
	s_cbranch_execz .LBB192_206
.LBB192_148:
	v_lshlrev_b32_e32 v3, 3, v57
	ds_read_b64 v[3:4], v3
	ds_read_b64 v[5:6], v32 offset:22528
	v_mov_b32_e32 v7, s63
	s_waitcnt lgkmcnt(1)
	v_lshlrev_b64 v[3:4], 3, v[3:4]
	v_add_co_u32_e32 v3, vcc, s62, v3
	v_addc_co_u32_e32 v4, vcc, v7, v4, vcc
	v_lshlrev_b32_e32 v7, 3, v53
	v_add_co_u32_e32 v3, vcc, v3, v7
	v_addc_co_u32_e32 v4, vcc, 0, v4, vcc
	s_waitcnt lgkmcnt(0)
	global_store_dwordx2 v[3:4], v[5:6], off
	s_or_b64 exec, exec, s[0:1]
	s_and_saveexec_b64 s[0:1], s[48:49]
	s_cbranch_execnz .LBB192_207
.LBB192_149:
	s_or_b64 exec, exec, s[0:1]
	s_add_i32 s33, s33, -1
	s_cmp_eq_u32 s6, s33
	s_cbranch_scc0 .LBB192_151
.LBB192_150:
	ds_read_b64 v[3:4], v32
	v_add_co_u32_e32 v5, vcc, v31, v30
	v_addc_co_u32_e64 v6, s[0:1], 0, 0, vcc
	s_waitcnt lgkmcnt(0)
	v_add_co_u32_e32 v3, vcc, v5, v3
	v_addc_co_u32_e32 v4, vcc, v6, v4, vcc
	global_store_dwordx2 v32, v[3:4], s[66:67]
.LBB192_151:
	s_mov_b64 s[0:1], 0
.LBB192_152:
	s_and_b64 vcc, exec, s[0:1]
	s_cbranch_vccz .LBB192_195
; %bb.153:
	s_mov_b32 s55, 0
	s_lshl_b64 s[0:1], s[54:55], 1
	v_mbcnt_hi_u32_b32 v8, -1, v29
	s_add_u32 s0, s56, s0
	v_lshlrev_b32_e32 v4, 1, v8
	v_add_co_u32_e32 v4, vcc, s0, v4
	s_load_dword s8, s[4:5], 0x50
	s_load_dword s0, s[4:5], 0x5c
	s_addc_u32 s1, s57, s1
	v_and_b32_e32 v9, 0xc0, v0
	v_mul_u32_u24_e32 v7, 12, v9
	v_mov_b32_e32 v5, s1
	v_addc_co_u32_e32 v5, vcc, 0, v5, vcc
	v_lshlrev_b32_e32 v6, 1, v7
	v_add_co_u32_e32 v4, vcc, v4, v6
	s_add_u32 s1, s4, 0x50
	v_addc_co_u32_e32 v5, vcc, 0, v5, vcc
	s_addc_u32 s2, s5, 0
	s_waitcnt lgkmcnt(0)
	s_lshr_b32 s3, s0, 16
	global_load_ushort v10, v[4:5], off
	s_cmp_lt_u32 s6, s8
	s_cselect_b32 s0, 12, 18
	s_add_u32 s0, s1, s0
	v_mov_b32_e32 v3, 0
	s_addc_u32 s1, s2, 0
	global_load_ushort v11, v3, s[0:1]
	v_mul_u32_u24_e32 v6, 20, v0
	ds_write2_b32 v6, v3, v3 offset0:4 offset1:5
	ds_write2_b32 v6, v3, v3 offset0:6 offset1:7
	ds_write_b32 v6, v3 offset:32
	global_load_ushort v12, v[4:5], off offset:128
	global_load_ushort v16, v[4:5], off offset:256
	;; [unrolled: 1-line block ×11, first 2 shown]
	v_mov_b32_e32 v13, 0x7fff
	v_mad_u32_u24 v1, v2, s3, v1
	s_movk_i32 s2, 0x8000
	s_lshl_b32 s0, -1, s69
	s_not_b32 s9, s0
	s_waitcnt vmcnt(0) lgkmcnt(0)
	s_barrier
	; wave barrier
	v_cmp_gt_i16_e32 vcc, 0, v10
	v_cndmask_b32_e64 v2, v13, 0, vcc
	v_xor_b32_e32 v5, v2, v10
	v_cmp_ne_u16_e32 vcc, s2, v5
	v_cndmask_b32_e32 v4, v13, v5, vcc
	v_mad_u64_u32 v[1:2], s[0:1], v1, v11, v[0:1]
	v_lshrrev_b32_sdwa v2, s68, v4 dst_sel:DWORD dst_unused:UNUSED_PAD src0_sel:DWORD src1_sel:WORD_0
	v_and_b32_e32 v2, s9, v2
	v_and_b32_e32 v10, 1, v2
	v_add_co_u32_e32 v11, vcc, -1, v10
	v_lshlrev_b32_e32 v4, 30, v2
	v_addc_co_u32_e64 v14, s[0:1], 0, -1, vcc
	v_cmp_ne_u32_e32 vcc, 0, v10
	v_cmp_gt_i64_e64 s[0:1], 0, v[3:4]
	v_not_b32_e32 v10, v4
	v_lshlrev_b32_e32 v4, 29, v2
	v_lshrrev_b32_e32 v1, 6, v1
	v_xor_b32_e32 v14, vcc_hi, v14
	v_xor_b32_e32 v11, vcc_lo, v11
	v_ashrrev_i32_e32 v10, 31, v10
	v_cmp_gt_i64_e32 vcc, 0, v[3:4]
	v_not_b32_e32 v15, v4
	v_lshlrev_b32_e32 v4, 28, v2
	v_lshlrev_b32_e32 v20, 2, v1
	v_and_b32_e32 v1, exec_hi, v14
	v_and_b32_e32 v11, exec_lo, v11
	v_xor_b32_e32 v14, s1, v10
	v_xor_b32_e32 v18, s0, v10
	v_ashrrev_i32_e32 v15, 31, v15
	v_cmp_gt_i64_e64 s[0:1], 0, v[3:4]
	v_not_b32_e32 v4, v4
	v_and_b32_e32 v1, v1, v14
	v_and_b32_e32 v11, v11, v18
	v_xor_b32_e32 v14, vcc_hi, v15
	v_xor_b32_e32 v15, vcc_lo, v15
	v_ashrrev_i32_e32 v4, 31, v4
	v_and_b32_e32 v1, v1, v14
	v_and_b32_e32 v11, v11, v15
	v_xor_b32_e32 v14, s1, v4
	v_xor_b32_e32 v4, s0, v4
	v_and_b32_e32 v11, v11, v4
	v_lshlrev_b32_e32 v4, 27, v2
	v_cmp_gt_i64_e32 vcc, 0, v[3:4]
	v_not_b32_e32 v4, v4
	v_ashrrev_i32_e32 v4, 31, v4
	v_and_b32_e32 v1, v1, v14
	v_xor_b32_e32 v14, vcc_hi, v4
	v_xor_b32_e32 v4, vcc_lo, v4
	v_and_b32_e32 v11, v11, v4
	v_lshlrev_b32_e32 v4, 26, v2
	v_cmp_gt_i64_e32 vcc, 0, v[3:4]
	v_not_b32_e32 v4, v4
	v_ashrrev_i32_e32 v4, 31, v4
	v_and_b32_e32 v1, v1, v14
	v_xor_b32_e32 v14, vcc_hi, v4
	v_xor_b32_e32 v4, vcc_lo, v4
	;; [unrolled: 8-line block ×3, first 2 shown]
	v_and_b32_e32 v11, v11, v4
	v_lshlrev_b32_e32 v4, 24, v2
	v_mad_u32_u24 v10, v2, 20, v20
	v_cmp_gt_i64_e32 vcc, 0, v[3:4]
	v_not_b32_e32 v2, v4
	v_ashrrev_i32_e32 v2, 31, v2
	v_and_b32_e32 v1, v1, v14
	v_xor_b32_e32 v4, vcc_hi, v2
	v_xor_b32_e32 v14, vcc_lo, v2
	v_and_b32_e32 v2, v1, v4
	v_and_b32_e32 v1, v11, v14
	v_mbcnt_lo_u32_b32 v4, v1, 0
	v_mbcnt_hi_u32_b32 v11, v2, v4
	v_cmp_ne_u64_e32 vcc, 0, v[1:2]
	v_cmp_eq_u32_e64 s[0:1], 0, v11
	s_and_b64 s[4:5], vcc, s[0:1]
	s_and_saveexec_b64 s[0:1], s[4:5]
; %bb.154:
	v_bcnt_u32_b32 v1, v1, 0
	v_bcnt_u32_b32 v1, v2, v1
	ds_write_b32 v10, v1 offset:16
; %bb.155:
	s_or_b64 exec, exec, s[0:1]
	v_cmp_gt_i16_e32 vcc, 0, v12
	v_cndmask_b32_e64 v1, v13, 0, vcc
	v_xor_b32_e32 v12, v1, v12
	v_cmp_ne_u16_e32 vcc, s2, v12
	v_cndmask_b32_e32 v1, v13, v12, vcc
	v_lshrrev_b32_sdwa v1, s68, v1 dst_sel:DWORD dst_unused:UNUSED_PAD src0_sel:DWORD src1_sel:WORD_0
	v_and_b32_e32 v1, s9, v1
	v_and_b32_e32 v2, 1, v1
	v_add_co_u32_e32 v4, vcc, -1, v2
	v_addc_co_u32_e64 v15, s[0:1], 0, -1, vcc
	v_cmp_ne_u32_e32 vcc, 0, v2
	v_xor_b32_e32 v4, vcc_lo, v4
	v_xor_b32_e32 v2, vcc_hi, v15
	v_and_b32_e32 v15, exec_lo, v4
	v_lshlrev_b32_e32 v4, 30, v1
	v_cmp_gt_i64_e32 vcc, 0, v[3:4]
	v_not_b32_e32 v4, v4
	v_ashrrev_i32_e32 v4, 31, v4
	v_xor_b32_e32 v18, vcc_hi, v4
	v_xor_b32_e32 v4, vcc_lo, v4
	v_and_b32_e32 v15, v15, v4
	v_lshlrev_b32_e32 v4, 29, v1
	v_cmp_gt_i64_e32 vcc, 0, v[3:4]
	v_not_b32_e32 v4, v4
	v_and_b32_e32 v2, exec_hi, v2
	v_ashrrev_i32_e32 v4, 31, v4
	v_and_b32_e32 v2, v2, v18
	v_xor_b32_e32 v18, vcc_hi, v4
	v_xor_b32_e32 v4, vcc_lo, v4
	v_and_b32_e32 v15, v15, v4
	v_lshlrev_b32_e32 v4, 28, v1
	v_cmp_gt_i64_e32 vcc, 0, v[3:4]
	v_not_b32_e32 v4, v4
	v_ashrrev_i32_e32 v4, 31, v4
	v_and_b32_e32 v2, v2, v18
	v_xor_b32_e32 v18, vcc_hi, v4
	v_xor_b32_e32 v4, vcc_lo, v4
	v_and_b32_e32 v15, v15, v4
	v_lshlrev_b32_e32 v4, 27, v1
	v_cmp_gt_i64_e32 vcc, 0, v[3:4]
	v_not_b32_e32 v4, v4
	v_ashrrev_i32_e32 v4, 31, v4
	v_and_b32_e32 v2, v2, v18
	v_xor_b32_e32 v18, vcc_hi, v4
	v_xor_b32_e32 v4, vcc_lo, v4
	v_and_b32_e32 v15, v15, v4
	v_lshlrev_b32_e32 v4, 26, v1
	v_cmp_gt_i64_e32 vcc, 0, v[3:4]
	v_not_b32_e32 v4, v4
	v_ashrrev_i32_e32 v4, 31, v4
	v_and_b32_e32 v2, v2, v18
	v_xor_b32_e32 v18, vcc_hi, v4
	v_xor_b32_e32 v4, vcc_lo, v4
	v_and_b32_e32 v15, v15, v4
	v_lshlrev_b32_e32 v4, 25, v1
	v_cmp_gt_i64_e32 vcc, 0, v[3:4]
	v_not_b32_e32 v4, v4
	v_ashrrev_i32_e32 v4, 31, v4
	v_and_b32_e32 v2, v2, v18
	v_xor_b32_e32 v18, vcc_hi, v4
	v_xor_b32_e32 v4, vcc_lo, v4
	v_and_b32_e32 v15, v15, v4
	v_lshlrev_b32_e32 v4, 24, v1
	v_mad_u32_u24 v14, v1, 20, v20
	v_cmp_gt_i64_e32 vcc, 0, v[3:4]
	v_not_b32_e32 v1, v4
	v_ashrrev_i32_e32 v1, 31, v1
	v_xor_b32_e32 v3, vcc_hi, v1
	v_xor_b32_e32 v1, vcc_lo, v1
	; wave barrier
	ds_read_b32 v13, v14 offset:16
	v_and_b32_e32 v2, v2, v18
	v_and_b32_e32 v1, v15, v1
	;; [unrolled: 1-line block ×3, first 2 shown]
	v_mbcnt_lo_u32_b32 v3, v1, 0
	v_mbcnt_hi_u32_b32 v15, v2, v3
	v_cmp_ne_u64_e32 vcc, 0, v[1:2]
	v_cmp_eq_u32_e64 s[0:1], 0, v15
	s_and_b64 s[2:3], vcc, s[0:1]
	; wave barrier
	s_and_saveexec_b64 s[0:1], s[2:3]
	s_cbranch_execz .LBB192_157
; %bb.156:
	v_bcnt_u32_b32 v1, v1, 0
	v_bcnt_u32_b32 v1, v2, v1
	s_waitcnt lgkmcnt(0)
	v_add_u32_e32 v1, v13, v1
	ds_write_b32 v14, v1 offset:16
.LBB192_157:
	s_or_b64 exec, exec, s[0:1]
	v_mov_b32_e32 v4, 0x7fff
	v_cmp_gt_i16_e32 vcc, 0, v16
	v_cndmask_b32_e64 v1, v4, 0, vcc
	v_xor_b32_e32 v16, v1, v16
	s_movk_i32 s2, 0x8000
	v_cmp_ne_u16_e32 vcc, s2, v16
	v_cndmask_b32_e32 v1, v4, v16, vcc
	v_lshrrev_b32_sdwa v1, s68, v1 dst_sel:DWORD dst_unused:UNUSED_PAD src0_sel:DWORD src1_sel:WORD_0
	v_and_b32_e32 v3, s9, v1
	v_and_b32_e32 v2, 1, v3
	v_add_co_u32_e32 v22, vcc, -1, v2
	v_addc_co_u32_e64 v23, s[0:1], 0, -1, vcc
	v_cmp_ne_u32_e32 vcc, 0, v2
	v_xor_b32_e32 v2, vcc_hi, v23
	v_mov_b32_e32 v1, 0
	v_and_b32_e32 v23, exec_hi, v2
	v_lshlrev_b32_e32 v2, 30, v3
	v_xor_b32_e32 v22, vcc_lo, v22
	v_cmp_gt_i64_e32 vcc, 0, v[1:2]
	v_not_b32_e32 v2, v2
	v_ashrrev_i32_e32 v2, 31, v2
	v_and_b32_e32 v22, exec_lo, v22
	v_xor_b32_e32 v25, vcc_hi, v2
	v_xor_b32_e32 v2, vcc_lo, v2
	v_and_b32_e32 v22, v22, v2
	v_lshlrev_b32_e32 v2, 29, v3
	v_cmp_gt_i64_e32 vcc, 0, v[1:2]
	v_not_b32_e32 v2, v2
	v_ashrrev_i32_e32 v2, 31, v2
	v_and_b32_e32 v23, v23, v25
	v_xor_b32_e32 v25, vcc_hi, v2
	v_xor_b32_e32 v2, vcc_lo, v2
	v_and_b32_e32 v22, v22, v2
	v_lshlrev_b32_e32 v2, 28, v3
	v_cmp_gt_i64_e32 vcc, 0, v[1:2]
	v_not_b32_e32 v2, v2
	v_ashrrev_i32_e32 v2, 31, v2
	v_and_b32_e32 v23, v23, v25
	;; [unrolled: 8-line block ×5, first 2 shown]
	v_xor_b32_e32 v25, vcc_hi, v2
	v_xor_b32_e32 v2, vcc_lo, v2
	v_and_b32_e32 v22, v22, v2
	v_lshlrev_b32_e32 v2, 24, v3
	v_cmp_gt_i64_e32 vcc, 0, v[1:2]
	v_not_b32_e32 v2, v2
	v_ashrrev_i32_e32 v2, 31, v2
	v_mad_u32_u24 v19, v3, 20, v20
	v_xor_b32_e32 v3, vcc_hi, v2
	v_xor_b32_e32 v2, vcc_lo, v2
	; wave barrier
	ds_read_b32 v18, v19 offset:16
	v_and_b32_e32 v23, v23, v25
	v_and_b32_e32 v2, v22, v2
	;; [unrolled: 1-line block ×3, first 2 shown]
	v_mbcnt_lo_u32_b32 v22, v2, 0
	v_mbcnt_hi_u32_b32 v22, v3, v22
	v_cmp_ne_u64_e32 vcc, 0, v[2:3]
	v_cmp_eq_u32_e64 s[0:1], 0, v22
	s_and_b64 s[4:5], vcc, s[0:1]
	; wave barrier
	s_and_saveexec_b64 s[0:1], s[4:5]
	s_cbranch_execz .LBB192_159
; %bb.158:
	v_bcnt_u32_b32 v2, v2, 0
	v_bcnt_u32_b32 v2, v3, v2
	s_waitcnt lgkmcnt(0)
	v_add_u32_e32 v2, v18, v2
	ds_write_b32 v19, v2 offset:16
.LBB192_159:
	s_or_b64 exec, exec, s[0:1]
	v_cmp_gt_i16_e32 vcc, 0, v21
	v_cndmask_b32_e64 v2, v4, 0, vcc
	v_xor_b32_e32 v21, v2, v21
	v_cmp_ne_u16_e32 vcc, s2, v21
	v_cndmask_b32_e32 v2, v4, v21, vcc
	v_lshrrev_b32_sdwa v2, s68, v2 dst_sel:DWORD dst_unused:UNUSED_PAD src0_sel:DWORD src1_sel:WORD_0
	v_and_b32_e32 v3, s9, v2
	v_and_b32_e32 v2, 1, v3
	v_add_co_u32_e32 v4, vcc, -1, v2
	v_addc_co_u32_e64 v26, s[0:1], 0, -1, vcc
	v_cmp_ne_u32_e32 vcc, 0, v2
	v_xor_b32_e32 v2, vcc_hi, v26
	v_and_b32_e32 v26, exec_hi, v2
	v_lshlrev_b32_e32 v2, 30, v3
	v_xor_b32_e32 v4, vcc_lo, v4
	v_cmp_gt_i64_e32 vcc, 0, v[1:2]
	v_not_b32_e32 v2, v2
	v_ashrrev_i32_e32 v2, 31, v2
	v_and_b32_e32 v4, exec_lo, v4
	v_xor_b32_e32 v29, vcc_hi, v2
	v_xor_b32_e32 v2, vcc_lo, v2
	v_and_b32_e32 v4, v4, v2
	v_lshlrev_b32_e32 v2, 29, v3
	v_cmp_gt_i64_e32 vcc, 0, v[1:2]
	v_not_b32_e32 v2, v2
	v_ashrrev_i32_e32 v2, 31, v2
	v_and_b32_e32 v26, v26, v29
	v_xor_b32_e32 v29, vcc_hi, v2
	v_xor_b32_e32 v2, vcc_lo, v2
	v_and_b32_e32 v4, v4, v2
	v_lshlrev_b32_e32 v2, 28, v3
	v_cmp_gt_i64_e32 vcc, 0, v[1:2]
	v_not_b32_e32 v2, v2
	v_ashrrev_i32_e32 v2, 31, v2
	v_and_b32_e32 v26, v26, v29
	;; [unrolled: 8-line block ×5, first 2 shown]
	v_xor_b32_e32 v29, vcc_hi, v2
	v_xor_b32_e32 v2, vcc_lo, v2
	v_and_b32_e32 v4, v4, v2
	v_lshlrev_b32_e32 v2, 24, v3
	v_cmp_gt_i64_e32 vcc, 0, v[1:2]
	v_not_b32_e32 v1, v2
	v_ashrrev_i32_e32 v1, 31, v1
	v_mad_u32_u24 v25, v3, 20, v20
	v_xor_b32_e32 v2, vcc_hi, v1
	v_xor_b32_e32 v1, vcc_lo, v1
	; wave barrier
	ds_read_b32 v23, v25 offset:16
	v_and_b32_e32 v26, v26, v29
	v_and_b32_e32 v1, v4, v1
	v_and_b32_e32 v2, v26, v2
	v_mbcnt_lo_u32_b32 v3, v1, 0
	v_mbcnt_hi_u32_b32 v26, v2, v3
	v_cmp_ne_u64_e32 vcc, 0, v[1:2]
	v_cmp_eq_u32_e64 s[0:1], 0, v26
	s_and_b64 s[2:3], vcc, s[0:1]
	; wave barrier
	s_and_saveexec_b64 s[0:1], s[2:3]
	s_cbranch_execz .LBB192_161
; %bb.160:
	v_bcnt_u32_b32 v1, v1, 0
	v_bcnt_u32_b32 v1, v2, v1
	s_waitcnt lgkmcnt(0)
	v_add_u32_e32 v1, v23, v1
	ds_write_b32 v25, v1 offset:16
.LBB192_161:
	s_or_b64 exec, exec, s[0:1]
	v_mov_b32_e32 v4, 0x7fff
	v_cmp_gt_i16_e32 vcc, 0, v27
	v_cndmask_b32_e64 v1, v4, 0, vcc
	v_xor_b32_e32 v27, v1, v27
	s_movk_i32 s2, 0x8000
	v_cmp_ne_u16_e32 vcc, s2, v27
	v_cndmask_b32_e32 v1, v4, v27, vcc
	v_lshrrev_b32_sdwa v1, s68, v1 dst_sel:DWORD dst_unused:UNUSED_PAD src0_sel:DWORD src1_sel:WORD_0
	v_and_b32_e32 v3, s9, v1
	v_and_b32_e32 v2, 1, v3
	v_add_co_u32_e32 v32, vcc, -1, v2
	v_addc_co_u32_e64 v33, s[0:1], 0, -1, vcc
	v_cmp_ne_u32_e32 vcc, 0, v2
	v_xor_b32_e32 v2, vcc_hi, v33
	v_mov_b32_e32 v1, 0
	v_and_b32_e32 v33, exec_hi, v2
	v_lshlrev_b32_e32 v2, 30, v3
	v_xor_b32_e32 v32, vcc_lo, v32
	v_cmp_gt_i64_e32 vcc, 0, v[1:2]
	v_not_b32_e32 v2, v2
	v_ashrrev_i32_e32 v2, 31, v2
	v_and_b32_e32 v32, exec_lo, v32
	v_xor_b32_e32 v35, vcc_hi, v2
	v_xor_b32_e32 v2, vcc_lo, v2
	v_and_b32_e32 v32, v32, v2
	v_lshlrev_b32_e32 v2, 29, v3
	v_cmp_gt_i64_e32 vcc, 0, v[1:2]
	v_not_b32_e32 v2, v2
	v_ashrrev_i32_e32 v2, 31, v2
	v_and_b32_e32 v33, v33, v35
	v_xor_b32_e32 v35, vcc_hi, v2
	v_xor_b32_e32 v2, vcc_lo, v2
	v_and_b32_e32 v32, v32, v2
	v_lshlrev_b32_e32 v2, 28, v3
	v_cmp_gt_i64_e32 vcc, 0, v[1:2]
	v_not_b32_e32 v2, v2
	v_ashrrev_i32_e32 v2, 31, v2
	v_and_b32_e32 v33, v33, v35
	;; [unrolled: 8-line block ×5, first 2 shown]
	v_xor_b32_e32 v35, vcc_hi, v2
	v_xor_b32_e32 v2, vcc_lo, v2
	v_and_b32_e32 v32, v32, v2
	v_lshlrev_b32_e32 v2, 24, v3
	v_cmp_gt_i64_e32 vcc, 0, v[1:2]
	v_not_b32_e32 v2, v2
	v_ashrrev_i32_e32 v2, 31, v2
	v_mad_u32_u24 v30, v3, 20, v20
	v_xor_b32_e32 v3, vcc_hi, v2
	v_xor_b32_e32 v2, vcc_lo, v2
	; wave barrier
	ds_read_b32 v29, v30 offset:16
	v_and_b32_e32 v33, v33, v35
	v_and_b32_e32 v2, v32, v2
	;; [unrolled: 1-line block ×3, first 2 shown]
	v_mbcnt_lo_u32_b32 v32, v2, 0
	v_mbcnt_hi_u32_b32 v32, v3, v32
	v_cmp_ne_u64_e32 vcc, 0, v[2:3]
	v_cmp_eq_u32_e64 s[0:1], 0, v32
	s_and_b64 s[4:5], vcc, s[0:1]
	; wave barrier
	s_and_saveexec_b64 s[0:1], s[4:5]
	s_cbranch_execz .LBB192_163
; %bb.162:
	v_bcnt_u32_b32 v2, v2, 0
	v_bcnt_u32_b32 v2, v3, v2
	s_waitcnt lgkmcnt(0)
	v_add_u32_e32 v2, v29, v2
	ds_write_b32 v30, v2 offset:16
.LBB192_163:
	s_or_b64 exec, exec, s[0:1]
	v_cmp_gt_i16_e32 vcc, 0, v31
	v_cndmask_b32_e64 v2, v4, 0, vcc
	v_xor_b32_e32 v31, v2, v31
	v_cmp_ne_u16_e32 vcc, s2, v31
	v_cndmask_b32_e32 v2, v4, v31, vcc
	v_lshrrev_b32_sdwa v2, s68, v2 dst_sel:DWORD dst_unused:UNUSED_PAD src0_sel:DWORD src1_sel:WORD_0
	v_and_b32_e32 v3, s9, v2
	v_and_b32_e32 v2, 1, v3
	v_add_co_u32_e32 v4, vcc, -1, v2
	v_addc_co_u32_e64 v37, s[0:1], 0, -1, vcc
	v_cmp_ne_u32_e32 vcc, 0, v2
	v_xor_b32_e32 v2, vcc_hi, v37
	v_and_b32_e32 v37, exec_hi, v2
	v_lshlrev_b32_e32 v2, 30, v3
	v_xor_b32_e32 v4, vcc_lo, v4
	v_cmp_gt_i64_e32 vcc, 0, v[1:2]
	v_not_b32_e32 v2, v2
	v_ashrrev_i32_e32 v2, 31, v2
	v_and_b32_e32 v4, exec_lo, v4
	v_xor_b32_e32 v39, vcc_hi, v2
	v_xor_b32_e32 v2, vcc_lo, v2
	v_and_b32_e32 v4, v4, v2
	v_lshlrev_b32_e32 v2, 29, v3
	v_cmp_gt_i64_e32 vcc, 0, v[1:2]
	v_not_b32_e32 v2, v2
	v_ashrrev_i32_e32 v2, 31, v2
	v_and_b32_e32 v37, v37, v39
	v_xor_b32_e32 v39, vcc_hi, v2
	v_xor_b32_e32 v2, vcc_lo, v2
	v_and_b32_e32 v4, v4, v2
	v_lshlrev_b32_e32 v2, 28, v3
	v_cmp_gt_i64_e32 vcc, 0, v[1:2]
	v_not_b32_e32 v2, v2
	v_ashrrev_i32_e32 v2, 31, v2
	v_and_b32_e32 v37, v37, v39
	;; [unrolled: 8-line block ×5, first 2 shown]
	v_xor_b32_e32 v39, vcc_hi, v2
	v_xor_b32_e32 v2, vcc_lo, v2
	v_and_b32_e32 v4, v4, v2
	v_lshlrev_b32_e32 v2, 24, v3
	v_cmp_gt_i64_e32 vcc, 0, v[1:2]
	v_not_b32_e32 v1, v2
	v_ashrrev_i32_e32 v1, 31, v1
	v_mad_u32_u24 v35, v3, 20, v20
	v_xor_b32_e32 v2, vcc_hi, v1
	v_xor_b32_e32 v1, vcc_lo, v1
	; wave barrier
	ds_read_b32 v33, v35 offset:16
	v_and_b32_e32 v37, v37, v39
	v_and_b32_e32 v1, v4, v1
	;; [unrolled: 1-line block ×3, first 2 shown]
	v_mbcnt_lo_u32_b32 v3, v1, 0
	v_mbcnt_hi_u32_b32 v37, v2, v3
	v_cmp_ne_u64_e32 vcc, 0, v[1:2]
	v_cmp_eq_u32_e64 s[0:1], 0, v37
	s_and_b64 s[2:3], vcc, s[0:1]
	; wave barrier
	s_and_saveexec_b64 s[0:1], s[2:3]
	s_cbranch_execz .LBB192_165
; %bb.164:
	v_bcnt_u32_b32 v1, v1, 0
	v_bcnt_u32_b32 v1, v2, v1
	s_waitcnt lgkmcnt(0)
	v_add_u32_e32 v1, v33, v1
	ds_write_b32 v35, v1 offset:16
.LBB192_165:
	s_or_b64 exec, exec, s[0:1]
	v_mov_b32_e32 v4, 0x7fff
	v_cmp_gt_i16_e32 vcc, 0, v36
	v_cndmask_b32_e64 v1, v4, 0, vcc
	v_xor_b32_e32 v36, v1, v36
	s_movk_i32 s2, 0x8000
	v_cmp_ne_u16_e32 vcc, s2, v36
	v_cndmask_b32_e32 v1, v4, v36, vcc
	v_lshrrev_b32_sdwa v1, s68, v1 dst_sel:DWORD dst_unused:UNUSED_PAD src0_sel:DWORD src1_sel:WORD_0
	v_and_b32_e32 v3, s9, v1
	v_and_b32_e32 v2, 1, v3
	v_add_co_u32_e32 v41, vcc, -1, v2
	v_addc_co_u32_e64 v42, s[0:1], 0, -1, vcc
	v_cmp_ne_u32_e32 vcc, 0, v2
	v_xor_b32_e32 v2, vcc_hi, v42
	v_mov_b32_e32 v1, 0
	v_and_b32_e32 v42, exec_hi, v2
	v_lshlrev_b32_e32 v2, 30, v3
	v_xor_b32_e32 v41, vcc_lo, v41
	v_cmp_gt_i64_e32 vcc, 0, v[1:2]
	v_not_b32_e32 v2, v2
	v_ashrrev_i32_e32 v2, 31, v2
	v_and_b32_e32 v41, exec_lo, v41
	v_xor_b32_e32 v43, vcc_hi, v2
	v_xor_b32_e32 v2, vcc_lo, v2
	v_and_b32_e32 v41, v41, v2
	v_lshlrev_b32_e32 v2, 29, v3
	v_cmp_gt_i64_e32 vcc, 0, v[1:2]
	v_not_b32_e32 v2, v2
	v_ashrrev_i32_e32 v2, 31, v2
	v_and_b32_e32 v42, v42, v43
	v_xor_b32_e32 v43, vcc_hi, v2
	v_xor_b32_e32 v2, vcc_lo, v2
	v_and_b32_e32 v41, v41, v2
	v_lshlrev_b32_e32 v2, 28, v3
	v_cmp_gt_i64_e32 vcc, 0, v[1:2]
	v_not_b32_e32 v2, v2
	v_ashrrev_i32_e32 v2, 31, v2
	v_and_b32_e32 v42, v42, v43
	;; [unrolled: 8-line block ×5, first 2 shown]
	v_xor_b32_e32 v43, vcc_hi, v2
	v_xor_b32_e32 v2, vcc_lo, v2
	v_and_b32_e32 v41, v41, v2
	v_lshlrev_b32_e32 v2, 24, v3
	v_cmp_gt_i64_e32 vcc, 0, v[1:2]
	v_not_b32_e32 v2, v2
	v_ashrrev_i32_e32 v2, 31, v2
	v_mad_u32_u24 v40, v3, 20, v20
	v_xor_b32_e32 v3, vcc_hi, v2
	v_xor_b32_e32 v2, vcc_lo, v2
	; wave barrier
	ds_read_b32 v39, v40 offset:16
	v_and_b32_e32 v42, v42, v43
	v_and_b32_e32 v2, v41, v2
	v_and_b32_e32 v3, v42, v3
	v_mbcnt_lo_u32_b32 v41, v2, 0
	v_mbcnt_hi_u32_b32 v41, v3, v41
	v_cmp_ne_u64_e32 vcc, 0, v[2:3]
	v_cmp_eq_u32_e64 s[0:1], 0, v41
	s_and_b64 s[4:5], vcc, s[0:1]
	; wave barrier
	s_and_saveexec_b64 s[0:1], s[4:5]
	s_cbranch_execz .LBB192_167
; %bb.166:
	v_bcnt_u32_b32 v2, v2, 0
	v_bcnt_u32_b32 v2, v3, v2
	s_waitcnt lgkmcnt(0)
	v_add_u32_e32 v2, v39, v2
	ds_write_b32 v40, v2 offset:16
.LBB192_167:
	s_or_b64 exec, exec, s[0:1]
	v_cmp_gt_i16_e32 vcc, 0, v38
	v_cndmask_b32_e64 v2, v4, 0, vcc
	v_xor_b32_e32 v38, v2, v38
	v_cmp_ne_u16_e32 vcc, s2, v38
	v_cndmask_b32_e32 v2, v4, v38, vcc
	v_lshrrev_b32_sdwa v2, s68, v2 dst_sel:DWORD dst_unused:UNUSED_PAD src0_sel:DWORD src1_sel:WORD_0
	v_and_b32_e32 v3, s9, v2
	v_and_b32_e32 v2, 1, v3
	v_add_co_u32_e32 v4, vcc, -1, v2
	v_addc_co_u32_e64 v44, s[0:1], 0, -1, vcc
	v_cmp_ne_u32_e32 vcc, 0, v2
	v_xor_b32_e32 v2, vcc_hi, v44
	v_and_b32_e32 v44, exec_hi, v2
	v_lshlrev_b32_e32 v2, 30, v3
	v_xor_b32_e32 v4, vcc_lo, v4
	v_cmp_gt_i64_e32 vcc, 0, v[1:2]
	v_not_b32_e32 v2, v2
	v_ashrrev_i32_e32 v2, 31, v2
	v_and_b32_e32 v4, exec_lo, v4
	v_xor_b32_e32 v45, vcc_hi, v2
	v_xor_b32_e32 v2, vcc_lo, v2
	v_and_b32_e32 v4, v4, v2
	v_lshlrev_b32_e32 v2, 29, v3
	v_cmp_gt_i64_e32 vcc, 0, v[1:2]
	v_not_b32_e32 v2, v2
	v_ashrrev_i32_e32 v2, 31, v2
	v_and_b32_e32 v44, v44, v45
	v_xor_b32_e32 v45, vcc_hi, v2
	v_xor_b32_e32 v2, vcc_lo, v2
	v_and_b32_e32 v4, v4, v2
	v_lshlrev_b32_e32 v2, 28, v3
	v_cmp_gt_i64_e32 vcc, 0, v[1:2]
	v_not_b32_e32 v2, v2
	v_ashrrev_i32_e32 v2, 31, v2
	v_and_b32_e32 v44, v44, v45
	;; [unrolled: 8-line block ×5, first 2 shown]
	v_xor_b32_e32 v45, vcc_hi, v2
	v_xor_b32_e32 v2, vcc_lo, v2
	v_and_b32_e32 v4, v4, v2
	v_lshlrev_b32_e32 v2, 24, v3
	v_cmp_gt_i64_e32 vcc, 0, v[1:2]
	v_not_b32_e32 v1, v2
	v_ashrrev_i32_e32 v1, 31, v1
	v_mad_u32_u24 v43, v3, 20, v20
	v_xor_b32_e32 v2, vcc_hi, v1
	v_xor_b32_e32 v1, vcc_lo, v1
	; wave barrier
	ds_read_b32 v42, v43 offset:16
	v_and_b32_e32 v44, v44, v45
	v_and_b32_e32 v1, v4, v1
	v_and_b32_e32 v2, v44, v2
	v_mbcnt_lo_u32_b32 v3, v1, 0
	v_mbcnt_hi_u32_b32 v44, v2, v3
	v_cmp_ne_u64_e32 vcc, 0, v[1:2]
	v_cmp_eq_u32_e64 s[0:1], 0, v44
	s_and_b64 s[2:3], vcc, s[0:1]
	; wave barrier
	s_and_saveexec_b64 s[0:1], s[2:3]
	s_cbranch_execz .LBB192_169
; %bb.168:
	v_bcnt_u32_b32 v1, v1, 0
	v_bcnt_u32_b32 v1, v2, v1
	s_waitcnt lgkmcnt(0)
	v_add_u32_e32 v1, v42, v1
	ds_write_b32 v43, v1 offset:16
.LBB192_169:
	s_or_b64 exec, exec, s[0:1]
	v_mov_b32_e32 v4, 0x7fff
	v_cmp_gt_i16_e32 vcc, 0, v34
	v_cndmask_b32_e64 v1, v4, 0, vcc
	v_xor_b32_e32 v34, v1, v34
	s_movk_i32 s2, 0x8000
	v_cmp_ne_u16_e32 vcc, s2, v34
	v_cndmask_b32_e32 v1, v4, v34, vcc
	v_lshrrev_b32_sdwa v1, s68, v1 dst_sel:DWORD dst_unused:UNUSED_PAD src0_sel:DWORD src1_sel:WORD_0
	v_and_b32_e32 v3, s9, v1
	v_and_b32_e32 v2, 1, v3
	v_add_co_u32_e32 v47, vcc, -1, v2
	v_addc_co_u32_e64 v48, s[0:1], 0, -1, vcc
	v_cmp_ne_u32_e32 vcc, 0, v2
	v_xor_b32_e32 v2, vcc_hi, v48
	v_mov_b32_e32 v1, 0
	v_and_b32_e32 v48, exec_hi, v2
	v_lshlrev_b32_e32 v2, 30, v3
	v_xor_b32_e32 v47, vcc_lo, v47
	v_cmp_gt_i64_e32 vcc, 0, v[1:2]
	v_not_b32_e32 v2, v2
	v_ashrrev_i32_e32 v2, 31, v2
	v_and_b32_e32 v47, exec_lo, v47
	v_xor_b32_e32 v49, vcc_hi, v2
	v_xor_b32_e32 v2, vcc_lo, v2
	v_and_b32_e32 v47, v47, v2
	v_lshlrev_b32_e32 v2, 29, v3
	v_cmp_gt_i64_e32 vcc, 0, v[1:2]
	v_not_b32_e32 v2, v2
	v_ashrrev_i32_e32 v2, 31, v2
	v_and_b32_e32 v48, v48, v49
	v_xor_b32_e32 v49, vcc_hi, v2
	v_xor_b32_e32 v2, vcc_lo, v2
	v_and_b32_e32 v47, v47, v2
	v_lshlrev_b32_e32 v2, 28, v3
	v_cmp_gt_i64_e32 vcc, 0, v[1:2]
	v_not_b32_e32 v2, v2
	v_ashrrev_i32_e32 v2, 31, v2
	v_and_b32_e32 v48, v48, v49
	;; [unrolled: 8-line block ×5, first 2 shown]
	v_xor_b32_e32 v49, vcc_hi, v2
	v_xor_b32_e32 v2, vcc_lo, v2
	v_and_b32_e32 v47, v47, v2
	v_lshlrev_b32_e32 v2, 24, v3
	v_cmp_gt_i64_e32 vcc, 0, v[1:2]
	v_not_b32_e32 v2, v2
	v_ashrrev_i32_e32 v2, 31, v2
	v_mad_u32_u24 v46, v3, 20, v20
	v_xor_b32_e32 v3, vcc_hi, v2
	v_xor_b32_e32 v2, vcc_lo, v2
	; wave barrier
	ds_read_b32 v45, v46 offset:16
	v_and_b32_e32 v48, v48, v49
	v_and_b32_e32 v2, v47, v2
	;; [unrolled: 1-line block ×3, first 2 shown]
	v_mbcnt_lo_u32_b32 v47, v2, 0
	v_mbcnt_hi_u32_b32 v48, v3, v47
	v_cmp_ne_u64_e32 vcc, 0, v[2:3]
	v_cmp_eq_u32_e64 s[0:1], 0, v48
	s_and_b64 s[4:5], vcc, s[0:1]
	; wave barrier
	s_and_saveexec_b64 s[0:1], s[4:5]
	s_cbranch_execz .LBB192_171
; %bb.170:
	v_bcnt_u32_b32 v2, v2, 0
	v_bcnt_u32_b32 v2, v3, v2
	s_waitcnt lgkmcnt(0)
	v_add_u32_e32 v2, v45, v2
	ds_write_b32 v46, v2 offset:16
.LBB192_171:
	s_or_b64 exec, exec, s[0:1]
	v_cmp_gt_i16_e32 vcc, 0, v28
	v_cndmask_b32_e64 v2, v4, 0, vcc
	v_xor_b32_e32 v47, v2, v28
	v_cmp_ne_u16_e32 vcc, s2, v47
	v_cndmask_b32_e32 v2, v4, v47, vcc
	v_lshrrev_b32_sdwa v2, s68, v2 dst_sel:DWORD dst_unused:UNUSED_PAD src0_sel:DWORD src1_sel:WORD_0
	v_and_b32_e32 v3, s9, v2
	v_and_b32_e32 v2, 1, v3
	v_add_co_u32_e32 v4, vcc, -1, v2
	v_addc_co_u32_e64 v50, s[0:1], 0, -1, vcc
	v_cmp_ne_u32_e32 vcc, 0, v2
	v_xor_b32_e32 v2, vcc_hi, v50
	v_and_b32_e32 v50, exec_hi, v2
	v_lshlrev_b32_e32 v2, 30, v3
	v_xor_b32_e32 v4, vcc_lo, v4
	v_cmp_gt_i64_e32 vcc, 0, v[1:2]
	v_not_b32_e32 v2, v2
	v_ashrrev_i32_e32 v2, 31, v2
	v_and_b32_e32 v4, exec_lo, v4
	v_xor_b32_e32 v51, vcc_hi, v2
	v_xor_b32_e32 v2, vcc_lo, v2
	v_and_b32_e32 v4, v4, v2
	v_lshlrev_b32_e32 v2, 29, v3
	v_cmp_gt_i64_e32 vcc, 0, v[1:2]
	v_not_b32_e32 v2, v2
	v_ashrrev_i32_e32 v2, 31, v2
	v_and_b32_e32 v50, v50, v51
	v_xor_b32_e32 v51, vcc_hi, v2
	v_xor_b32_e32 v2, vcc_lo, v2
	v_and_b32_e32 v4, v4, v2
	v_lshlrev_b32_e32 v2, 28, v3
	v_cmp_gt_i64_e32 vcc, 0, v[1:2]
	v_not_b32_e32 v2, v2
	v_ashrrev_i32_e32 v2, 31, v2
	v_and_b32_e32 v50, v50, v51
	;; [unrolled: 8-line block ×5, first 2 shown]
	v_xor_b32_e32 v51, vcc_hi, v2
	v_xor_b32_e32 v2, vcc_lo, v2
	v_and_b32_e32 v4, v4, v2
	v_lshlrev_b32_e32 v2, 24, v3
	v_cmp_gt_i64_e32 vcc, 0, v[1:2]
	v_not_b32_e32 v1, v2
	v_ashrrev_i32_e32 v1, 31, v1
	v_mad_u32_u24 v28, v3, 20, v20
	v_xor_b32_e32 v2, vcc_hi, v1
	v_xor_b32_e32 v1, vcc_lo, v1
	; wave barrier
	ds_read_b32 v49, v28 offset:16
	v_and_b32_e32 v50, v50, v51
	v_and_b32_e32 v1, v4, v1
	;; [unrolled: 1-line block ×3, first 2 shown]
	v_mbcnt_lo_u32_b32 v3, v1, 0
	v_mbcnt_hi_u32_b32 v51, v2, v3
	v_cmp_ne_u64_e32 vcc, 0, v[1:2]
	v_cmp_eq_u32_e64 s[0:1], 0, v51
	s_and_b64 s[2:3], vcc, s[0:1]
	; wave barrier
	s_and_saveexec_b64 s[0:1], s[2:3]
	s_cbranch_execz .LBB192_173
; %bb.172:
	v_bcnt_u32_b32 v1, v1, 0
	v_bcnt_u32_b32 v1, v2, v1
	s_waitcnt lgkmcnt(0)
	v_add_u32_e32 v1, v49, v1
	ds_write_b32 v28, v1 offset:16
.LBB192_173:
	s_or_b64 exec, exec, s[0:1]
	v_mov_b32_e32 v4, 0x7fff
	v_cmp_gt_i16_e32 vcc, 0, v24
	v_cndmask_b32_e64 v1, v4, 0, vcc
	v_xor_b32_e32 v50, v1, v24
	s_movk_i32 s2, 0x8000
	v_cmp_ne_u16_e32 vcc, s2, v50
	v_cndmask_b32_e32 v1, v4, v50, vcc
	v_lshrrev_b32_sdwa v1, s68, v1 dst_sel:DWORD dst_unused:UNUSED_PAD src0_sel:DWORD src1_sel:WORD_0
	v_and_b32_e32 v3, s9, v1
	v_and_b32_e32 v2, 1, v3
	v_add_co_u32_e32 v53, vcc, -1, v2
	v_addc_co_u32_e64 v54, s[0:1], 0, -1, vcc
	v_cmp_ne_u32_e32 vcc, 0, v2
	v_xor_b32_e32 v2, vcc_hi, v54
	v_mov_b32_e32 v1, 0
	v_and_b32_e32 v54, exec_hi, v2
	v_lshlrev_b32_e32 v2, 30, v3
	v_xor_b32_e32 v53, vcc_lo, v53
	v_cmp_gt_i64_e32 vcc, 0, v[1:2]
	v_not_b32_e32 v2, v2
	v_ashrrev_i32_e32 v2, 31, v2
	v_and_b32_e32 v53, exec_lo, v53
	v_xor_b32_e32 v55, vcc_hi, v2
	v_xor_b32_e32 v2, vcc_lo, v2
	v_and_b32_e32 v53, v53, v2
	v_lshlrev_b32_e32 v2, 29, v3
	v_cmp_gt_i64_e32 vcc, 0, v[1:2]
	v_not_b32_e32 v2, v2
	v_ashrrev_i32_e32 v2, 31, v2
	v_and_b32_e32 v54, v54, v55
	v_xor_b32_e32 v55, vcc_hi, v2
	v_xor_b32_e32 v2, vcc_lo, v2
	v_and_b32_e32 v53, v53, v2
	v_lshlrev_b32_e32 v2, 28, v3
	v_cmp_gt_i64_e32 vcc, 0, v[1:2]
	v_not_b32_e32 v2, v2
	v_ashrrev_i32_e32 v2, 31, v2
	v_and_b32_e32 v54, v54, v55
	;; [unrolled: 8-line block ×5, first 2 shown]
	v_xor_b32_e32 v55, vcc_hi, v2
	v_xor_b32_e32 v2, vcc_lo, v2
	v_and_b32_e32 v53, v53, v2
	v_lshlrev_b32_e32 v2, 24, v3
	v_cmp_gt_i64_e32 vcc, 0, v[1:2]
	v_not_b32_e32 v2, v2
	v_ashrrev_i32_e32 v2, 31, v2
	v_mad_u32_u24 v24, v3, 20, v20
	v_xor_b32_e32 v3, vcc_hi, v2
	v_xor_b32_e32 v2, vcc_lo, v2
	; wave barrier
	ds_read_b32 v52, v24 offset:16
	v_and_b32_e32 v54, v54, v55
	v_and_b32_e32 v2, v53, v2
	;; [unrolled: 1-line block ×3, first 2 shown]
	v_mbcnt_lo_u32_b32 v53, v2, 0
	v_mbcnt_hi_u32_b32 v54, v3, v53
	v_cmp_ne_u64_e32 vcc, 0, v[2:3]
	v_cmp_eq_u32_e64 s[0:1], 0, v54
	s_and_b64 s[4:5], vcc, s[0:1]
	; wave barrier
	s_and_saveexec_b64 s[0:1], s[4:5]
	s_cbranch_execz .LBB192_175
; %bb.174:
	v_bcnt_u32_b32 v2, v2, 0
	v_bcnt_u32_b32 v2, v3, v2
	s_waitcnt lgkmcnt(0)
	v_add_u32_e32 v2, v52, v2
	ds_write_b32 v24, v2 offset:16
.LBB192_175:
	s_or_b64 exec, exec, s[0:1]
	v_cmp_gt_i16_e32 vcc, 0, v17
	v_cndmask_b32_e64 v2, v4, 0, vcc
	v_xor_b32_e32 v53, v2, v17
	v_cmp_ne_u16_e32 vcc, s2, v53
	v_cndmask_b32_e32 v2, v4, v53, vcc
	v_lshrrev_b32_sdwa v2, s68, v2 dst_sel:DWORD dst_unused:UNUSED_PAD src0_sel:DWORD src1_sel:WORD_0
	v_and_b32_e32 v3, s9, v2
	v_and_b32_e32 v2, 1, v3
	v_add_co_u32_e32 v4, vcc, -1, v2
	v_mad_u32_u24 v17, v3, 20, v20
	v_addc_co_u32_e64 v20, s[0:1], 0, -1, vcc
	v_cmp_ne_u32_e32 vcc, 0, v2
	v_xor_b32_e32 v2, vcc_hi, v20
	v_and_b32_e32 v20, exec_hi, v2
	v_lshlrev_b32_e32 v2, 30, v3
	v_xor_b32_e32 v4, vcc_lo, v4
	v_cmp_gt_i64_e32 vcc, 0, v[1:2]
	v_not_b32_e32 v2, v2
	v_ashrrev_i32_e32 v2, 31, v2
	v_and_b32_e32 v4, exec_lo, v4
	v_xor_b32_e32 v56, vcc_hi, v2
	v_xor_b32_e32 v2, vcc_lo, v2
	v_and_b32_e32 v4, v4, v2
	v_lshlrev_b32_e32 v2, 29, v3
	v_cmp_gt_i64_e32 vcc, 0, v[1:2]
	v_not_b32_e32 v2, v2
	v_ashrrev_i32_e32 v2, 31, v2
	v_and_b32_e32 v20, v20, v56
	v_xor_b32_e32 v56, vcc_hi, v2
	v_xor_b32_e32 v2, vcc_lo, v2
	v_and_b32_e32 v4, v4, v2
	v_lshlrev_b32_e32 v2, 28, v3
	v_cmp_gt_i64_e32 vcc, 0, v[1:2]
	v_not_b32_e32 v2, v2
	v_ashrrev_i32_e32 v2, 31, v2
	v_and_b32_e32 v20, v20, v56
	;; [unrolled: 8-line block ×5, first 2 shown]
	v_xor_b32_e32 v56, vcc_hi, v2
	v_xor_b32_e32 v2, vcc_lo, v2
	v_and_b32_e32 v4, v4, v2
	v_lshlrev_b32_e32 v2, 24, v3
	v_cmp_gt_i64_e32 vcc, 0, v[1:2]
	v_not_b32_e32 v1, v2
	v_ashrrev_i32_e32 v1, 31, v1
	v_xor_b32_e32 v2, vcc_hi, v1
	v_xor_b32_e32 v1, vcc_lo, v1
	; wave barrier
	ds_read_b32 v55, v17 offset:16
	v_and_b32_e32 v20, v20, v56
	v_and_b32_e32 v1, v4, v1
	;; [unrolled: 1-line block ×3, first 2 shown]
	v_mbcnt_lo_u32_b32 v3, v1, 0
	v_mbcnt_hi_u32_b32 v56, v2, v3
	v_cmp_ne_u64_e32 vcc, 0, v[1:2]
	v_cmp_eq_u32_e64 s[0:1], 0, v56
	s_and_b64 s[2:3], vcc, s[0:1]
	; wave barrier
	s_and_saveexec_b64 s[0:1], s[2:3]
	s_cbranch_execz .LBB192_177
; %bb.176:
	v_bcnt_u32_b32 v1, v1, 0
	v_bcnt_u32_b32 v1, v2, v1
	s_waitcnt lgkmcnt(0)
	v_add_u32_e32 v1, v55, v1
	ds_write_b32 v17, v1 offset:16
.LBB192_177:
	s_or_b64 exec, exec, s[0:1]
	; wave barrier
	s_waitcnt lgkmcnt(0)
	s_barrier
	ds_read2_b32 v[3:4], v6 offset0:4 offset1:5
	ds_read2_b32 v[1:2], v6 offset0:6 offset1:7
	ds_read_b32 v20, v6 offset:32
	v_min_u32_e32 v9, 0xc0, v9
	v_or_b32_e32 v9, 63, v9
	s_waitcnt lgkmcnt(1)
	v_add3_u32 v57, v4, v3, v1
	s_waitcnt lgkmcnt(0)
	v_add3_u32 v20, v57, v2, v20
	v_and_b32_e32 v57, 15, v8
	v_cmp_ne_u32_e32 vcc, 0, v57
	v_mov_b32_dpp v58, v20 row_shr:1 row_mask:0xf bank_mask:0xf
	v_cndmask_b32_e32 v58, 0, v58, vcc
	v_add_u32_e32 v20, v58, v20
	v_cmp_lt_u32_e32 vcc, 1, v57
	s_nop 0
	v_mov_b32_dpp v58, v20 row_shr:2 row_mask:0xf bank_mask:0xf
	v_cndmask_b32_e32 v58, 0, v58, vcc
	v_add_u32_e32 v20, v20, v58
	v_cmp_lt_u32_e32 vcc, 3, v57
	s_nop 0
	;; [unrolled: 5-line block ×3, first 2 shown]
	v_mov_b32_dpp v58, v20 row_shr:8 row_mask:0xf bank_mask:0xf
	v_cndmask_b32_e32 v57, 0, v58, vcc
	v_add_u32_e32 v20, v20, v57
	v_bfe_i32 v58, v8, 4, 1
	v_cmp_lt_u32_e32 vcc, 31, v8
	v_mov_b32_dpp v57, v20 row_bcast:15 row_mask:0xf bank_mask:0xf
	v_and_b32_e32 v57, v58, v57
	v_add_u32_e32 v20, v20, v57
	s_nop 1
	v_mov_b32_dpp v57, v20 row_bcast:31 row_mask:0xf bank_mask:0xf
	v_cndmask_b32_e32 v57, 0, v57, vcc
	v_add_u32_e32 v20, v20, v57
	v_lshrrev_b32_e32 v57, 6, v0
	v_cmp_eq_u32_e32 vcc, v0, v9
	s_and_saveexec_b64 s[0:1], vcc
; %bb.178:
	v_lshlrev_b32_e32 v9, 2, v57
	ds_write_b32 v9, v20
; %bb.179:
	s_or_b64 exec, exec, s[0:1]
	v_cmp_gt_u32_e32 vcc, 4, v0
	s_waitcnt lgkmcnt(0)
	s_barrier
	s_and_saveexec_b64 s[0:1], vcc
	s_cbranch_execz .LBB192_181
; %bb.180:
	v_lshlrev_b32_e32 v9, 2, v0
	ds_read_b32 v58, v9
	v_and_b32_e32 v59, 3, v8
	v_cmp_ne_u32_e32 vcc, 0, v59
	s_waitcnt lgkmcnt(0)
	v_mov_b32_dpp v60, v58 row_shr:1 row_mask:0xf bank_mask:0xf
	v_cndmask_b32_e32 v60, 0, v60, vcc
	v_add_u32_e32 v58, v60, v58
	v_cmp_lt_u32_e32 vcc, 1, v59
	s_nop 0
	v_mov_b32_dpp v60, v58 row_shr:2 row_mask:0xf bank_mask:0xf
	v_cndmask_b32_e32 v59, 0, v60, vcc
	v_add_u32_e32 v58, v58, v59
	ds_write_b32 v9, v58
.LBB192_181:
	s_or_b64 exec, exec, s[0:1]
	v_cmp_lt_u32_e32 vcc, 63, v0
	v_mov_b32_e32 v9, 0
	s_waitcnt lgkmcnt(0)
	s_barrier
	s_and_saveexec_b64 s[0:1], vcc
; %bb.182:
	v_lshl_add_u32 v9, v57, 2, -4
	ds_read_b32 v9, v9
; %bb.183:
	s_or_b64 exec, exec, s[0:1]
	v_add_u32_e32 v57, -1, v8
	v_and_b32_e32 v58, 64, v8
	v_cmp_lt_i32_e32 vcc, v57, v58
	v_cndmask_b32_e32 v57, v57, v8, vcc
	s_waitcnt lgkmcnt(0)
	v_add_u32_e32 v20, v9, v20
	v_lshlrev_b32_e32 v57, 2, v57
	ds_bpermute_b32 v20, v57, v20
	v_cmp_eq_u32_e32 vcc, 0, v8
	s_movk_i32 s0, 0x100
	s_waitcnt lgkmcnt(0)
	v_cndmask_b32_e32 v9, v20, v9, vcc
	v_cmp_ne_u32_e32 vcc, 0, v0
	v_cndmask_b32_e32 v9, 0, v9, vcc
	v_add_u32_e32 v3, v9, v3
	v_add_u32_e32 v4, v3, v4
	;; [unrolled: 1-line block ×4, first 2 shown]
	ds_write2_b32 v6, v9, v3 offset0:4 offset1:5
	ds_write2_b32 v6, v4, v1 offset0:6 offset1:7
	ds_write_b32 v6, v2 offset:32
	s_waitcnt lgkmcnt(0)
	s_barrier
	ds_read_b32 v2, v43 offset:16
	ds_read_b32 v3, v46 offset:16
	;; [unrolled: 1-line block ×13, first 2 shown]
	v_add_u32_e32 v6, 1, v0
	v_cmp_ne_u32_e32 vcc, s0, v6
	v_mov_b32_e32 v1, 0xc00
	s_and_saveexec_b64 s[0:1], vcc
; %bb.184:
	v_mul_u32_u24_e32 v1, 20, v6
	ds_read_b32 v1, v1 offset:16
; %bb.185:
	s_or_b64 exec, exec, s[0:1]
	s_waitcnt lgkmcnt(7)
	v_add_u32_e32 v28, v10, v11
	s_waitcnt lgkmcnt(6)
	v_add3_u32 v25, v15, v13, v14
	s_waitcnt lgkmcnt(5)
	v_add3_u32 v24, v22, v18, v17
	v_add3_u32 v17, v44, v42, v2
	v_lshlrev_b32_e32 v2, 1, v28
	s_waitcnt lgkmcnt(0)
	s_barrier
	ds_write_b16 v2, v5 offset:2048
	v_lshlrev_b32_e32 v2, 1, v25
	v_add3_u32 v22, v26, v23, v19
	ds_write_b16 v2, v12 offset:2048
	v_lshlrev_b32_e32 v2, 1, v24
	v_add3_u32 v20, v32, v29, v20
	;; [unrolled: 3-line block ×4, first 2 shown]
	ds_write_b16 v2, v27 offset:2048
	v_lshlrev_b32_e32 v2, 1, v19
	ds_write_b16 v2, v31 offset:2048
	v_lshlrev_b32_e32 v2, 1, v18
	v_add3_u32 v15, v48, v45, v3
	ds_write_b16 v2, v36 offset:2048
	v_lshlrev_b32_e32 v2, 1, v17
	v_add3_u32 v14, v51, v49, v4
	;; [unrolled: 3-line block ×4, first 2 shown]
	ds_write_b16 v2, v47 offset:2048
	v_lshlrev_b32_e32 v2, 1, v13
	ds_write_b16 v2, v50 offset:2048
	v_lshlrev_b32_e32 v2, 1, v11
	ds_write_b16 v2, v53 offset:2048
	v_sub_u32_e32 v10, v1, v9
	v_lshl_or_b32 v1, s6, 8, v0
	v_mov_b32_e32 v2, 0
	v_lshlrev_b64 v[3:4], 2, v[1:2]
	v_mov_b32_e32 v12, s73
	v_add_co_u32_e32 v3, vcc, s72, v3
	v_addc_co_u32_e32 v4, vcc, v12, v4, vcc
	v_or_b32_e32 v1, 2.0, v10
	s_mov_b64 s[0:1], 0
	s_brev_b32 s10, -4
	v_mov_b32_e32 v16, 0
	s_waitcnt lgkmcnt(0)
	s_barrier
	global_store_dword v[3:4], v1, off
                                        ; implicit-def: $sgpr2_sgpr3
	s_branch .LBB192_188
.LBB192_186:                            ;   in Loop: Header=BB192_188 Depth=1
	s_or_b64 exec, exec, s[4:5]
.LBB192_187:                            ;   in Loop: Header=BB192_188 Depth=1
	s_or_b64 exec, exec, s[2:3]
	v_and_b32_e32 v5, 0x3fffffff, v1
	v_add_u32_e32 v16, v5, v16
	v_cmp_gt_i32_e64 s[2:3], -2.0, v1
	s_and_b64 s[4:5], exec, s[2:3]
	s_or_b64 s[0:1], s[4:5], s[0:1]
	s_andn2_b64 exec, exec, s[0:1]
	s_cbranch_execz .LBB192_193
.LBB192_188:                            ; =>This Loop Header: Depth=1
                                        ;     Child Loop BB192_191 Depth 2
	s_or_b64 s[2:3], s[2:3], exec
	s_cmp_eq_u32 s7, 0
	s_cbranch_scc1 .LBB192_192
; %bb.189:                              ;   in Loop: Header=BB192_188 Depth=1
	s_add_i32 s7, s7, -1
	v_lshl_or_b32 v1, s7, 8, v0
	v_lshlrev_b64 v[5:6], 2, v[1:2]
	v_add_co_u32_e32 v5, vcc, s72, v5
	v_addc_co_u32_e32 v6, vcc, v12, v6, vcc
	global_load_dword v1, v[5:6], off glc
	s_waitcnt vmcnt(0)
	v_cmp_gt_u32_e32 vcc, 2.0, v1
	s_and_saveexec_b64 s[2:3], vcc
	s_cbranch_execz .LBB192_187
; %bb.190:                              ;   in Loop: Header=BB192_188 Depth=1
	s_mov_b64 s[4:5], 0
.LBB192_191:                            ;   Parent Loop BB192_188 Depth=1
                                        ; =>  This Inner Loop Header: Depth=2
	global_load_dword v1, v[5:6], off glc
	s_waitcnt vmcnt(0)
	v_cmp_lt_u32_e32 vcc, s10, v1
	s_or_b64 s[4:5], vcc, s[4:5]
	s_andn2_b64 exec, exec, s[4:5]
	s_cbranch_execnz .LBB192_191
	s_branch .LBB192_186
.LBB192_192:                            ;   in Loop: Header=BB192_188 Depth=1
                                        ; implicit-def: $sgpr7
	s_and_b64 s[4:5], exec, s[2:3]
	s_or_b64 s[0:1], s[4:5], s[0:1]
	s_andn2_b64 exec, exec, s[0:1]
	s_cbranch_execnz .LBB192_188
.LBB192_193:
	s_or_b64 exec, exec, s[0:1]
	v_add_u32_e32 v2, v16, v10
	v_or_b32_e32 v2, 0x80000000, v2
	v_lshlrev_b32_e32 v1, 3, v0
	global_store_dword v[3:4], v2, off
	global_load_dwordx2 v[2:3], v1, s[64:65]
	v_sub_co_u32_e32 v4, vcc, v16, v9
	v_subb_co_u32_e64 v5, s[0:1], 0, 0, vcc
	s_movk_i32 s0, 0x8000
	v_mad_i32_i24 v47, v0, -6, v1
	v_mov_b32_e32 v6, 0x7fff
	v_mov_b32_e32 v12, s59
	;; [unrolled: 1-line block ×4, first 2 shown]
	v_lshlrev_b32_e32 v16, 1, v0
	v_or_b32_e32 v55, 0x800, v0
	v_or_b32_e32 v56, 0x900, v0
	;; [unrolled: 1-line block ×4, first 2 shown]
	v_mad_u32_u24 v0, v0, 6, v47
	s_waitcnt vmcnt(0)
	v_add_co_u32_e32 v2, vcc, v4, v2
	v_addc_co_u32_e32 v3, vcc, v5, v3, vcc
	ds_write_b64 v1, v[2:3]
	s_waitcnt lgkmcnt(0)
	s_barrier
	ds_read_u16 v2, v47 offset:2048
	ds_read_u16 v3, v47 offset:2560
	;; [unrolled: 1-line block ×8, first 2 shown]
	s_waitcnt lgkmcnt(7)
	v_cmp_ne_u16_e32 vcc, s0, v2
	v_cndmask_b32_e32 v5, v6, v2, vcc
	v_cmp_gt_i16_e32 vcc, 0, v2
	v_cndmask_b32_e64 v26, v6, 0, vcc
	s_waitcnt lgkmcnt(6)
	v_cmp_ne_u16_e32 vcc, s0, v3
	v_cndmask_b32_e32 v27, v6, v3, vcc
	v_cmp_gt_i16_e32 vcc, 0, v3
	v_cndmask_b32_e64 v29, v6, 0, vcc
	s_waitcnt lgkmcnt(5)
	v_cmp_ne_u16_e32 vcc, s0, v4
	v_cndmask_b32_e32 v30, v6, v4, vcc
	v_cmp_gt_i16_e32 vcc, 0, v4
	v_cndmask_b32_e64 v31, v6, 0, vcc
	s_waitcnt lgkmcnt(4)
	v_cmp_ne_u16_e32 vcc, s0, v33
	v_cndmask_b32_e32 v32, v6, v33, vcc
	s_waitcnt lgkmcnt(3)
	v_cmp_ne_u16_e32 vcc, s0, v34
	v_cndmask_b32_e32 v38, v6, v34, vcc
	v_xor_b32_e32 v39, v26, v2
	v_lshrrev_b32_sdwa v2, s68, v27 dst_sel:DWORD dst_unused:UNUSED_PAD src0_sel:DWORD src1_sel:WORD_0
	v_lshrrev_b32_sdwa v5, s68, v5 dst_sel:DWORD dst_unused:UNUSED_PAD src0_sel:DWORD src1_sel:WORD_0
	v_xor_b32_e32 v40, v29, v3
	v_lshrrev_b32_sdwa v3, s68, v30 dst_sel:DWORD dst_unused:UNUSED_PAD src0_sel:DWORD src1_sel:WORD_0
	v_xor_b32_e32 v41, v31, v4
	v_lshrrev_b32_sdwa v4, s68, v32 dst_sel:DWORD dst_unused:UNUSED_PAD src0_sel:DWORD src1_sel:WORD_0
	v_lshrrev_b32_sdwa v26, s68, v38 dst_sel:DWORD dst_unused:UNUSED_PAD src0_sel:DWORD src1_sel:WORD_0
	v_and_b32_e32 v2, s9, v2
	v_and_b32_e32 v5, s9, v5
	v_and_b32_e32 v3, s9, v3
	v_and_b32_e32 v4, s9, v4
	v_and_b32_e32 v26, s9, v26
	v_lshlrev_b32_e32 v49, 3, v2
	v_lshlrev_b32_e32 v48, 3, v5
	;; [unrolled: 1-line block ×5, first 2 shown]
	ds_read_b64 v[2:3], v49
	ds_read_b64 v[4:5], v50
	;; [unrolled: 1-line block ×5, first 2 shown]
	ds_read_u16 v38, v47 offset:6144
	ds_read_u16 v42, v47 offset:6656
	;; [unrolled: 1-line block ×4, first 2 shown]
	s_waitcnt lgkmcnt(4)
	v_lshlrev_b64 v[31:32], 1, v[31:32]
	v_lshlrev_b64 v[2:3], 1, v[2:3]
	v_add_co_u32_e32 v31, vcc, s58, v31
	v_addc_co_u32_e32 v12, vcc, v12, v32, vcc
	v_lshlrev_b64 v[4:5], 1, v[4:5]
	v_add_co_u32_e32 v32, vcc, s58, v2
	v_addc_co_u32_e32 v21, vcc, v21, v3, vcc
	v_add_co_u32_e32 v45, vcc, s58, v4
	v_addc_co_u32_e32 v23, vcc, v23, v5, vcc
	;; [unrolled: 2-line block ×4, first 2 shown]
	global_store_short v[2:3], v39, off
	global_store_short v[4:5], v40, off offset:512
	v_add_co_u32_e32 v2, vcc, v45, v16
	v_addc_co_u32_e32 v3, vcc, 0, v23, vcc
	v_cmp_gt_i16_e32 vcc, 0, v33
	global_store_short v[2:3], v41, off offset:1024
	v_cndmask_b32_e64 v2, v6, 0, vcc
	v_xor_b32_e32 v4, v2, v33
	v_lshlrev_b64 v[2:3], 1, v[26:27]
	v_mov_b32_e32 v5, s59
	v_add_co_u32_e32 v2, vcc, s58, v2
	v_addc_co_u32_e32 v3, vcc, v5, v3, vcc
	v_add_co_u32_e32 v2, vcc, v2, v16
	v_addc_co_u32_e32 v3, vcc, 0, v3, vcc
	v_cmp_gt_i16_e32 vcc, 0, v34
	global_store_short v[2:3], v4, off offset:1536
	v_cndmask_b32_e64 v2, v6, 0, vcc
	v_xor_b32_e32 v4, v2, v34
	v_lshlrev_b64 v[2:3], 1, v[29:30]
	v_mov_b32_e32 v31, s59
	v_add_co_u32_e32 v2, vcc, s58, v2
	v_addc_co_u32_e32 v3, vcc, v5, v3, vcc
	v_add_co_u32_e32 v2, vcc, v2, v16
	v_addc_co_u32_e32 v3, vcc, 0, v3, vcc
	v_cmp_ne_u16_e32 vcc, s0, v35
	global_store_short v[2:3], v4, off offset:2048
	v_cndmask_b32_e32 v2, v6, v35, vcc
	v_lshrrev_b32_sdwa v2, s68, v2 dst_sel:DWORD dst_unused:UNUSED_PAD src0_sel:DWORD src1_sel:WORD_0
	v_and_b32_e32 v2, s9, v2
	v_cmp_gt_i16_e32 vcc, 0, v35
	v_cndmask_b32_e64 v3, v6, 0, vcc
	v_lshlrev_b32_e32 v21, 3, v2
	v_xor_b32_e32 v12, v3, v35
	ds_read_b64 v[2:3], v21
	v_cmp_ne_u16_e32 vcc, s0, v36
	v_cndmask_b32_e32 v4, v6, v36, vcc
	v_lshrrev_b32_sdwa v4, s68, v4 dst_sel:DWORD dst_unused:UNUSED_PAD src0_sel:DWORD src1_sel:WORD_0
	v_and_b32_e32 v4, s9, v4
	v_cmp_ne_u16_e32 vcc, s0, v37
	v_lshlrev_b32_e32 v23, 3, v4
	v_cndmask_b32_e32 v4, v6, v37, vcc
	v_lshrrev_b32_sdwa v4, s68, v4 dst_sel:DWORD dst_unused:UNUSED_PAD src0_sel:DWORD src1_sel:WORD_0
	s_waitcnt lgkmcnt(0)
	v_lshlrev_b64 v[2:3], 1, v[2:3]
	v_and_b32_e32 v4, s9, v4
	v_cmp_ne_u16_e32 vcc, s0, v38
	v_lshlrev_b32_e32 v53, 3, v4
	v_cndmask_b32_e32 v4, v6, v38, vcc
	v_add_co_u32_e32 v2, vcc, s58, v2
	v_lshrrev_b32_sdwa v4, s68, v4 dst_sel:DWORD dst_unused:UNUSED_PAD src0_sel:DWORD src1_sel:WORD_0
	v_addc_co_u32_e32 v3, vcc, v31, v3, vcc
	v_and_b32_e32 v4, s9, v4
	v_add_co_u32_e32 v2, vcc, v2, v16
	v_lshlrev_b32_e32 v54, 3, v4
	ds_read_b64 v[4:5], v23
	ds_read_b64 v[26:27], v53
	;; [unrolled: 1-line block ×3, first 2 shown]
	v_addc_co_u32_e32 v3, vcc, 0, v3, vcc
	v_cmp_gt_i16_e32 vcc, 0, v36
	global_store_short v[2:3], v12, off offset:2560
	v_cndmask_b32_e64 v2, v6, 0, vcc
	v_xor_b32_e32 v12, v2, v36
	s_waitcnt lgkmcnt(2)
	v_lshlrev_b64 v[2:3], 1, v[4:5]
	v_mov_b32_e32 v4, s59
	v_add_co_u32_e32 v2, vcc, s58, v2
	v_addc_co_u32_e32 v3, vcc, v4, v3, vcc
	v_add_co_u32_e32 v2, vcc, v2, v16
	v_addc_co_u32_e32 v3, vcc, 0, v3, vcc
	v_cmp_gt_i16_e32 vcc, 0, v37
	global_store_short v[2:3], v12, off offset:3072
	v_cndmask_b32_e64 v2, v6, 0, vcc
	v_xor_b32_e32 v4, v2, v37
	s_waitcnt lgkmcnt(1)
	v_lshlrev_b64 v[2:3], 1, v[26:27]
	v_mov_b32_e32 v5, s59
	v_add_co_u32_e32 v2, vcc, s58, v2
	v_addc_co_u32_e32 v3, vcc, v5, v3, vcc
	v_add_co_u32_e32 v2, vcc, v2, v16
	v_addc_co_u32_e32 v3, vcc, 0, v3, vcc
	v_cmp_gt_i16_e32 vcc, 0, v38
	global_store_short v[2:3], v4, off offset:3584
	v_cndmask_b32_e64 v2, v6, 0, vcc
	v_xor_b32_e32 v4, v2, v38
	s_waitcnt lgkmcnt(0)
	v_lshlrev_b64 v[2:3], 1, v[29:30]
	v_mov_b32_e32 v16, s59
	v_add_co_u32_e32 v2, vcc, s58, v2
	v_addc_co_u32_e32 v3, vcc, v5, v3, vcc
	v_lshlrev_b32_e32 v5, 1, v55
	v_add_co_u32_e32 v2, vcc, v2, v5
	v_addc_co_u32_e32 v3, vcc, 0, v3, vcc
	v_cmp_ne_u16_e32 vcc, s0, v42
	global_store_short v[2:3], v4, off
	v_cndmask_b32_e32 v2, v6, v42, vcc
	v_lshrrev_b32_sdwa v2, s68, v2 dst_sel:DWORD dst_unused:UNUSED_PAD src0_sel:DWORD src1_sel:WORD_0
	v_and_b32_e32 v2, s9, v2
	v_cmp_gt_i16_e32 vcc, 0, v42
	v_cndmask_b32_e64 v3, v6, 0, vcc
	v_lshlrev_b32_e32 v57, 3, v2
	v_xor_b32_e32 v12, v3, v42
	ds_read_b64 v[2:3], v57
	v_cmp_ne_u16_e32 vcc, s0, v43
	v_cndmask_b32_e32 v4, v6, v43, vcc
	v_lshrrev_b32_sdwa v4, s68, v4 dst_sel:DWORD dst_unused:UNUSED_PAD src0_sel:DWORD src1_sel:WORD_0
	v_and_b32_e32 v4, s9, v4
	v_cmp_ne_u16_e32 vcc, s0, v44
	s_waitcnt lgkmcnt(0)
	v_lshlrev_b64 v[2:3], 1, v[2:3]
	v_lshlrev_b32_e32 v58, 3, v4
	v_cndmask_b32_e32 v4, v6, v44, vcc
	v_lshrrev_b32_sdwa v4, s68, v4 dst_sel:DWORD dst_unused:UNUSED_PAD src0_sel:DWORD src1_sel:WORD_0
	v_add_co_u32_e32 v2, vcc, s58, v2
	v_and_b32_e32 v4, s9, v4
	v_addc_co_u32_e32 v3, vcc, v16, v3, vcc
	v_lshlrev_b32_e32 v16, 1, v56
	v_lshlrev_b32_e32 v59, 3, v4
	ds_read_b64 v[4:5], v58
	ds_read_b64 v[26:27], v59
	v_add_co_u32_e32 v2, vcc, v2, v16
	v_addc_co_u32_e32 v3, vcc, 0, v3, vcc
	v_cmp_gt_i16_e32 vcc, 0, v43
	global_store_short v[2:3], v12, off
	v_cndmask_b32_e64 v2, v6, 0, vcc
	v_xor_b32_e32 v12, v2, v43
	s_waitcnt lgkmcnt(1)
	v_lshlrev_b64 v[2:3], 1, v[4:5]
	v_mov_b32_e32 v4, s59
	v_add_co_u32_e32 v2, vcc, s58, v2
	v_addc_co_u32_e32 v3, vcc, v4, v3, vcc
	v_lshlrev_b32_e32 v4, 1, v60
	v_add_co_u32_e32 v2, vcc, v2, v4
	v_addc_co_u32_e32 v3, vcc, 0, v3, vcc
	v_cmp_gt_i16_e32 vcc, 0, v44
	global_store_short v[2:3], v12, off
	v_cndmask_b32_e64 v2, v6, 0, vcc
	v_xor_b32_e32 v4, v2, v44
	s_waitcnt lgkmcnt(0)
	v_lshlrev_b64 v[2:3], 1, v[26:27]
	v_mov_b32_e32 v5, s59
	v_add_co_u32_e32 v2, vcc, s58, v2
	v_addc_co_u32_e32 v3, vcc, v5, v3, vcc
	v_lshlrev_b32_e32 v5, 1, v61
	v_add_co_u32_e32 v2, vcc, v2, v5
	s_lshl_b64 s[0:1], s[54:55], 3
	v_addc_co_u32_e32 v3, vcc, 0, v3, vcc
	s_add_u32 s0, s60, s0
	global_store_short v[2:3], v4, off
	s_addc_u32 s1, s61, s1
	v_lshlrev_b32_e32 v2, 3, v8
	v_mov_b32_e32 v3, s1
	v_add_co_u32_e32 v2, vcc, s0, v2
	v_addc_co_u32_e32 v3, vcc, 0, v3, vcc
	v_lshlrev_b32_e32 v4, 3, v7
	v_add_co_u32_e32 v2, vcc, v2, v4
	v_addc_co_u32_e32 v3, vcc, 0, v3, vcc
	global_load_dwordx2 v[4:5], v[2:3], off
	global_load_dwordx2 v[6:7], v[2:3], off offset:512
	global_load_dwordx2 v[26:27], v[2:3], off offset:1024
	;; [unrolled: 1-line block ×7, first 2 shown]
	s_movk_i32 s0, 0x1000
	v_add_co_u32_e32 v2, vcc, s0, v2
	v_addc_co_u32_e32 v3, vcc, 0, v3, vcc
	global_load_dwordx2 v[39:40], v[2:3], off
	global_load_dwordx2 v[41:42], v[2:3], off offset:512
	global_load_dwordx2 v[43:44], v[2:3], off offset:1024
	;; [unrolled: 1-line block ×3, first 2 shown]
	v_lshlrev_b32_e32 v2, 3, v28
	s_waitcnt vmcnt(0)
	s_barrier
	v_mov_b32_e32 v8, s63
	s_add_i32 s8, s8, -1
	s_cmp_lg_u32 s6, s8
	ds_write_b64 v2, v[4:5] offset:2048
	v_lshlrev_b32_e32 v2, 3, v25
	ds_write_b64 v2, v[6:7] offset:2048
	v_lshlrev_b32_e32 v2, 3, v24
	;; [unrolled: 2-line block ×11, first 2 shown]
	ds_write_b64 v2, v[45:46] offset:2048
	s_waitcnt lgkmcnt(0)
	s_barrier
	ds_read_b64 v[6:7], v48
	ds_read2st64_b64 v[2:5], v0 offset0:4 offset1:8
	ds_read_b64 v[11:12], v49
	ds_read_b64 v[13:14], v50
	;; [unrolled: 1-line block ×3, first 2 shown]
	s_waitcnt lgkmcnt(4)
	v_lshlrev_b64 v[6:7], 3, v[6:7]
	v_add_co_u32_e32 v6, vcc, s62, v6
	v_addc_co_u32_e32 v7, vcc, v8, v7, vcc
	v_add_co_u32_e32 v6, vcc, v6, v1
	v_addc_co_u32_e32 v7, vcc, 0, v7, vcc
	s_waitcnt lgkmcnt(3)
	global_store_dwordx2 v[6:7], v[2:3], off
	s_waitcnt lgkmcnt(2)
	v_lshlrev_b64 v[2:3], 3, v[11:12]
	v_mov_b32_e32 v6, s63
	v_add_co_u32_e32 v2, vcc, s62, v2
	v_addc_co_u32_e32 v3, vcc, v6, v3, vcc
	v_add_co_u32_e32 v2, vcc, v2, v1
	v_addc_co_u32_e32 v3, vcc, 0, v3, vcc
	s_waitcnt lgkmcnt(1)
	v_lshlrev_b64 v[6:7], 3, v[13:14]
	global_store_dwordx2 v[2:3], v[4:5], off offset:2048
	ds_read2st64_b64 v[2:5], v0 offset0:12 offset1:16
	v_add_co_u32_e32 v6, vcc, s62, v6
	v_addc_co_u32_e32 v7, vcc, v8, v7, vcc
	v_or_b32_e32 v8, 0x1000, v1
	v_add_co_u32_e32 v6, vcc, v6, v8
	v_addc_co_u32_e32 v7, vcc, 0, v7, vcc
	s_waitcnt lgkmcnt(0)
	global_store_dwordx2 v[6:7], v[2:3], off
	v_lshlrev_b64 v[2:3], 3, v[15:16]
	v_mov_b32_e32 v6, s63
	v_add_co_u32_e32 v2, vcc, s62, v2
	v_addc_co_u32_e32 v3, vcc, v6, v3, vcc
	v_or_b32_e32 v6, 0x1800, v1
	v_add_co_u32_e32 v2, vcc, v2, v6
	v_addc_co_u32_e32 v3, vcc, 0, v3, vcc
	global_store_dwordx2 v[2:3], v[4:5], off
	ds_read_b64 v[6:7], v52
	ds_read2st64_b64 v[2:5], v0 offset0:20 offset1:24
	ds_read_b64 v[11:12], v21
	ds_read_b64 v[13:14], v23
	;; [unrolled: 1-line block ×3, first 2 shown]
	s_waitcnt lgkmcnt(4)
	v_lshlrev_b64 v[6:7], 3, v[6:7]
	v_mov_b32_e32 v8, s63
	v_add_co_u32_e32 v6, vcc, s62, v6
	v_addc_co_u32_e32 v7, vcc, v8, v7, vcc
	v_or_b32_e32 v8, 0x2000, v1
	v_add_co_u32_e32 v6, vcc, v6, v8
	v_addc_co_u32_e32 v7, vcc, 0, v7, vcc
	s_waitcnt lgkmcnt(3)
	global_store_dwordx2 v[6:7], v[2:3], off
	s_waitcnt lgkmcnt(2)
	v_lshlrev_b64 v[2:3], 3, v[11:12]
	v_mov_b32_e32 v6, s63
	v_add_co_u32_e32 v2, vcc, s62, v2
	v_addc_co_u32_e32 v3, vcc, v6, v3, vcc
	v_or_b32_e32 v6, 0x2800, v1
	v_add_co_u32_e32 v2, vcc, v2, v6
	v_addc_co_u32_e32 v3, vcc, 0, v3, vcc
	s_waitcnt lgkmcnt(1)
	v_lshlrev_b64 v[6:7], 3, v[13:14]
	global_store_dwordx2 v[2:3], v[4:5], off
	ds_read2st64_b64 v[2:5], v0 offset0:28 offset1:32
	v_mov_b32_e32 v8, s63
	v_add_co_u32_e32 v6, vcc, s62, v6
	v_addc_co_u32_e32 v7, vcc, v8, v7, vcc
	v_or_b32_e32 v8, 0x3000, v1
	v_add_co_u32_e32 v6, vcc, v6, v8
	v_addc_co_u32_e32 v7, vcc, 0, v7, vcc
	s_waitcnt lgkmcnt(0)
	global_store_dwordx2 v[6:7], v[2:3], off
	v_lshlrev_b64 v[2:3], 3, v[15:16]
	v_mov_b32_e32 v6, s63
	v_add_co_u32_e32 v2, vcc, s62, v2
	v_addc_co_u32_e32 v3, vcc, v6, v3, vcc
	v_or_b32_e32 v6, 0x3800, v1
	v_add_co_u32_e32 v2, vcc, v2, v6
	v_addc_co_u32_e32 v3, vcc, 0, v3, vcc
	global_store_dwordx2 v[2:3], v[4:5], off
	ds_read_b64 v[6:7], v54
	ds_read2st64_b64 v[2:5], v0 offset0:36 offset1:40
	ds_read_b64 v[11:12], v57
	ds_read_b64 v[13:14], v58
	;; [unrolled: 1-line block ×3, first 2 shown]
	s_waitcnt lgkmcnt(4)
	v_lshlrev_b64 v[6:7], 3, v[6:7]
	v_mov_b32_e32 v8, s63
	v_add_co_u32_e32 v6, vcc, s62, v6
	v_addc_co_u32_e32 v7, vcc, v8, v7, vcc
	v_lshlrev_b32_e32 v8, 3, v55
	v_add_co_u32_e32 v6, vcc, v6, v8
	v_addc_co_u32_e32 v7, vcc, 0, v7, vcc
	s_waitcnt lgkmcnt(3)
	global_store_dwordx2 v[6:7], v[2:3], off
	s_waitcnt lgkmcnt(2)
	v_lshlrev_b64 v[2:3], 3, v[11:12]
	v_mov_b32_e32 v6, s63
	v_add_co_u32_e32 v2, vcc, s62, v2
	v_addc_co_u32_e32 v3, vcc, v6, v3, vcc
	v_lshlrev_b32_e32 v6, 3, v56
	v_add_co_u32_e32 v2, vcc, v2, v6
	v_addc_co_u32_e32 v3, vcc, 0, v3, vcc
	s_waitcnt lgkmcnt(1)
	v_lshlrev_b64 v[6:7], 3, v[13:14]
	global_store_dwordx2 v[2:3], v[4:5], off
	ds_read2st64_b64 v[2:5], v0 offset0:44 offset1:48
	v_mov_b32_e32 v0, s63
	v_add_co_u32_e32 v6, vcc, s62, v6
	v_addc_co_u32_e32 v0, vcc, v0, v7, vcc
	v_lshlrev_b32_e32 v7, 3, v60
	v_add_co_u32_e32 v6, vcc, v6, v7
	v_addc_co_u32_e32 v7, vcc, 0, v0, vcc
	s_waitcnt lgkmcnt(0)
	global_store_dwordx2 v[6:7], v[2:3], off
	v_lshlrev_b64 v[2:3], 3, v[15:16]
	v_mov_b32_e32 v0, s63
	v_add_co_u32_e32 v2, vcc, s62, v2
	v_addc_co_u32_e32 v0, vcc, v0, v3, vcc
	v_lshlrev_b32_e32 v3, 3, v61
	v_add_co_u32_e32 v2, vcc, v2, v3
	v_addc_co_u32_e32 v3, vcc, 0, v0, vcc
	global_store_dwordx2 v[2:3], v[4:5], off
	s_cbranch_scc1 .LBB192_195
; %bb.194:
	ds_read_b64 v[2:3], v1
	v_add_co_u32_e32 v0, vcc, v10, v9
	v_addc_co_u32_e64 v4, s[0:1], 0, 0, vcc
	s_waitcnt lgkmcnt(0)
	v_add_co_u32_e32 v2, vcc, v0, v2
	v_addc_co_u32_e32 v3, vcc, v4, v3, vcc
	global_store_dwordx2 v1, v[2:3], s[66:67]
.LBB192_195:
	s_endpgm
.LBB192_196:
	s_or_b64 exec, exec, s[0:1]
	s_and_saveexec_b64 s[0:1], s[26:27]
	s_cbranch_execz .LBB192_139
.LBB192_197:
	v_lshlrev_b32_e32 v3, 3, v60
	ds_read_b64 v[3:4], v3
	ds_read_b64 v[5:6], v32 offset:4096
	v_mov_b32_e32 v7, s63
	s_waitcnt lgkmcnt(1)
	v_lshlrev_b64 v[3:4], 3, v[3:4]
	v_add_co_u32_e32 v3, vcc, s62, v3
	v_addc_co_u32_e32 v4, vcc, v7, v4, vcc
	v_add_co_u32_e32 v3, vcc, v3, v32
	v_addc_co_u32_e32 v4, vcc, 0, v4, vcc
	s_waitcnt lgkmcnt(0)
	global_store_dwordx2 v[3:4], v[5:6], off offset:2048
	s_or_b64 exec, exec, s[0:1]
	s_and_saveexec_b64 s[0:1], s[28:29]
	s_cbranch_execnz .LBB192_140
.LBB192_198:
	s_or_b64 exec, exec, s[0:1]
	s_and_saveexec_b64 s[0:1], s[30:31]
	s_cbranch_execz .LBB192_141
.LBB192_199:
	v_lshlrev_b32_e32 v3, 3, v58
	ds_read_b64 v[3:4], v3
	ds_read_b64 v[5:6], v32 offset:8192
	v_mov_b32_e32 v7, s63
	s_waitcnt lgkmcnt(1)
	v_lshlrev_b64 v[3:4], 3, v[3:4]
	v_add_co_u32_e32 v3, vcc, s62, v3
	v_addc_co_u32_e32 v4, vcc, v7, v4, vcc
	v_lshlrev_b32_e32 v7, 3, v46
	v_add_co_u32_e32 v3, vcc, v3, v7
	v_addc_co_u32_e32 v4, vcc, 0, v4, vcc
	s_waitcnt lgkmcnt(0)
	global_store_dwordx2 v[3:4], v[5:6], off
	s_or_b64 exec, exec, s[0:1]
	s_and_saveexec_b64 s[0:1], s[34:35]
	s_cbranch_execnz .LBB192_142
.LBB192_200:
	s_or_b64 exec, exec, s[0:1]
	s_and_saveexec_b64 s[0:1], s[36:37]
	s_cbranch_execz .LBB192_143
.LBB192_201:
	v_lshlrev_b32_e32 v3, 3, v56
	ds_read_b64 v[3:4], v3
	ds_read_b64 v[5:6], v32 offset:12288
	v_mov_b32_e32 v7, s63
	s_waitcnt lgkmcnt(1)
	v_lshlrev_b64 v[3:4], 3, v[3:4]
	v_add_co_u32_e32 v3, vcc, s62, v3
	v_addc_co_u32_e32 v4, vcc, v7, v4, vcc
	v_lshlrev_b32_e32 v7, 3, v48
	v_add_co_u32_e32 v3, vcc, v3, v7
	v_addc_co_u32_e32 v4, vcc, 0, v4, vcc
	s_waitcnt lgkmcnt(0)
	global_store_dwordx2 v[3:4], v[5:6], off
	s_or_b64 exec, exec, s[0:1]
	s_and_saveexec_b64 s[0:1], s[38:39]
	s_cbranch_execnz .LBB192_144
.LBB192_202:
	s_or_b64 exec, exec, s[0:1]
	s_and_saveexec_b64 s[0:1], s[40:41]
	s_cbranch_execz .LBB192_145
.LBB192_203:
	v_lshlrev_b32_e32 v3, 3, v55
	ds_read_b64 v[3:4], v3
	ds_read_b64 v[5:6], v32 offset:16384
	v_mov_b32_e32 v7, s63
	s_waitcnt lgkmcnt(1)
	v_lshlrev_b64 v[3:4], 3, v[3:4]
	v_add_co_u32_e32 v3, vcc, s62, v3
	v_addc_co_u32_e32 v4, vcc, v7, v4, vcc
	v_lshlrev_b32_e32 v7, 3, v50
	v_add_co_u32_e32 v3, vcc, v3, v7
	v_addc_co_u32_e32 v4, vcc, 0, v4, vcc
	s_waitcnt lgkmcnt(0)
	global_store_dwordx2 v[3:4], v[5:6], off
	s_or_b64 exec, exec, s[0:1]
	s_and_saveexec_b64 s[0:1], s[42:43]
	s_cbranch_execnz .LBB192_146
.LBB192_204:
	s_or_b64 exec, exec, s[0:1]
	s_and_saveexec_b64 s[0:1], s[44:45]
	s_cbranch_execz .LBB192_147
.LBB192_205:
	v_lshlrev_b32_e32 v3, 3, v28
	ds_read_b64 v[3:4], v3
	ds_read_b64 v[5:6], v32 offset:20480
	v_mov_b32_e32 v7, s63
	s_waitcnt lgkmcnt(1)
	v_lshlrev_b64 v[3:4], 3, v[3:4]
	v_add_co_u32_e32 v3, vcc, s62, v3
	v_addc_co_u32_e32 v4, vcc, v7, v4, vcc
	v_lshlrev_b32_e32 v7, 3, v52
	v_add_co_u32_e32 v3, vcc, v3, v7
	v_addc_co_u32_e32 v4, vcc, 0, v4, vcc
	s_waitcnt lgkmcnt(0)
	global_store_dwordx2 v[3:4], v[5:6], off
	s_or_b64 exec, exec, s[0:1]
	s_and_saveexec_b64 s[0:1], s[46:47]
	s_cbranch_execnz .LBB192_148
.LBB192_206:
	s_or_b64 exec, exec, s[0:1]
	s_and_saveexec_b64 s[0:1], s[48:49]
	s_cbranch_execz .LBB192_149
.LBB192_207:
	v_lshlrev_b32_e32 v3, 3, v27
	ds_read_b64 v[3:4], v3
	ds_read_b64 v[5:6], v32 offset:24576
	v_mov_b32_e32 v7, s63
	s_waitcnt lgkmcnt(1)
	v_lshlrev_b64 v[3:4], 3, v[3:4]
	v_add_co_u32_e32 v3, vcc, s62, v3
	v_addc_co_u32_e32 v4, vcc, v7, v4, vcc
	v_lshlrev_b32_e32 v7, 3, v54
	v_add_co_u32_e32 v3, vcc, v3, v7
	v_addc_co_u32_e32 v4, vcc, 0, v4, vcc
	s_waitcnt lgkmcnt(0)
	global_store_dwordx2 v[3:4], v[5:6], off
	s_or_b64 exec, exec, s[0:1]
	s_add_i32 s33, s33, -1
	s_cmp_eq_u32 s6, s33
	s_cbranch_scc1 .LBB192_150
	s_branch .LBB192_151
	.section	.rodata,"a",@progbits
	.p2align	6, 0x0
	.amdhsa_kernel _ZN7rocprim17ROCPRIM_304000_NS6detail25onesweep_iteration_kernelINS1_34wrapped_radix_sort_onesweep_configINS0_14default_configE6__halfN2at4cuda3cub6detail10OpaqueTypeILi8EEEEELb1EPS5_SD_PSB_SE_mNS0_19identity_decomposerEEEvT1_T2_T3_T4_jPT5_SL_PNS1_23onesweep_lookback_stateET6_jjj
		.amdhsa_group_segment_fixed_size 26624
		.amdhsa_private_segment_fixed_size 0
		.amdhsa_kernarg_size 336
		.amdhsa_user_sgpr_count 6
		.amdhsa_user_sgpr_private_segment_buffer 1
		.amdhsa_user_sgpr_dispatch_ptr 0
		.amdhsa_user_sgpr_queue_ptr 0
		.amdhsa_user_sgpr_kernarg_segment_ptr 1
		.amdhsa_user_sgpr_dispatch_id 0
		.amdhsa_user_sgpr_flat_scratch_init 0
		.amdhsa_user_sgpr_private_segment_size 0
		.amdhsa_uses_dynamic_stack 0
		.amdhsa_system_sgpr_private_segment_wavefront_offset 0
		.amdhsa_system_sgpr_workgroup_id_x 1
		.amdhsa_system_sgpr_workgroup_id_y 0
		.amdhsa_system_sgpr_workgroup_id_z 0
		.amdhsa_system_sgpr_workgroup_info 0
		.amdhsa_system_vgpr_workitem_id 2
		.amdhsa_next_free_vgpr 85
		.amdhsa_next_free_sgpr 98
		.amdhsa_reserve_vcc 1
		.amdhsa_reserve_flat_scratch 0
		.amdhsa_float_round_mode_32 0
		.amdhsa_float_round_mode_16_64 0
		.amdhsa_float_denorm_mode_32 3
		.amdhsa_float_denorm_mode_16_64 3
		.amdhsa_dx10_clamp 1
		.amdhsa_ieee_mode 1
		.amdhsa_fp16_overflow 0
		.amdhsa_exception_fp_ieee_invalid_op 0
		.amdhsa_exception_fp_denorm_src 0
		.amdhsa_exception_fp_ieee_div_zero 0
		.amdhsa_exception_fp_ieee_overflow 0
		.amdhsa_exception_fp_ieee_underflow 0
		.amdhsa_exception_fp_ieee_inexact 0
		.amdhsa_exception_int_div_zero 0
	.end_amdhsa_kernel
	.section	.text._ZN7rocprim17ROCPRIM_304000_NS6detail25onesweep_iteration_kernelINS1_34wrapped_radix_sort_onesweep_configINS0_14default_configE6__halfN2at4cuda3cub6detail10OpaqueTypeILi8EEEEELb1EPS5_SD_PSB_SE_mNS0_19identity_decomposerEEEvT1_T2_T3_T4_jPT5_SL_PNS1_23onesweep_lookback_stateET6_jjj,"axG",@progbits,_ZN7rocprim17ROCPRIM_304000_NS6detail25onesweep_iteration_kernelINS1_34wrapped_radix_sort_onesweep_configINS0_14default_configE6__halfN2at4cuda3cub6detail10OpaqueTypeILi8EEEEELb1EPS5_SD_PSB_SE_mNS0_19identity_decomposerEEEvT1_T2_T3_T4_jPT5_SL_PNS1_23onesweep_lookback_stateET6_jjj,comdat
.Lfunc_end192:
	.size	_ZN7rocprim17ROCPRIM_304000_NS6detail25onesweep_iteration_kernelINS1_34wrapped_radix_sort_onesweep_configINS0_14default_configE6__halfN2at4cuda3cub6detail10OpaqueTypeILi8EEEEELb1EPS5_SD_PSB_SE_mNS0_19identity_decomposerEEEvT1_T2_T3_T4_jPT5_SL_PNS1_23onesweep_lookback_stateET6_jjj, .Lfunc_end192-_ZN7rocprim17ROCPRIM_304000_NS6detail25onesweep_iteration_kernelINS1_34wrapped_radix_sort_onesweep_configINS0_14default_configE6__halfN2at4cuda3cub6detail10OpaqueTypeILi8EEEEELb1EPS5_SD_PSB_SE_mNS0_19identity_decomposerEEEvT1_T2_T3_T4_jPT5_SL_PNS1_23onesweep_lookback_stateET6_jjj
                                        ; -- End function
	.set _ZN7rocprim17ROCPRIM_304000_NS6detail25onesweep_iteration_kernelINS1_34wrapped_radix_sort_onesweep_configINS0_14default_configE6__halfN2at4cuda3cub6detail10OpaqueTypeILi8EEEEELb1EPS5_SD_PSB_SE_mNS0_19identity_decomposerEEEvT1_T2_T3_T4_jPT5_SL_PNS1_23onesweep_lookback_stateET6_jjj.num_vgpr, 66
	.set _ZN7rocprim17ROCPRIM_304000_NS6detail25onesweep_iteration_kernelINS1_34wrapped_radix_sort_onesweep_configINS0_14default_configE6__halfN2at4cuda3cub6detail10OpaqueTypeILi8EEEEELb1EPS5_SD_PSB_SE_mNS0_19identity_decomposerEEEvT1_T2_T3_T4_jPT5_SL_PNS1_23onesweep_lookback_stateET6_jjj.num_agpr, 0
	.set _ZN7rocprim17ROCPRIM_304000_NS6detail25onesweep_iteration_kernelINS1_34wrapped_radix_sort_onesweep_configINS0_14default_configE6__halfN2at4cuda3cub6detail10OpaqueTypeILi8EEEEELb1EPS5_SD_PSB_SE_mNS0_19identity_decomposerEEEvT1_T2_T3_T4_jPT5_SL_PNS1_23onesweep_lookback_stateET6_jjj.numbered_sgpr, 75
	.set _ZN7rocprim17ROCPRIM_304000_NS6detail25onesweep_iteration_kernelINS1_34wrapped_radix_sort_onesweep_configINS0_14default_configE6__halfN2at4cuda3cub6detail10OpaqueTypeILi8EEEEELb1EPS5_SD_PSB_SE_mNS0_19identity_decomposerEEEvT1_T2_T3_T4_jPT5_SL_PNS1_23onesweep_lookback_stateET6_jjj.num_named_barrier, 0
	.set _ZN7rocprim17ROCPRIM_304000_NS6detail25onesweep_iteration_kernelINS1_34wrapped_radix_sort_onesweep_configINS0_14default_configE6__halfN2at4cuda3cub6detail10OpaqueTypeILi8EEEEELb1EPS5_SD_PSB_SE_mNS0_19identity_decomposerEEEvT1_T2_T3_T4_jPT5_SL_PNS1_23onesweep_lookback_stateET6_jjj.private_seg_size, 0
	.set _ZN7rocprim17ROCPRIM_304000_NS6detail25onesweep_iteration_kernelINS1_34wrapped_radix_sort_onesweep_configINS0_14default_configE6__halfN2at4cuda3cub6detail10OpaqueTypeILi8EEEEELb1EPS5_SD_PSB_SE_mNS0_19identity_decomposerEEEvT1_T2_T3_T4_jPT5_SL_PNS1_23onesweep_lookback_stateET6_jjj.uses_vcc, 1
	.set _ZN7rocprim17ROCPRIM_304000_NS6detail25onesweep_iteration_kernelINS1_34wrapped_radix_sort_onesweep_configINS0_14default_configE6__halfN2at4cuda3cub6detail10OpaqueTypeILi8EEEEELb1EPS5_SD_PSB_SE_mNS0_19identity_decomposerEEEvT1_T2_T3_T4_jPT5_SL_PNS1_23onesweep_lookback_stateET6_jjj.uses_flat_scratch, 0
	.set _ZN7rocprim17ROCPRIM_304000_NS6detail25onesweep_iteration_kernelINS1_34wrapped_radix_sort_onesweep_configINS0_14default_configE6__halfN2at4cuda3cub6detail10OpaqueTypeILi8EEEEELb1EPS5_SD_PSB_SE_mNS0_19identity_decomposerEEEvT1_T2_T3_T4_jPT5_SL_PNS1_23onesweep_lookback_stateET6_jjj.has_dyn_sized_stack, 0
	.set _ZN7rocprim17ROCPRIM_304000_NS6detail25onesweep_iteration_kernelINS1_34wrapped_radix_sort_onesweep_configINS0_14default_configE6__halfN2at4cuda3cub6detail10OpaqueTypeILi8EEEEELb1EPS5_SD_PSB_SE_mNS0_19identity_decomposerEEEvT1_T2_T3_T4_jPT5_SL_PNS1_23onesweep_lookback_stateET6_jjj.has_recursion, 0
	.set _ZN7rocprim17ROCPRIM_304000_NS6detail25onesweep_iteration_kernelINS1_34wrapped_radix_sort_onesweep_configINS0_14default_configE6__halfN2at4cuda3cub6detail10OpaqueTypeILi8EEEEELb1EPS5_SD_PSB_SE_mNS0_19identity_decomposerEEEvT1_T2_T3_T4_jPT5_SL_PNS1_23onesweep_lookback_stateET6_jjj.has_indirect_call, 0
	.section	.AMDGPU.csdata,"",@progbits
; Kernel info:
; codeLenInByte = 20624
; TotalNumSgprs: 79
; NumVgprs: 66
; ScratchSize: 0
; MemoryBound: 0
; FloatMode: 240
; IeeeMode: 1
; LDSByteSize: 26624 bytes/workgroup (compile time only)
; SGPRBlocks: 12
; VGPRBlocks: 21
; NumSGPRsForWavesPerEU: 102
; NumVGPRsForWavesPerEU: 85
; Occupancy: 2
; WaveLimiterHint : 1
; COMPUTE_PGM_RSRC2:SCRATCH_EN: 0
; COMPUTE_PGM_RSRC2:USER_SGPR: 6
; COMPUTE_PGM_RSRC2:TRAP_HANDLER: 0
; COMPUTE_PGM_RSRC2:TGID_X_EN: 1
; COMPUTE_PGM_RSRC2:TGID_Y_EN: 0
; COMPUTE_PGM_RSRC2:TGID_Z_EN: 0
; COMPUTE_PGM_RSRC2:TIDIG_COMP_CNT: 2
	.section	.text._ZN7rocprim17ROCPRIM_304000_NS6detail28radix_sort_block_sort_kernelINS1_36wrapped_radix_sort_block_sort_configINS0_13kernel_configILj256ELj4ELj4294967295EEE6__halfN2at4cuda3cub6detail10OpaqueTypeILi8EEEEELb0EPKS6_PS6_PKSC_PSC_NS0_19identity_decomposerEEEvT1_T2_T3_T4_jT5_jj,"axG",@progbits,_ZN7rocprim17ROCPRIM_304000_NS6detail28radix_sort_block_sort_kernelINS1_36wrapped_radix_sort_block_sort_configINS0_13kernel_configILj256ELj4ELj4294967295EEE6__halfN2at4cuda3cub6detail10OpaqueTypeILi8EEEEELb0EPKS6_PS6_PKSC_PSC_NS0_19identity_decomposerEEEvT1_T2_T3_T4_jT5_jj,comdat
	.protected	_ZN7rocprim17ROCPRIM_304000_NS6detail28radix_sort_block_sort_kernelINS1_36wrapped_radix_sort_block_sort_configINS0_13kernel_configILj256ELj4ELj4294967295EEE6__halfN2at4cuda3cub6detail10OpaqueTypeILi8EEEEELb0EPKS6_PS6_PKSC_PSC_NS0_19identity_decomposerEEEvT1_T2_T3_T4_jT5_jj ; -- Begin function _ZN7rocprim17ROCPRIM_304000_NS6detail28radix_sort_block_sort_kernelINS1_36wrapped_radix_sort_block_sort_configINS0_13kernel_configILj256ELj4ELj4294967295EEE6__halfN2at4cuda3cub6detail10OpaqueTypeILi8EEEEELb0EPKS6_PS6_PKSC_PSC_NS0_19identity_decomposerEEEvT1_T2_T3_T4_jT5_jj
	.globl	_ZN7rocprim17ROCPRIM_304000_NS6detail28radix_sort_block_sort_kernelINS1_36wrapped_radix_sort_block_sort_configINS0_13kernel_configILj256ELj4ELj4294967295EEE6__halfN2at4cuda3cub6detail10OpaqueTypeILi8EEEEELb0EPKS6_PS6_PKSC_PSC_NS0_19identity_decomposerEEEvT1_T2_T3_T4_jT5_jj
	.p2align	8
	.type	_ZN7rocprim17ROCPRIM_304000_NS6detail28radix_sort_block_sort_kernelINS1_36wrapped_radix_sort_block_sort_configINS0_13kernel_configILj256ELj4ELj4294967295EEE6__halfN2at4cuda3cub6detail10OpaqueTypeILi8EEEEELb0EPKS6_PS6_PKSC_PSC_NS0_19identity_decomposerEEEvT1_T2_T3_T4_jT5_jj,@function
_ZN7rocprim17ROCPRIM_304000_NS6detail28radix_sort_block_sort_kernelINS1_36wrapped_radix_sort_block_sort_configINS0_13kernel_configILj256ELj4ELj4294967295EEE6__halfN2at4cuda3cub6detail10OpaqueTypeILi8EEEEELb0EPKS6_PS6_PKSC_PSC_NS0_19identity_decomposerEEEvT1_T2_T3_T4_jT5_jj: ; @_ZN7rocprim17ROCPRIM_304000_NS6detail28radix_sort_block_sort_kernelINS1_36wrapped_radix_sort_block_sort_configINS0_13kernel_configILj256ELj4ELj4294967295EEE6__halfN2at4cuda3cub6detail10OpaqueTypeILi8EEEEELb0EPKS6_PS6_PKSC_PSC_NS0_19identity_decomposerEEEvT1_T2_T3_T4_jT5_jj
; %bb.0:
	s_load_dword s2, s[4:5], 0x20
	s_load_dwordx8 s[36:43], s[4:5], 0x0
	s_lshl_b32 s28, s6, 10
	s_mov_b32 s29, 0
	v_mbcnt_lo_u32_b32 v3, -1, 0
	s_waitcnt lgkmcnt(0)
	s_lshr_b32 s0, s2, 10
	s_cmp_lg_u32 s6, s0
	s_cselect_b64 s[30:31], -1, 0
	s_lshl_b64 s[34:35], s[28:29], 1
	s_add_u32 s1, s36, s34
	v_mbcnt_hi_u32_b32 v7, -1, v3
	s_addc_u32 s3, s37, s35
	v_lshlrev_b32_e32 v8, 2, v0
	v_lshlrev_b32_e32 v3, 1, v7
	v_and_b32_e32 v9, 0x300, v8
	v_mov_b32_e32 v4, s3
	v_add_co_u32_e32 v3, vcc, s1, v3
	v_addc_co_u32_e32 v4, vcc, 0, v4, vcc
	v_lshlrev_b32_e32 v5, 1, v9
	v_add_co_u32_e32 v5, vcc, v3, v5
	s_cmp_eq_u32 s6, s0
	v_addc_co_u32_e32 v6, vcc, 0, v4, vcc
	v_lshlrev_b32_e32 v24, 3, v7
	v_lshlrev_b32_e32 v17, 3, v9
	v_add_u32_e32 v15, v7, v9
	s_cbranch_scc1 .LBB193_2
; %bb.1:
	s_lshl_b64 s[0:1], s[28:29], 3
	s_add_u32 s0, s40, s0
	s_addc_u32 s1, s41, s1
	v_mov_b32_e32 v3, s1
	v_add_co_u32_e32 v4, vcc, s0, v24
	v_addc_co_u32_e32 v3, vcc, 0, v3, vcc
	v_add_co_u32_e32 v12, vcc, v4, v17
	v_addc_co_u32_e32 v13, vcc, 0, v3, vcc
	global_load_ushort v11, v[5:6], off
	global_load_ushort v10, v[5:6], off offset:128
	global_load_ushort v16, v[5:6], off offset:256
	;; [unrolled: 1-line block ×3, first 2 shown]
	global_load_dwordx2 v[3:4], v[12:13], off
	global_load_dwordx2 v[18:19], v[12:13], off offset:512
	global_load_dwordx2 v[20:21], v[12:13], off offset:1024
	;; [unrolled: 1-line block ×3, first 2 shown]
	v_add_u32_e32 v25, v7, v9
	v_add_u32_e32 v9, 64, v25
	;; [unrolled: 1-line block ×4, first 2 shown]
	s_sub_i32 s33, s2, s28
	s_cbranch_execz .LBB193_3
	s_branch .LBB193_17
.LBB193_2:
                                        ; implicit-def: $vgpr3_vgpr4
                                        ; implicit-def: $vgpr18_vgpr19
                                        ; implicit-def: $vgpr20_vgpr21
                                        ; implicit-def: $vgpr22_vgpr23
                                        ; implicit-def: $vgpr11
                                        ; implicit-def: $vgpr10
                                        ; implicit-def: $vgpr16
                                        ; implicit-def: $vgpr14
                                        ; implicit-def: $vgpr25
                                        ; implicit-def: $vgpr9
                                        ; implicit-def: $vgpr12
                                        ; implicit-def: $vgpr13
	s_sub_i32 s33, s2, s28
.LBB193_3:
	v_cmp_gt_u32_e32 vcc, s33, v15
	s_waitcnt vmcnt(6)
	v_mov_b32_e32 v10, 0x7fff
	v_mov_b32_e32 v11, 0x7fff
	s_and_saveexec_b64 s[0:1], vcc
	s_cbranch_execz .LBB193_5
; %bb.4:
	global_load_ushort v11, v[5:6], off
.LBB193_5:
	s_or_b64 exec, exec, s[0:1]
	v_add_u32_e32 v9, 64, v15
	v_cmp_gt_u32_e64 s[0:1], s33, v9
	s_and_saveexec_b64 s[2:3], s[0:1]
	s_cbranch_execz .LBB193_7
; %bb.6:
	global_load_ushort v10, v[5:6], off offset:128
.LBB193_7:
	s_or_b64 exec, exec, s[2:3]
	v_add_u32_e32 v12, 0x80, v15
	v_cmp_gt_u32_e64 s[2:3], s33, v12
	s_waitcnt vmcnt(4)
	v_mov_b32_e32 v14, 0x7fff
	v_mov_b32_e32 v16, 0x7fff
	s_and_saveexec_b64 s[6:7], s[2:3]
	s_cbranch_execz .LBB193_9
; %bb.8:
	global_load_ushort v16, v[5:6], off offset:256
.LBB193_9:
	s_or_b64 exec, exec, s[6:7]
	v_add_u32_e32 v13, 0xc0, v15
	v_cmp_gt_u32_e64 s[6:7], s33, v13
	s_and_saveexec_b64 s[8:9], s[6:7]
	s_cbranch_execz .LBB193_11
; %bb.10:
	global_load_ushort v14, v[5:6], off offset:384
.LBB193_11:
	s_or_b64 exec, exec, s[8:9]
	s_lshl_b64 s[8:9], s[28:29], 3
	s_add_u32 s8, s40, s8
	s_addc_u32 s9, s41, s9
	s_waitcnt vmcnt(3)
	v_mov_b32_e32 v3, s9
	v_add_co_u32_e64 v4, s[8:9], s8, v24
	v_addc_co_u32_e64 v3, s[8:9], 0, v3, s[8:9]
	v_add_co_u32_e64 v5, s[8:9], v4, v17
	v_addc_co_u32_e64 v6, s[8:9], 0, v3, s[8:9]
                                        ; implicit-def: $vgpr3_vgpr4
	s_and_saveexec_b64 s[8:9], vcc
	s_cbranch_execnz .LBB193_54
; %bb.12:
	s_or_b64 exec, exec, s[8:9]
                                        ; implicit-def: $vgpr18_vgpr19
	s_and_saveexec_b64 s[8:9], s[0:1]
	s_cbranch_execnz .LBB193_55
.LBB193_13:
	s_or_b64 exec, exec, s[8:9]
                                        ; implicit-def: $vgpr20_vgpr21
	s_and_saveexec_b64 s[0:1], s[2:3]
	s_cbranch_execnz .LBB193_56
.LBB193_14:
	s_or_b64 exec, exec, s[0:1]
                                        ; implicit-def: $vgpr22_vgpr23
	s_and_saveexec_b64 s[0:1], s[6:7]
	s_cbranch_execz .LBB193_16
.LBB193_15:
	global_load_dwordx2 v[22:23], v[5:6], off offset:1536
.LBB193_16:
	s_or_b64 exec, exec, s[0:1]
	v_mov_b32_e32 v25, v15
.LBB193_17:
	s_load_dwordx2 s[36:37], s[4:5], 0x28
	s_load_dword s0, s[4:5], 0x3c
	v_mov_b32_e32 v26, 0xffff8000
	s_waitcnt vmcnt(0)
	v_cmp_lt_i16_e32 vcc, -1, v11
	v_cndmask_b32_e32 v5, -1, v26, vcc
	v_cmp_lt_i16_e32 vcc, -1, v10
	s_waitcnt lgkmcnt(0)
	s_lshr_b32 s1, s0, 16
	s_and_b32 s0, s0, 0xffff
	v_mad_u32_u24 v1, v2, s1, v1
	v_mad_u64_u32 v[1:2], s[0:1], v1, s0, v[0:1]
	v_xor_b32_e32 v45, v5, v11
	v_cndmask_b32_e32 v5, -1, v26, vcc
	v_lshrrev_b32_e32 v1, 4, v1
	v_cmp_lt_i16_e32 vcc, -1, v16
	v_and_b32_e32 v28, 0xffffffc, v1
	v_and_b32_e32 v1, 15, v7
	v_xor_b32_e32 v46, v5, v10
	v_cndmask_b32_e32 v5, -1, v26, vcc
	v_cmp_lt_i16_e32 vcc, -1, v14
	v_cmp_eq_u32_e64 s[0:1], 0, v1
	v_cmp_lt_u32_e64 s[2:3], 1, v1
	v_cmp_lt_u32_e64 s[4:5], 3, v1
	;; [unrolled: 1-line block ×3, first 2 shown]
	v_and_b32_e32 v1, 16, v7
	v_cndmask_b32_e32 v2, -1, v26, vcc
	v_cmp_eq_u32_e64 s[8:9], 0, v1
	v_or_b32_e32 v1, 63, v0
	v_xor_b32_e32 v48, v2, v14
	v_cmp_eq_u32_e64 s[12:13], v0, v1
	v_subrev_co_u32_e64 v1, s[18:19], 1, v7
	v_and_b32_e32 v2, 64, v7
	v_cmp_lt_i32_e32 vcc, v1, v2
	v_and_b32_e32 v2, 3, v7
	v_xor_b32_e32 v47, v5, v16
	v_cmp_lt_u32_e64 s[10:11], 31, v7
	v_cndmask_b32_e32 v1, v1, v7, vcc
	v_cmp_eq_u32_e64 s[22:23], 0, v2
	v_cmp_lt_u32_e64 s[24:25], 1, v2
	v_mul_lo_u32 v2, v25, 6
	v_mul_lo_u32 v5, v9, 6
	;; [unrolled: 1-line block ×4, first 2 shown]
	s_mov_b32 s26, 0
	v_lshlrev_b32_e32 v29, 2, v1
	v_lshrrev_b32_e32 v1, 4, v0
	s_mov_b32 s44, s26
	v_lshlrev_b32_e32 v27, 2, v8
	v_and_b32_e32 v30, 12, v1
	v_mul_i32_i24_e32 v1, -12, v0
	v_lshlrev_b32_e32 v32, 1, v25
	v_lshlrev_b32_e32 v33, 1, v9
	;; [unrolled: 1-line block ×4, first 2 shown]
	s_mov_b32 s27, s26
	s_mov_b32 s45, s26
	v_mov_b32_e32 v13, s26
	v_mov_b32_e32 v15, s44
	s_add_i32 s40, s37, s36
	v_cmp_gt_u32_e64 s[14:15], 4, v0
	v_cmp_lt_u32_e64 s[16:17], 63, v0
	v_cmp_eq_u32_e64 s[20:21], 0, v0
	v_add_u32_e32 v31, -4, v30
	v_mov_b32_e32 v14, s27
	v_mov_b32_e32 v16, s45
	s_movk_i32 s41, 0x7fff
	v_mov_b32_e32 v17, 0
	v_add_u32_e32 v36, v27, v1
	v_add_u32_e32 v37, v32, v2
	;; [unrolled: 1-line block ×5, first 2 shown]
	s_branch .LBB193_19
.LBB193_18:                             ;   in Loop: Header=BB193_19 Depth=1
	s_andn2_b64 vcc, exec, s[26:27]
	s_cbranch_vccz .LBB193_35
.LBB193_19:                             ; =>This Inner Loop Header: Depth=1
	v_mov_b32_e32 v44, v45
	s_min_u32 s26, s37, 8
	v_cmp_ne_u16_e32 vcc, s41, v44
	s_lshl_b32 s26, -1, s26
	v_cndmask_b32_e32 v1, v26, v44, vcc
	s_not_b32 s44, s26
	v_lshrrev_b32_sdwa v1, s36, v1 dst_sel:DWORD dst_unused:UNUSED_PAD src0_sel:DWORD src1_sel:WORD_0
	v_and_b32_e32 v1, s44, v1
	v_mov_b32_e32 v12, v4
	v_and_b32_e32 v2, 1, v1
	v_mov_b32_e32 v11, v3
	v_mov_b32_e32 v9, v18
	v_add_co_u32_e32 v4, vcc, -1, v2
	v_mov_b32_e32 v10, v19
	v_addc_co_u32_e64 v18, s[26:27], 0, -1, vcc
	v_cmp_ne_u32_e32 vcc, 0, v2
	v_xor_b32_e32 v2, vcc_hi, v18
	v_lshlrev_b32_e32 v18, 30, v1
	v_xor_b32_e32 v4, vcc_lo, v4
	v_cmp_gt_i64_e32 vcc, 0, v[17:18]
	v_not_b32_e32 v18, v18
	v_ashrrev_i32_e32 v18, 31, v18
	v_and_b32_e32 v4, exec_lo, v4
	v_xor_b32_e32 v19, vcc_hi, v18
	v_xor_b32_e32 v18, vcc_lo, v18
	v_and_b32_e32 v4, v4, v18
	v_lshlrev_b32_e32 v18, 29, v1
	v_cmp_gt_i64_e32 vcc, 0, v[17:18]
	v_not_b32_e32 v18, v18
	v_and_b32_e32 v2, exec_hi, v2
	v_ashrrev_i32_e32 v18, 31, v18
	v_and_b32_e32 v2, v2, v19
	v_xor_b32_e32 v19, vcc_hi, v18
	v_xor_b32_e32 v18, vcc_lo, v18
	v_and_b32_e32 v4, v4, v18
	v_lshlrev_b32_e32 v18, 28, v1
	v_cmp_gt_i64_e32 vcc, 0, v[17:18]
	v_not_b32_e32 v18, v18
	v_ashrrev_i32_e32 v18, 31, v18
	v_and_b32_e32 v2, v2, v19
	v_xor_b32_e32 v19, vcc_hi, v18
	v_xor_b32_e32 v18, vcc_lo, v18
	v_and_b32_e32 v4, v4, v18
	v_lshlrev_b32_e32 v18, 27, v1
	v_cmp_gt_i64_e32 vcc, 0, v[17:18]
	v_not_b32_e32 v18, v18
	;; [unrolled: 8-line block ×4, first 2 shown]
	v_ashrrev_i32_e32 v18, 31, v18
	v_and_b32_e32 v2, v2, v19
	v_xor_b32_e32 v19, vcc_hi, v18
	v_xor_b32_e32 v18, vcc_lo, v18
	v_and_b32_e32 v4, v4, v18
	v_lshlrev_b32_e32 v18, 24, v1
	v_lshlrev_b32_e32 v3, 4, v1
	v_cmp_gt_i64_e32 vcc, 0, v[17:18]
	v_not_b32_e32 v1, v18
	v_ashrrev_i32_e32 v1, 31, v1
	v_xor_b32_e32 v18, vcc_hi, v1
	v_xor_b32_e32 v1, vcc_lo, v1
	v_and_b32_e32 v2, v2, v19
	v_and_b32_e32 v1, v4, v1
	;; [unrolled: 1-line block ×3, first 2 shown]
	v_mbcnt_lo_u32_b32 v4, v1, 0
	v_mbcnt_hi_u32_b32 v19, v2, v4
	v_cmp_ne_u64_e32 vcc, 0, v[1:2]
	v_mov_b32_e32 v7, v20
	v_mov_b32_e32 v5, v22
	v_cmp_eq_u32_e64 s[26:27], 0, v19
	v_mov_b32_e32 v8, v21
	v_mov_b32_e32 v6, v23
	;; [unrolled: 1-line block ×5, first 2 shown]
	s_and_b64 s[46:47], vcc, s[26:27]
	v_add_u32_e32 v20, v28, v3
	ds_write2_b64 v27, v[13:14], v[15:16] offset0:2 offset1:3
	s_waitcnt lgkmcnt(0)
	s_barrier
	; wave barrier
	s_and_saveexec_b64 s[26:27], s[46:47]
; %bb.20:                               ;   in Loop: Header=BB193_19 Depth=1
	v_bcnt_u32_b32 v1, v1, 0
	v_bcnt_u32_b32 v1, v2, v1
	ds_write_b32 v20, v1 offset:16
; %bb.21:                               ;   in Loop: Header=BB193_19 Depth=1
	s_or_b64 exec, exec, s[26:27]
	v_cmp_ne_u16_e32 vcc, s41, v43
	v_cndmask_b32_e32 v1, v26, v43, vcc
	v_lshrrev_b32_sdwa v1, s36, v1 dst_sel:DWORD dst_unused:UNUSED_PAD src0_sel:DWORD src1_sel:WORD_0
	v_and_b32_e32 v1, s44, v1
	v_lshlrev_b32_e32 v2, 4, v1
	v_add_u32_e32 v22, v28, v2
	v_and_b32_e32 v2, 1, v1
	v_add_co_u32_e32 v3, vcc, -1, v2
	v_addc_co_u32_e64 v4, s[26:27], 0, -1, vcc
	v_cmp_ne_u32_e32 vcc, 0, v2
	v_lshlrev_b32_e32 v18, 30, v1
	v_xor_b32_e32 v2, vcc_hi, v4
	v_xor_b32_e32 v3, vcc_lo, v3
	v_cmp_gt_i64_e32 vcc, 0, v[17:18]
	v_not_b32_e32 v4, v18
	v_ashrrev_i32_e32 v4, 31, v4
	v_and_b32_e32 v2, exec_hi, v2
	v_xor_b32_e32 v18, vcc_hi, v4
	v_and_b32_e32 v3, exec_lo, v3
	v_xor_b32_e32 v4, vcc_lo, v4
	v_and_b32_e32 v2, v2, v18
	v_lshlrev_b32_e32 v18, 29, v1
	v_and_b32_e32 v3, v3, v4
	v_cmp_gt_i64_e32 vcc, 0, v[17:18]
	v_not_b32_e32 v4, v18
	v_ashrrev_i32_e32 v4, 31, v4
	v_xor_b32_e32 v18, vcc_hi, v4
	v_xor_b32_e32 v4, vcc_lo, v4
	v_and_b32_e32 v2, v2, v18
	v_lshlrev_b32_e32 v18, 28, v1
	v_and_b32_e32 v3, v3, v4
	v_cmp_gt_i64_e32 vcc, 0, v[17:18]
	v_not_b32_e32 v4, v18
	v_ashrrev_i32_e32 v4, 31, v4
	v_xor_b32_e32 v18, vcc_hi, v4
	;; [unrolled: 8-line block ×5, first 2 shown]
	v_and_b32_e32 v2, v2, v18
	v_lshlrev_b32_e32 v18, 24, v1
	v_xor_b32_e32 v4, vcc_lo, v4
	v_cmp_gt_i64_e32 vcc, 0, v[17:18]
	v_not_b32_e32 v1, v18
	v_ashrrev_i32_e32 v1, 31, v1
	v_and_b32_e32 v3, v3, v4
	v_xor_b32_e32 v4, vcc_hi, v1
	v_xor_b32_e32 v1, vcc_lo, v1
	; wave barrier
	ds_read_b32 v21, v22 offset:16
	v_and_b32_e32 v1, v3, v1
	v_and_b32_e32 v2, v2, v4
	v_mbcnt_lo_u32_b32 v3, v1, 0
	v_mbcnt_hi_u32_b32 v23, v2, v3
	v_cmp_ne_u64_e32 vcc, 0, v[1:2]
	v_cmp_eq_u32_e64 s[26:27], 0, v23
	s_and_b64 s[46:47], vcc, s[26:27]
	; wave barrier
	s_and_saveexec_b64 s[26:27], s[46:47]
	s_cbranch_execz .LBB193_23
; %bb.22:                               ;   in Loop: Header=BB193_19 Depth=1
	v_bcnt_u32_b32 v1, v1, 0
	v_bcnt_u32_b32 v1, v2, v1
	s_waitcnt lgkmcnt(0)
	v_add_u32_e32 v1, v21, v1
	ds_write_b32 v22, v1 offset:16
.LBB193_23:                             ;   in Loop: Header=BB193_19 Depth=1
	s_or_b64 exec, exec, s[26:27]
	v_cmp_ne_u16_e32 vcc, s41, v42
	v_cndmask_b32_e32 v1, v26, v42, vcc
	v_lshrrev_b32_sdwa v1, s36, v1 dst_sel:DWORD dst_unused:UNUSED_PAD src0_sel:DWORD src1_sel:WORD_0
	v_and_b32_e32 v1, s44, v1
	v_lshlrev_b32_e32 v2, 4, v1
	v_add_u32_e32 v25, v28, v2
	v_and_b32_e32 v2, 1, v1
	v_add_co_u32_e32 v3, vcc, -1, v2
	v_addc_co_u32_e64 v4, s[26:27], 0, -1, vcc
	v_cmp_ne_u32_e32 vcc, 0, v2
	v_lshlrev_b32_e32 v18, 30, v1
	v_xor_b32_e32 v2, vcc_hi, v4
	v_xor_b32_e32 v3, vcc_lo, v3
	v_cmp_gt_i64_e32 vcc, 0, v[17:18]
	v_not_b32_e32 v4, v18
	v_ashrrev_i32_e32 v4, 31, v4
	v_and_b32_e32 v2, exec_hi, v2
	v_xor_b32_e32 v18, vcc_hi, v4
	v_and_b32_e32 v3, exec_lo, v3
	v_xor_b32_e32 v4, vcc_lo, v4
	v_and_b32_e32 v2, v2, v18
	v_lshlrev_b32_e32 v18, 29, v1
	v_and_b32_e32 v3, v3, v4
	v_cmp_gt_i64_e32 vcc, 0, v[17:18]
	v_not_b32_e32 v4, v18
	v_ashrrev_i32_e32 v4, 31, v4
	v_xor_b32_e32 v18, vcc_hi, v4
	v_xor_b32_e32 v4, vcc_lo, v4
	v_and_b32_e32 v2, v2, v18
	v_lshlrev_b32_e32 v18, 28, v1
	v_and_b32_e32 v3, v3, v4
	v_cmp_gt_i64_e32 vcc, 0, v[17:18]
	v_not_b32_e32 v4, v18
	v_ashrrev_i32_e32 v4, 31, v4
	v_xor_b32_e32 v18, vcc_hi, v4
	;; [unrolled: 8-line block ×5, first 2 shown]
	v_and_b32_e32 v2, v2, v18
	v_lshlrev_b32_e32 v18, 24, v1
	v_xor_b32_e32 v4, vcc_lo, v4
	v_cmp_gt_i64_e32 vcc, 0, v[17:18]
	v_not_b32_e32 v1, v18
	v_ashrrev_i32_e32 v1, 31, v1
	v_and_b32_e32 v3, v3, v4
	v_xor_b32_e32 v4, vcc_hi, v1
	v_xor_b32_e32 v1, vcc_lo, v1
	; wave barrier
	ds_read_b32 v24, v25 offset:16
	v_and_b32_e32 v1, v3, v1
	v_and_b32_e32 v2, v2, v4
	v_mbcnt_lo_u32_b32 v3, v1, 0
	v_mbcnt_hi_u32_b32 v45, v2, v3
	v_cmp_ne_u64_e32 vcc, 0, v[1:2]
	v_cmp_eq_u32_e64 s[26:27], 0, v45
	s_and_b64 s[46:47], vcc, s[26:27]
	; wave barrier
	s_and_saveexec_b64 s[26:27], s[46:47]
	s_cbranch_execz .LBB193_25
; %bb.24:                               ;   in Loop: Header=BB193_19 Depth=1
	v_bcnt_u32_b32 v1, v1, 0
	v_bcnt_u32_b32 v1, v2, v1
	s_waitcnt lgkmcnt(0)
	v_add_u32_e32 v1, v24, v1
	ds_write_b32 v25, v1 offset:16
.LBB193_25:                             ;   in Loop: Header=BB193_19 Depth=1
	s_or_b64 exec, exec, s[26:27]
	v_cmp_ne_u16_e32 vcc, s41, v41
	v_cndmask_b32_e32 v1, v26, v41, vcc
	v_lshrrev_b32_sdwa v1, s36, v1 dst_sel:DWORD dst_unused:UNUSED_PAD src0_sel:DWORD src1_sel:WORD_0
	v_and_b32_e32 v1, s44, v1
	v_lshlrev_b32_e32 v2, 4, v1
	v_add_u32_e32 v47, v28, v2
	v_and_b32_e32 v2, 1, v1
	v_add_co_u32_e32 v3, vcc, -1, v2
	v_addc_co_u32_e64 v4, s[26:27], 0, -1, vcc
	v_cmp_ne_u32_e32 vcc, 0, v2
	v_lshlrev_b32_e32 v18, 30, v1
	v_xor_b32_e32 v2, vcc_hi, v4
	v_xor_b32_e32 v3, vcc_lo, v3
	v_cmp_gt_i64_e32 vcc, 0, v[17:18]
	v_not_b32_e32 v4, v18
	v_ashrrev_i32_e32 v4, 31, v4
	v_and_b32_e32 v2, exec_hi, v2
	v_xor_b32_e32 v18, vcc_hi, v4
	v_and_b32_e32 v3, exec_lo, v3
	v_xor_b32_e32 v4, vcc_lo, v4
	v_and_b32_e32 v2, v2, v18
	v_lshlrev_b32_e32 v18, 29, v1
	v_and_b32_e32 v3, v3, v4
	v_cmp_gt_i64_e32 vcc, 0, v[17:18]
	v_not_b32_e32 v4, v18
	v_ashrrev_i32_e32 v4, 31, v4
	v_xor_b32_e32 v18, vcc_hi, v4
	v_xor_b32_e32 v4, vcc_lo, v4
	v_and_b32_e32 v2, v2, v18
	v_lshlrev_b32_e32 v18, 28, v1
	v_and_b32_e32 v3, v3, v4
	v_cmp_gt_i64_e32 vcc, 0, v[17:18]
	v_not_b32_e32 v4, v18
	v_ashrrev_i32_e32 v4, 31, v4
	v_xor_b32_e32 v18, vcc_hi, v4
	;; [unrolled: 8-line block ×5, first 2 shown]
	v_and_b32_e32 v2, v2, v18
	v_lshlrev_b32_e32 v18, 24, v1
	v_xor_b32_e32 v4, vcc_lo, v4
	v_cmp_gt_i64_e32 vcc, 0, v[17:18]
	v_not_b32_e32 v1, v18
	v_ashrrev_i32_e32 v1, 31, v1
	v_and_b32_e32 v3, v3, v4
	v_xor_b32_e32 v4, vcc_hi, v1
	v_xor_b32_e32 v1, vcc_lo, v1
	; wave barrier
	ds_read_b32 v46, v47 offset:16
	v_and_b32_e32 v1, v3, v1
	v_and_b32_e32 v2, v2, v4
	v_mbcnt_lo_u32_b32 v3, v1, 0
	v_mbcnt_hi_u32_b32 v18, v2, v3
	v_cmp_ne_u64_e32 vcc, 0, v[1:2]
	v_cmp_eq_u32_e64 s[26:27], 0, v18
	s_and_b64 s[44:45], vcc, s[26:27]
	; wave barrier
	s_and_saveexec_b64 s[26:27], s[44:45]
	s_cbranch_execz .LBB193_27
; %bb.26:                               ;   in Loop: Header=BB193_19 Depth=1
	v_bcnt_u32_b32 v1, v1, 0
	v_bcnt_u32_b32 v1, v2, v1
	s_waitcnt lgkmcnt(0)
	v_add_u32_e32 v1, v46, v1
	ds_write_b32 v47, v1 offset:16
.LBB193_27:                             ;   in Loop: Header=BB193_19 Depth=1
	s_or_b64 exec, exec, s[26:27]
	; wave barrier
	s_waitcnt lgkmcnt(0)
	s_barrier
	ds_read2_b64 v[1:4], v27 offset0:2 offset1:3
	s_waitcnt lgkmcnt(0)
	v_add_u32_e32 v48, v2, v1
	v_add3_u32 v4, v48, v3, v4
	s_nop 1
	v_mov_b32_dpp v48, v4 row_shr:1 row_mask:0xf bank_mask:0xf
	v_cndmask_b32_e64 v48, v48, 0, s[0:1]
	v_add_u32_e32 v4, v48, v4
	s_nop 1
	v_mov_b32_dpp v48, v4 row_shr:2 row_mask:0xf bank_mask:0xf
	v_cndmask_b32_e64 v48, 0, v48, s[2:3]
	v_add_u32_e32 v4, v4, v48
	s_nop 1
	v_mov_b32_dpp v48, v4 row_shr:4 row_mask:0xf bank_mask:0xf
	v_cndmask_b32_e64 v48, 0, v48, s[4:5]
	v_add_u32_e32 v4, v4, v48
	s_nop 1
	v_mov_b32_dpp v48, v4 row_shr:8 row_mask:0xf bank_mask:0xf
	v_cndmask_b32_e64 v48, 0, v48, s[6:7]
	v_add_u32_e32 v4, v4, v48
	s_nop 1
	v_mov_b32_dpp v48, v4 row_bcast:15 row_mask:0xf bank_mask:0xf
	v_cndmask_b32_e64 v48, v48, 0, s[8:9]
	v_add_u32_e32 v4, v4, v48
	s_nop 1
	v_mov_b32_dpp v48, v4 row_bcast:31 row_mask:0xf bank_mask:0xf
	v_cndmask_b32_e64 v48, 0, v48, s[10:11]
	v_add_u32_e32 v4, v4, v48
	s_and_saveexec_b64 s[26:27], s[12:13]
; %bb.28:                               ;   in Loop: Header=BB193_19 Depth=1
	ds_write_b32 v30, v4
; %bb.29:                               ;   in Loop: Header=BB193_19 Depth=1
	s_or_b64 exec, exec, s[26:27]
	s_waitcnt lgkmcnt(0)
	s_barrier
	s_and_saveexec_b64 s[26:27], s[14:15]
	s_cbranch_execz .LBB193_31
; %bb.30:                               ;   in Loop: Header=BB193_19 Depth=1
	ds_read_b32 v48, v36
	s_waitcnt lgkmcnt(0)
	s_nop 0
	v_mov_b32_dpp v49, v48 row_shr:1 row_mask:0xf bank_mask:0xf
	v_cndmask_b32_e64 v49, v49, 0, s[22:23]
	v_add_u32_e32 v48, v49, v48
	s_nop 1
	v_mov_b32_dpp v49, v48 row_shr:2 row_mask:0xf bank_mask:0xf
	v_cndmask_b32_e64 v49, 0, v49, s[24:25]
	v_add_u32_e32 v48, v48, v49
	ds_write_b32 v36, v48
.LBB193_31:                             ;   in Loop: Header=BB193_19 Depth=1
	s_or_b64 exec, exec, s[26:27]
	v_mov_b32_e32 v48, 0
	s_waitcnt lgkmcnt(0)
	s_barrier
	s_and_saveexec_b64 s[26:27], s[16:17]
; %bb.32:                               ;   in Loop: Header=BB193_19 Depth=1
	ds_read_b32 v48, v31
; %bb.33:                               ;   in Loop: Header=BB193_19 Depth=1
	s_or_b64 exec, exec, s[26:27]
	s_waitcnt lgkmcnt(0)
	v_add_u32_e32 v4, v48, v4
	ds_bpermute_b32 v4, v29, v4
	s_add_i32 s36, s36, 8
	s_cmp_ge_u32 s36, s40
	s_mov_b64 s[26:27], -1
	s_waitcnt lgkmcnt(0)
	v_cndmask_b32_e64 v4, v4, v48, s[18:19]
	v_cndmask_b32_e64 v48, v4, 0, s[20:21]
	v_add_u32_e32 v49, v48, v1
	v_add_u32_e32 v1, v49, v2
	;; [unrolled: 1-line block ×3, first 2 shown]
	ds_write2_b64 v27, v[48:49], v[1:2] offset0:2 offset1:3
	s_waitcnt lgkmcnt(0)
	s_barrier
	ds_read_b32 v1, v20 offset:16
	ds_read_b32 v2, v22 offset:16
	;; [unrolled: 1-line block ×4, first 2 shown]
	s_waitcnt lgkmcnt(0)
	v_add_u32_e32 v52, v1, v19
	v_add3_u32 v51, v23, v21, v2
	v_add3_u32 v50, v45, v24, v3
	;; [unrolled: 1-line block ×3, first 2 shown]
	v_lshlrev_b32_e32 v25, 1, v52
	v_lshlrev_b32_e32 v24, 1, v51
	;; [unrolled: 1-line block ×4, first 2 shown]
                                        ; implicit-def: $vgpr3_vgpr4
                                        ; implicit-def: $vgpr18_vgpr19
                                        ; implicit-def: $vgpr20_vgpr21
                                        ; implicit-def: $vgpr22_vgpr23
                                        ; implicit-def: $vgpr45
                                        ; implicit-def: $vgpr46
                                        ; implicit-def: $vgpr47
                                        ; implicit-def: $vgpr48
	s_cbranch_scc1 .LBB193_18
; %bb.34:                               ;   in Loop: Header=BB193_19 Depth=1
	v_mad_u64_u32 v[3:4], s[26:27], v52, 6, v[25:26]
	v_mad_u64_u32 v[18:19], s[26:27], v51, 6, v[24:25]
	;; [unrolled: 1-line block ×4, first 2 shown]
	s_barrier
	ds_write_b16 v25, v44
	ds_write_b16 v24, v43
	;; [unrolled: 1-line block ×4, first 2 shown]
	s_waitcnt lgkmcnt(0)
	s_barrier
	ds_read_u16 v45, v32
	ds_read_u16 v46, v33
	;; [unrolled: 1-line block ×4, first 2 shown]
	s_waitcnt lgkmcnt(0)
	s_barrier
	ds_write_b64 v3, v[11:12]
	ds_write_b64 v18, v[9:10]
	;; [unrolled: 1-line block ×4, first 2 shown]
	s_waitcnt lgkmcnt(0)
	s_barrier
	ds_read_b64 v[3:4], v37
	ds_read_b64 v[18:19], v38
	;; [unrolled: 1-line block ×4, first 2 shown]
	s_add_i32 s37, s37, -8
	s_mov_b64 s[26:27], 0
	s_waitcnt lgkmcnt(0)
	s_barrier
	s_branch .LBB193_18
.LBB193_35:
	v_mad_u64_u32 v[3:4], s[0:1], v52, 6, v[25:26]
	v_lshlrev_b32_e32 v16, 1, v0
	v_mad_u64_u32 v[13:14], s[0:1], v51, 6, v[24:25]
	s_barrier
	ds_write_b16 v25, v44
	ds_write_b16 v24, v43
	;; [unrolled: 1-line block ×4, first 2 shown]
	s_waitcnt lgkmcnt(0)
	s_barrier
	ds_read_u16 v17, v16
	ds_read_u16 v18, v16 offset:512
	ds_read_u16 v19, v16 offset:1024
	;; [unrolled: 1-line block ×3, first 2 shown]
	v_mad_u64_u32 v[14:15], s[0:1], v50, 6, v[2:3]
	v_mad_u64_u32 v[1:2], s[0:1], v49, 6, v[1:2]
	s_waitcnt lgkmcnt(0)
	s_barrier
	ds_write_b64 v3, v[11:12]
	ds_write_b64 v13, v[9:10]
	;; [unrolled: 1-line block ×4, first 2 shown]
	v_mov_b32_e32 v9, 0xffff8000
	v_cmp_lt_i16_e32 vcc, -1, v17
	v_cndmask_b32_e64 v10, v9, -1, vcc
	v_cmp_lt_i16_e32 vcc, -1, v18
	v_mad_u32_u24 v1, v0, 6, v16
	v_xor_b32_e32 v15, v10, v17
	v_cndmask_b32_e64 v10, v9, -1, vcc
	v_cmp_lt_i16_e32 vcc, -1, v19
	s_waitcnt lgkmcnt(0)
	s_barrier
	ds_read2st64_b64 v[5:8], v1 offset1:4
	ds_read2st64_b64 v[1:4], v1 offset0:8 offset1:12
	v_xor_b32_e32 v14, v10, v18
	v_cndmask_b32_e64 v10, v9, -1, vcc
	v_cmp_lt_i16_e32 vcc, -1, v20
	s_add_u32 s0, s38, s34
	v_cndmask_b32_e64 v9, v9, -1, vcc
	s_addc_u32 s1, s39, s35
	v_xor_b32_e32 v13, v10, v19
	v_xor_b32_e32 v12, v9, v20
	v_mov_b32_e32 v10, s1
	v_add_co_u32_e32 v9, vcc, s0, v16
	v_addc_co_u32_e32 v10, vcc, 0, v10, vcc
	s_andn2_b64 vcc, exec, s[30:31]
	v_lshlrev_b32_e32 v11, 3, v0
	s_cbranch_vccnz .LBB193_37
; %bb.36:
	s_lshl_b64 s[0:1], s[28:29], 3
	s_add_u32 s0, s42, s0
	s_addc_u32 s1, s43, s1
	v_mov_b32_e32 v16, s1
	v_add_co_u32_e32 v17, vcc, s0, v11
	v_addc_co_u32_e32 v18, vcc, 0, v16, vcc
	v_add_co_u32_e32 v16, vcc, 0x1000, v17
	global_store_short v[9:10], v15, off
	global_store_short v[9:10], v14, off offset:512
	global_store_short v[9:10], v13, off offset:1024
	;; [unrolled: 1-line block ×3, first 2 shown]
	s_waitcnt lgkmcnt(1)
	global_store_dwordx2 v11, v[5:6], s[0:1]
	global_store_dwordx2 v11, v[7:8], s[0:1] offset:2048
	v_addc_co_u32_e32 v17, vcc, 0, v18, vcc
	s_mov_b64 s[6:7], -1
	s_waitcnt lgkmcnt(0)
	global_store_dwordx2 v[16:17], v[1:2], off
	s_cbranch_execz .LBB193_38
	s_branch .LBB193_51
.LBB193_37:
	s_mov_b64 s[6:7], 0
.LBB193_38:
	v_cmp_gt_u32_e32 vcc, s33, v0
	s_and_saveexec_b64 s[0:1], vcc
	s_cbranch_execz .LBB193_40
; %bb.39:
	global_store_short v[9:10], v15, off
.LBB193_40:
	s_or_b64 exec, exec, s[0:1]
	v_or_b32_e32 v15, 0x100, v0
	v_cmp_gt_u32_e64 s[0:1], s33, v15
	s_and_saveexec_b64 s[2:3], s[0:1]
	s_cbranch_execz .LBB193_42
; %bb.41:
	global_store_short v[9:10], v14, off offset:512
.LBB193_42:
	s_or_b64 exec, exec, s[2:3]
	v_or_b32_e32 v14, 0x200, v0
	v_cmp_gt_u32_e64 s[2:3], s33, v14
	s_and_saveexec_b64 s[4:5], s[2:3]
	s_cbranch_execz .LBB193_44
; %bb.43:
	global_store_short v[9:10], v13, off offset:1024
.LBB193_44:
	;; [unrolled: 8-line block ×3, first 2 shown]
	s_or_b64 exec, exec, s[4:5]
	s_lshl_b64 s[4:5], s[28:29], 3
	s_add_u32 s4, s42, s4
	s_addc_u32 s5, s43, s5
	v_mov_b32_e32 v0, s5
	v_add_co_u32_e64 v9, s[4:5], s4, v11
	v_addc_co_u32_e64 v10, s[4:5], 0, v0, s[4:5]
	s_and_saveexec_b64 s[4:5], vcc
	s_cbranch_execnz .LBB193_57
; %bb.47:
	s_or_b64 exec, exec, s[4:5]
	s_and_saveexec_b64 s[4:5], s[0:1]
	s_cbranch_execnz .LBB193_58
.LBB193_48:
	s_or_b64 exec, exec, s[4:5]
	s_and_saveexec_b64 s[0:1], s[2:3]
	s_cbranch_execz .LBB193_50
.LBB193_49:
	s_waitcnt lgkmcnt(1)
	v_add_co_u32_e32 v5, vcc, 0x1000, v9
	v_addc_co_u32_e32 v6, vcc, 0, v10, vcc
	s_waitcnt lgkmcnt(0)
	global_store_dwordx2 v[5:6], v[1:2], off
.LBB193_50:
	s_or_b64 exec, exec, s[0:1]
.LBB193_51:
	s_and_saveexec_b64 s[0:1], s[6:7]
	s_cbranch_execnz .LBB193_53
; %bb.52:
	s_endpgm
.LBB193_53:
	s_lshl_b64 s[0:1], s[28:29], 3
	s_add_u32 s0, s42, s0
	s_addc_u32 s1, s43, s1
	v_mov_b32_e32 v0, s1
	s_waitcnt lgkmcnt(0)
	v_add_co_u32_e32 v1, vcc, s0, v11
	v_addc_co_u32_e32 v2, vcc, 0, v0, vcc
	v_add_co_u32_e32 v0, vcc, 0x1000, v1
	v_addc_co_u32_e32 v1, vcc, 0, v2, vcc
	global_store_dwordx2 v[0:1], v[3:4], off offset:2048
	s_endpgm
.LBB193_54:
	global_load_dwordx2 v[3:4], v[5:6], off
	s_or_b64 exec, exec, s[8:9]
                                        ; implicit-def: $vgpr18_vgpr19
	s_and_saveexec_b64 s[8:9], s[0:1]
	s_cbranch_execz .LBB193_13
.LBB193_55:
	global_load_dwordx2 v[18:19], v[5:6], off offset:512
	s_or_b64 exec, exec, s[8:9]
                                        ; implicit-def: $vgpr20_vgpr21
	s_and_saveexec_b64 s[0:1], s[2:3]
	s_cbranch_execz .LBB193_14
.LBB193_56:
	global_load_dwordx2 v[20:21], v[5:6], off offset:1024
	s_or_b64 exec, exec, s[0:1]
                                        ; implicit-def: $vgpr22_vgpr23
	s_and_saveexec_b64 s[0:1], s[6:7]
	s_cbranch_execnz .LBB193_15
	s_branch .LBB193_16
.LBB193_57:
	s_waitcnt lgkmcnt(1)
	global_store_dwordx2 v[9:10], v[5:6], off
	s_or_b64 exec, exec, s[4:5]
	s_and_saveexec_b64 s[4:5], s[0:1]
	s_cbranch_execz .LBB193_48
.LBB193_58:
	s_waitcnt lgkmcnt(1)
	global_store_dwordx2 v[9:10], v[7:8], off offset:2048
	s_or_b64 exec, exec, s[4:5]
	s_and_saveexec_b64 s[0:1], s[2:3]
	s_cbranch_execnz .LBB193_49
	s_branch .LBB193_50
	.section	.rodata,"a",@progbits
	.p2align	6, 0x0
	.amdhsa_kernel _ZN7rocprim17ROCPRIM_304000_NS6detail28radix_sort_block_sort_kernelINS1_36wrapped_radix_sort_block_sort_configINS0_13kernel_configILj256ELj4ELj4294967295EEE6__halfN2at4cuda3cub6detail10OpaqueTypeILi8EEEEELb0EPKS6_PS6_PKSC_PSC_NS0_19identity_decomposerEEEvT1_T2_T3_T4_jT5_jj
		.amdhsa_group_segment_fixed_size 8192
		.amdhsa_private_segment_fixed_size 0
		.amdhsa_kernarg_size 304
		.amdhsa_user_sgpr_count 6
		.amdhsa_user_sgpr_private_segment_buffer 1
		.amdhsa_user_sgpr_dispatch_ptr 0
		.amdhsa_user_sgpr_queue_ptr 0
		.amdhsa_user_sgpr_kernarg_segment_ptr 1
		.amdhsa_user_sgpr_dispatch_id 0
		.amdhsa_user_sgpr_flat_scratch_init 0
		.amdhsa_user_sgpr_private_segment_size 0
		.amdhsa_uses_dynamic_stack 0
		.amdhsa_system_sgpr_private_segment_wavefront_offset 0
		.amdhsa_system_sgpr_workgroup_id_x 1
		.amdhsa_system_sgpr_workgroup_id_y 0
		.amdhsa_system_sgpr_workgroup_id_z 0
		.amdhsa_system_sgpr_workgroup_info 0
		.amdhsa_system_vgpr_workitem_id 2
		.amdhsa_next_free_vgpr 53
		.amdhsa_next_free_sgpr 61
		.amdhsa_reserve_vcc 1
		.amdhsa_reserve_flat_scratch 0
		.amdhsa_float_round_mode_32 0
		.amdhsa_float_round_mode_16_64 0
		.amdhsa_float_denorm_mode_32 3
		.amdhsa_float_denorm_mode_16_64 3
		.amdhsa_dx10_clamp 1
		.amdhsa_ieee_mode 1
		.amdhsa_fp16_overflow 0
		.amdhsa_exception_fp_ieee_invalid_op 0
		.amdhsa_exception_fp_denorm_src 0
		.amdhsa_exception_fp_ieee_div_zero 0
		.amdhsa_exception_fp_ieee_overflow 0
		.amdhsa_exception_fp_ieee_underflow 0
		.amdhsa_exception_fp_ieee_inexact 0
		.amdhsa_exception_int_div_zero 0
	.end_amdhsa_kernel
	.section	.text._ZN7rocprim17ROCPRIM_304000_NS6detail28radix_sort_block_sort_kernelINS1_36wrapped_radix_sort_block_sort_configINS0_13kernel_configILj256ELj4ELj4294967295EEE6__halfN2at4cuda3cub6detail10OpaqueTypeILi8EEEEELb0EPKS6_PS6_PKSC_PSC_NS0_19identity_decomposerEEEvT1_T2_T3_T4_jT5_jj,"axG",@progbits,_ZN7rocprim17ROCPRIM_304000_NS6detail28radix_sort_block_sort_kernelINS1_36wrapped_radix_sort_block_sort_configINS0_13kernel_configILj256ELj4ELj4294967295EEE6__halfN2at4cuda3cub6detail10OpaqueTypeILi8EEEEELb0EPKS6_PS6_PKSC_PSC_NS0_19identity_decomposerEEEvT1_T2_T3_T4_jT5_jj,comdat
.Lfunc_end193:
	.size	_ZN7rocprim17ROCPRIM_304000_NS6detail28radix_sort_block_sort_kernelINS1_36wrapped_radix_sort_block_sort_configINS0_13kernel_configILj256ELj4ELj4294967295EEE6__halfN2at4cuda3cub6detail10OpaqueTypeILi8EEEEELb0EPKS6_PS6_PKSC_PSC_NS0_19identity_decomposerEEEvT1_T2_T3_T4_jT5_jj, .Lfunc_end193-_ZN7rocprim17ROCPRIM_304000_NS6detail28radix_sort_block_sort_kernelINS1_36wrapped_radix_sort_block_sort_configINS0_13kernel_configILj256ELj4ELj4294967295EEE6__halfN2at4cuda3cub6detail10OpaqueTypeILi8EEEEELb0EPKS6_PS6_PKSC_PSC_NS0_19identity_decomposerEEEvT1_T2_T3_T4_jT5_jj
                                        ; -- End function
	.set _ZN7rocprim17ROCPRIM_304000_NS6detail28radix_sort_block_sort_kernelINS1_36wrapped_radix_sort_block_sort_configINS0_13kernel_configILj256ELj4ELj4294967295EEE6__halfN2at4cuda3cub6detail10OpaqueTypeILi8EEEEELb0EPKS6_PS6_PKSC_PSC_NS0_19identity_decomposerEEEvT1_T2_T3_T4_jT5_jj.num_vgpr, 53
	.set _ZN7rocprim17ROCPRIM_304000_NS6detail28radix_sort_block_sort_kernelINS1_36wrapped_radix_sort_block_sort_configINS0_13kernel_configILj256ELj4ELj4294967295EEE6__halfN2at4cuda3cub6detail10OpaqueTypeILi8EEEEELb0EPKS6_PS6_PKSC_PSC_NS0_19identity_decomposerEEEvT1_T2_T3_T4_jT5_jj.num_agpr, 0
	.set _ZN7rocprim17ROCPRIM_304000_NS6detail28radix_sort_block_sort_kernelINS1_36wrapped_radix_sort_block_sort_configINS0_13kernel_configILj256ELj4ELj4294967295EEE6__halfN2at4cuda3cub6detail10OpaqueTypeILi8EEEEELb0EPKS6_PS6_PKSC_PSC_NS0_19identity_decomposerEEEvT1_T2_T3_T4_jT5_jj.numbered_sgpr, 48
	.set _ZN7rocprim17ROCPRIM_304000_NS6detail28radix_sort_block_sort_kernelINS1_36wrapped_radix_sort_block_sort_configINS0_13kernel_configILj256ELj4ELj4294967295EEE6__halfN2at4cuda3cub6detail10OpaqueTypeILi8EEEEELb0EPKS6_PS6_PKSC_PSC_NS0_19identity_decomposerEEEvT1_T2_T3_T4_jT5_jj.num_named_barrier, 0
	.set _ZN7rocprim17ROCPRIM_304000_NS6detail28radix_sort_block_sort_kernelINS1_36wrapped_radix_sort_block_sort_configINS0_13kernel_configILj256ELj4ELj4294967295EEE6__halfN2at4cuda3cub6detail10OpaqueTypeILi8EEEEELb0EPKS6_PS6_PKSC_PSC_NS0_19identity_decomposerEEEvT1_T2_T3_T4_jT5_jj.private_seg_size, 0
	.set _ZN7rocprim17ROCPRIM_304000_NS6detail28radix_sort_block_sort_kernelINS1_36wrapped_radix_sort_block_sort_configINS0_13kernel_configILj256ELj4ELj4294967295EEE6__halfN2at4cuda3cub6detail10OpaqueTypeILi8EEEEELb0EPKS6_PS6_PKSC_PSC_NS0_19identity_decomposerEEEvT1_T2_T3_T4_jT5_jj.uses_vcc, 1
	.set _ZN7rocprim17ROCPRIM_304000_NS6detail28radix_sort_block_sort_kernelINS1_36wrapped_radix_sort_block_sort_configINS0_13kernel_configILj256ELj4ELj4294967295EEE6__halfN2at4cuda3cub6detail10OpaqueTypeILi8EEEEELb0EPKS6_PS6_PKSC_PSC_NS0_19identity_decomposerEEEvT1_T2_T3_T4_jT5_jj.uses_flat_scratch, 0
	.set _ZN7rocprim17ROCPRIM_304000_NS6detail28radix_sort_block_sort_kernelINS1_36wrapped_radix_sort_block_sort_configINS0_13kernel_configILj256ELj4ELj4294967295EEE6__halfN2at4cuda3cub6detail10OpaqueTypeILi8EEEEELb0EPKS6_PS6_PKSC_PSC_NS0_19identity_decomposerEEEvT1_T2_T3_T4_jT5_jj.has_dyn_sized_stack, 0
	.set _ZN7rocprim17ROCPRIM_304000_NS6detail28radix_sort_block_sort_kernelINS1_36wrapped_radix_sort_block_sort_configINS0_13kernel_configILj256ELj4ELj4294967295EEE6__halfN2at4cuda3cub6detail10OpaqueTypeILi8EEEEELb0EPKS6_PS6_PKSC_PSC_NS0_19identity_decomposerEEEvT1_T2_T3_T4_jT5_jj.has_recursion, 0
	.set _ZN7rocprim17ROCPRIM_304000_NS6detail28radix_sort_block_sort_kernelINS1_36wrapped_radix_sort_block_sort_configINS0_13kernel_configILj256ELj4ELj4294967295EEE6__halfN2at4cuda3cub6detail10OpaqueTypeILi8EEEEELb0EPKS6_PS6_PKSC_PSC_NS0_19identity_decomposerEEEvT1_T2_T3_T4_jT5_jj.has_indirect_call, 0
	.section	.AMDGPU.csdata,"",@progbits
; Kernel info:
; codeLenInByte = 3976
; TotalNumSgprs: 52
; NumVgprs: 53
; ScratchSize: 0
; MemoryBound: 0
; FloatMode: 240
; IeeeMode: 1
; LDSByteSize: 8192 bytes/workgroup (compile time only)
; SGPRBlocks: 8
; VGPRBlocks: 13
; NumSGPRsForWavesPerEU: 65
; NumVGPRsForWavesPerEU: 53
; Occupancy: 4
; WaveLimiterHint : 1
; COMPUTE_PGM_RSRC2:SCRATCH_EN: 0
; COMPUTE_PGM_RSRC2:USER_SGPR: 6
; COMPUTE_PGM_RSRC2:TRAP_HANDLER: 0
; COMPUTE_PGM_RSRC2:TGID_X_EN: 1
; COMPUTE_PGM_RSRC2:TGID_Y_EN: 0
; COMPUTE_PGM_RSRC2:TGID_Z_EN: 0
; COMPUTE_PGM_RSRC2:TIDIG_COMP_CNT: 2
	.section	.text._ZN7rocprim17ROCPRIM_304000_NS6detail45device_block_merge_mergepath_partition_kernelINS1_37wrapped_merge_sort_block_merge_configINS0_14default_configE6__halfN2at4cuda3cub6detail10OpaqueTypeILi8EEEEEPS5_jNS1_19radix_merge_compareILb0ELb0ES5_NS0_19identity_decomposerEEEEEvT0_T1_jPSI_T2_SI_,"axG",@progbits,_ZN7rocprim17ROCPRIM_304000_NS6detail45device_block_merge_mergepath_partition_kernelINS1_37wrapped_merge_sort_block_merge_configINS0_14default_configE6__halfN2at4cuda3cub6detail10OpaqueTypeILi8EEEEEPS5_jNS1_19radix_merge_compareILb0ELb0ES5_NS0_19identity_decomposerEEEEEvT0_T1_jPSI_T2_SI_,comdat
	.protected	_ZN7rocprim17ROCPRIM_304000_NS6detail45device_block_merge_mergepath_partition_kernelINS1_37wrapped_merge_sort_block_merge_configINS0_14default_configE6__halfN2at4cuda3cub6detail10OpaqueTypeILi8EEEEEPS5_jNS1_19radix_merge_compareILb0ELb0ES5_NS0_19identity_decomposerEEEEEvT0_T1_jPSI_T2_SI_ ; -- Begin function _ZN7rocprim17ROCPRIM_304000_NS6detail45device_block_merge_mergepath_partition_kernelINS1_37wrapped_merge_sort_block_merge_configINS0_14default_configE6__halfN2at4cuda3cub6detail10OpaqueTypeILi8EEEEEPS5_jNS1_19radix_merge_compareILb0ELb0ES5_NS0_19identity_decomposerEEEEEvT0_T1_jPSI_T2_SI_
	.globl	_ZN7rocprim17ROCPRIM_304000_NS6detail45device_block_merge_mergepath_partition_kernelINS1_37wrapped_merge_sort_block_merge_configINS0_14default_configE6__halfN2at4cuda3cub6detail10OpaqueTypeILi8EEEEEPS5_jNS1_19radix_merge_compareILb0ELb0ES5_NS0_19identity_decomposerEEEEEvT0_T1_jPSI_T2_SI_
	.p2align	8
	.type	_ZN7rocprim17ROCPRIM_304000_NS6detail45device_block_merge_mergepath_partition_kernelINS1_37wrapped_merge_sort_block_merge_configINS0_14default_configE6__halfN2at4cuda3cub6detail10OpaqueTypeILi8EEEEEPS5_jNS1_19radix_merge_compareILb0ELb0ES5_NS0_19identity_decomposerEEEEEvT0_T1_jPSI_T2_SI_,@function
_ZN7rocprim17ROCPRIM_304000_NS6detail45device_block_merge_mergepath_partition_kernelINS1_37wrapped_merge_sort_block_merge_configINS0_14default_configE6__halfN2at4cuda3cub6detail10OpaqueTypeILi8EEEEEPS5_jNS1_19radix_merge_compareILb0ELb0ES5_NS0_19identity_decomposerEEEEEvT0_T1_jPSI_T2_SI_: ; @_ZN7rocprim17ROCPRIM_304000_NS6detail45device_block_merge_mergepath_partition_kernelINS1_37wrapped_merge_sort_block_merge_configINS0_14default_configE6__halfN2at4cuda3cub6detail10OpaqueTypeILi8EEEEEPS5_jNS1_19radix_merge_compareILb0ELb0ES5_NS0_19identity_decomposerEEEEEvT0_T1_jPSI_T2_SI_
; %bb.0:
	s_load_dwordx2 s[0:1], s[4:5], 0x8
	v_lshl_or_b32 v0, s6, 7, v0
	s_waitcnt lgkmcnt(0)
	v_cmp_gt_u32_e32 vcc, s1, v0
	s_and_saveexec_b64 s[2:3], vcc
	s_cbranch_execz .LBB194_6
; %bb.1:
	s_load_dword s1, s[4:5], 0x1c
	s_waitcnt lgkmcnt(0)
	s_lshr_b32 s2, s1, 9
	s_and_b32 s2, s2, 0x7ffffe
	s_add_i32 s3, s2, -1
	s_sub_i32 s2, 0, s2
	v_and_b32_e32 v1, s2, v0
	v_lshlrev_b32_e32 v3, 10, v1
	v_min_u32_e32 v1, s0, v3
	v_add_u32_e32 v3, s1, v3
	v_min_u32_e32 v3, s0, v3
	v_add_u32_e32 v4, s1, v3
	v_and_b32_e32 v2, s3, v0
	v_min_u32_e32 v4, s0, v4
	v_lshlrev_b32_e32 v2, 10, v2
	v_sub_u32_e32 v5, v4, v1
	v_min_u32_e32 v6, v5, v2
	v_sub_u32_e32 v2, v3, v1
	v_sub_u32_e32 v4, v4, v3
	v_sub_u32_e64 v5, v6, v4 clamp
	v_min_u32_e32 v7, v6, v2
	v_cmp_lt_u32_e32 vcc, v5, v7
	s_and_saveexec_b64 s[0:1], vcc
	s_cbranch_execz .LBB194_5
; %bb.2:
	s_load_dwordx2 s[2:3], s[4:5], 0x0
	v_mov_b32_e32 v4, 0
	v_mov_b32_e32 v2, v4
	v_lshlrev_b64 v[8:9], 1, v[1:2]
	s_movk_i32 s6, 0x8000
	s_waitcnt lgkmcnt(0)
	v_mov_b32_e32 v11, s3
	v_add_co_u32_e32 v2, vcc, s2, v8
	v_addc_co_u32_e32 v8, vcc, v11, v9, vcc
	v_lshlrev_b64 v[9:10], 1, v[3:4]
	v_add_co_u32_e32 v9, vcc, s2, v9
	v_addc_co_u32_e32 v10, vcc, v11, v10, vcc
	s_mov_b64 s[2:3], 0
	v_mov_b32_e32 v11, 0xffff8000
.LBB194_3:                              ; =>This Inner Loop Header: Depth=1
	v_add_u32_e32 v3, v7, v5
	v_and_b32_e32 v12, -2, v3
	v_lshrrev_b32_e32 v14, 1, v3
	v_add_co_u32_e32 v12, vcc, v2, v12
	v_xad_u32 v3, v14, -1, v6
	v_addc_co_u32_e32 v13, vcc, 0, v8, vcc
	global_load_ushort v15, v[12:13], off
	v_lshlrev_b64 v[12:13], 1, v[3:4]
	v_add_co_u32_e32 v12, vcc, v9, v12
	v_addc_co_u32_e32 v13, vcc, v10, v13, vcc
	global_load_ushort v3, v[12:13], off
	v_add_u32_e32 v12, 1, v14
	s_waitcnt vmcnt(1)
	v_cmp_ne_u16_e32 vcc, s6, v15
	v_cndmask_b32_e32 v13, 0, v15, vcc
	v_cmp_lt_i16_e32 vcc, -1, v13
	v_cndmask_b32_e32 v15, -1, v11, vcc
	v_xor_b32_e32 v13, v15, v13
	s_waitcnt vmcnt(0)
	v_cmp_ne_u16_e32 vcc, s6, v3
	v_cndmask_b32_e32 v3, 0, v3, vcc
	v_cmp_lt_i16_e32 vcc, -1, v3
	v_cndmask_b32_e32 v15, -1, v11, vcc
	v_xor_b32_e32 v3, v15, v3
	v_cmp_gt_u16_e32 vcc, v13, v3
	v_cndmask_b32_e32 v7, v7, v14, vcc
	v_cndmask_b32_e32 v5, v12, v5, vcc
	v_cmp_ge_u32_e32 vcc, v5, v7
	s_or_b64 s[2:3], vcc, s[2:3]
	s_andn2_b64 exec, exec, s[2:3]
	s_cbranch_execnz .LBB194_3
; %bb.4:
	s_or_b64 exec, exec, s[2:3]
.LBB194_5:
	s_or_b64 exec, exec, s[0:1]
	s_load_dwordx2 s[0:1], s[4:5], 0x10
	v_add_u32_e32 v2, v5, v1
	v_mov_b32_e32 v1, 0
	v_lshlrev_b64 v[0:1], 2, v[0:1]
	s_waitcnt lgkmcnt(0)
	v_mov_b32_e32 v3, s1
	v_add_co_u32_e32 v0, vcc, s0, v0
	v_addc_co_u32_e32 v1, vcc, v3, v1, vcc
	global_store_dword v[0:1], v2, off
.LBB194_6:
	s_endpgm
	.section	.rodata,"a",@progbits
	.p2align	6, 0x0
	.amdhsa_kernel _ZN7rocprim17ROCPRIM_304000_NS6detail45device_block_merge_mergepath_partition_kernelINS1_37wrapped_merge_sort_block_merge_configINS0_14default_configE6__halfN2at4cuda3cub6detail10OpaqueTypeILi8EEEEEPS5_jNS1_19radix_merge_compareILb0ELb0ES5_NS0_19identity_decomposerEEEEEvT0_T1_jPSI_T2_SI_
		.amdhsa_group_segment_fixed_size 0
		.amdhsa_private_segment_fixed_size 0
		.amdhsa_kernarg_size 32
		.amdhsa_user_sgpr_count 6
		.amdhsa_user_sgpr_private_segment_buffer 1
		.amdhsa_user_sgpr_dispatch_ptr 0
		.amdhsa_user_sgpr_queue_ptr 0
		.amdhsa_user_sgpr_kernarg_segment_ptr 1
		.amdhsa_user_sgpr_dispatch_id 0
		.amdhsa_user_sgpr_flat_scratch_init 0
		.amdhsa_user_sgpr_private_segment_size 0
		.amdhsa_uses_dynamic_stack 0
		.amdhsa_system_sgpr_private_segment_wavefront_offset 0
		.amdhsa_system_sgpr_workgroup_id_x 1
		.amdhsa_system_sgpr_workgroup_id_y 0
		.amdhsa_system_sgpr_workgroup_id_z 0
		.amdhsa_system_sgpr_workgroup_info 0
		.amdhsa_system_vgpr_workitem_id 0
		.amdhsa_next_free_vgpr 16
		.amdhsa_next_free_sgpr 7
		.amdhsa_reserve_vcc 1
		.amdhsa_reserve_flat_scratch 0
		.amdhsa_float_round_mode_32 0
		.amdhsa_float_round_mode_16_64 0
		.amdhsa_float_denorm_mode_32 3
		.amdhsa_float_denorm_mode_16_64 3
		.amdhsa_dx10_clamp 1
		.amdhsa_ieee_mode 1
		.amdhsa_fp16_overflow 0
		.amdhsa_exception_fp_ieee_invalid_op 0
		.amdhsa_exception_fp_denorm_src 0
		.amdhsa_exception_fp_ieee_div_zero 0
		.amdhsa_exception_fp_ieee_overflow 0
		.amdhsa_exception_fp_ieee_underflow 0
		.amdhsa_exception_fp_ieee_inexact 0
		.amdhsa_exception_int_div_zero 0
	.end_amdhsa_kernel
	.section	.text._ZN7rocprim17ROCPRIM_304000_NS6detail45device_block_merge_mergepath_partition_kernelINS1_37wrapped_merge_sort_block_merge_configINS0_14default_configE6__halfN2at4cuda3cub6detail10OpaqueTypeILi8EEEEEPS5_jNS1_19radix_merge_compareILb0ELb0ES5_NS0_19identity_decomposerEEEEEvT0_T1_jPSI_T2_SI_,"axG",@progbits,_ZN7rocprim17ROCPRIM_304000_NS6detail45device_block_merge_mergepath_partition_kernelINS1_37wrapped_merge_sort_block_merge_configINS0_14default_configE6__halfN2at4cuda3cub6detail10OpaqueTypeILi8EEEEEPS5_jNS1_19radix_merge_compareILb0ELb0ES5_NS0_19identity_decomposerEEEEEvT0_T1_jPSI_T2_SI_,comdat
.Lfunc_end194:
	.size	_ZN7rocprim17ROCPRIM_304000_NS6detail45device_block_merge_mergepath_partition_kernelINS1_37wrapped_merge_sort_block_merge_configINS0_14default_configE6__halfN2at4cuda3cub6detail10OpaqueTypeILi8EEEEEPS5_jNS1_19radix_merge_compareILb0ELb0ES5_NS0_19identity_decomposerEEEEEvT0_T1_jPSI_T2_SI_, .Lfunc_end194-_ZN7rocprim17ROCPRIM_304000_NS6detail45device_block_merge_mergepath_partition_kernelINS1_37wrapped_merge_sort_block_merge_configINS0_14default_configE6__halfN2at4cuda3cub6detail10OpaqueTypeILi8EEEEEPS5_jNS1_19radix_merge_compareILb0ELb0ES5_NS0_19identity_decomposerEEEEEvT0_T1_jPSI_T2_SI_
                                        ; -- End function
	.set _ZN7rocprim17ROCPRIM_304000_NS6detail45device_block_merge_mergepath_partition_kernelINS1_37wrapped_merge_sort_block_merge_configINS0_14default_configE6__halfN2at4cuda3cub6detail10OpaqueTypeILi8EEEEEPS5_jNS1_19radix_merge_compareILb0ELb0ES5_NS0_19identity_decomposerEEEEEvT0_T1_jPSI_T2_SI_.num_vgpr, 16
	.set _ZN7rocprim17ROCPRIM_304000_NS6detail45device_block_merge_mergepath_partition_kernelINS1_37wrapped_merge_sort_block_merge_configINS0_14default_configE6__halfN2at4cuda3cub6detail10OpaqueTypeILi8EEEEEPS5_jNS1_19radix_merge_compareILb0ELb0ES5_NS0_19identity_decomposerEEEEEvT0_T1_jPSI_T2_SI_.num_agpr, 0
	.set _ZN7rocprim17ROCPRIM_304000_NS6detail45device_block_merge_mergepath_partition_kernelINS1_37wrapped_merge_sort_block_merge_configINS0_14default_configE6__halfN2at4cuda3cub6detail10OpaqueTypeILi8EEEEEPS5_jNS1_19radix_merge_compareILb0ELb0ES5_NS0_19identity_decomposerEEEEEvT0_T1_jPSI_T2_SI_.numbered_sgpr, 7
	.set _ZN7rocprim17ROCPRIM_304000_NS6detail45device_block_merge_mergepath_partition_kernelINS1_37wrapped_merge_sort_block_merge_configINS0_14default_configE6__halfN2at4cuda3cub6detail10OpaqueTypeILi8EEEEEPS5_jNS1_19radix_merge_compareILb0ELb0ES5_NS0_19identity_decomposerEEEEEvT0_T1_jPSI_T2_SI_.num_named_barrier, 0
	.set _ZN7rocprim17ROCPRIM_304000_NS6detail45device_block_merge_mergepath_partition_kernelINS1_37wrapped_merge_sort_block_merge_configINS0_14default_configE6__halfN2at4cuda3cub6detail10OpaqueTypeILi8EEEEEPS5_jNS1_19radix_merge_compareILb0ELb0ES5_NS0_19identity_decomposerEEEEEvT0_T1_jPSI_T2_SI_.private_seg_size, 0
	.set _ZN7rocprim17ROCPRIM_304000_NS6detail45device_block_merge_mergepath_partition_kernelINS1_37wrapped_merge_sort_block_merge_configINS0_14default_configE6__halfN2at4cuda3cub6detail10OpaqueTypeILi8EEEEEPS5_jNS1_19radix_merge_compareILb0ELb0ES5_NS0_19identity_decomposerEEEEEvT0_T1_jPSI_T2_SI_.uses_vcc, 1
	.set _ZN7rocprim17ROCPRIM_304000_NS6detail45device_block_merge_mergepath_partition_kernelINS1_37wrapped_merge_sort_block_merge_configINS0_14default_configE6__halfN2at4cuda3cub6detail10OpaqueTypeILi8EEEEEPS5_jNS1_19radix_merge_compareILb0ELb0ES5_NS0_19identity_decomposerEEEEEvT0_T1_jPSI_T2_SI_.uses_flat_scratch, 0
	.set _ZN7rocprim17ROCPRIM_304000_NS6detail45device_block_merge_mergepath_partition_kernelINS1_37wrapped_merge_sort_block_merge_configINS0_14default_configE6__halfN2at4cuda3cub6detail10OpaqueTypeILi8EEEEEPS5_jNS1_19radix_merge_compareILb0ELb0ES5_NS0_19identity_decomposerEEEEEvT0_T1_jPSI_T2_SI_.has_dyn_sized_stack, 0
	.set _ZN7rocprim17ROCPRIM_304000_NS6detail45device_block_merge_mergepath_partition_kernelINS1_37wrapped_merge_sort_block_merge_configINS0_14default_configE6__halfN2at4cuda3cub6detail10OpaqueTypeILi8EEEEEPS5_jNS1_19radix_merge_compareILb0ELb0ES5_NS0_19identity_decomposerEEEEEvT0_T1_jPSI_T2_SI_.has_recursion, 0
	.set _ZN7rocprim17ROCPRIM_304000_NS6detail45device_block_merge_mergepath_partition_kernelINS1_37wrapped_merge_sort_block_merge_configINS0_14default_configE6__halfN2at4cuda3cub6detail10OpaqueTypeILi8EEEEEPS5_jNS1_19radix_merge_compareILb0ELb0ES5_NS0_19identity_decomposerEEEEEvT0_T1_jPSI_T2_SI_.has_indirect_call, 0
	.section	.AMDGPU.csdata,"",@progbits
; Kernel info:
; codeLenInByte = 412
; TotalNumSgprs: 11
; NumVgprs: 16
; ScratchSize: 0
; MemoryBound: 0
; FloatMode: 240
; IeeeMode: 1
; LDSByteSize: 0 bytes/workgroup (compile time only)
; SGPRBlocks: 1
; VGPRBlocks: 3
; NumSGPRsForWavesPerEU: 11
; NumVGPRsForWavesPerEU: 16
; Occupancy: 10
; WaveLimiterHint : 0
; COMPUTE_PGM_RSRC2:SCRATCH_EN: 0
; COMPUTE_PGM_RSRC2:USER_SGPR: 6
; COMPUTE_PGM_RSRC2:TRAP_HANDLER: 0
; COMPUTE_PGM_RSRC2:TGID_X_EN: 1
; COMPUTE_PGM_RSRC2:TGID_Y_EN: 0
; COMPUTE_PGM_RSRC2:TGID_Z_EN: 0
; COMPUTE_PGM_RSRC2:TIDIG_COMP_CNT: 0
	.section	.text._ZN7rocprim17ROCPRIM_304000_NS6detail35device_block_merge_mergepath_kernelINS1_37wrapped_merge_sort_block_merge_configINS0_14default_configE6__halfN2at4cuda3cub6detail10OpaqueTypeILi8EEEEEPS5_SD_PSB_SE_jNS1_19radix_merge_compareILb0ELb0ES5_NS0_19identity_decomposerEEEEEvT0_T1_T2_T3_T4_SM_jT5_PKSM_NS1_7vsmem_tE,"axG",@progbits,_ZN7rocprim17ROCPRIM_304000_NS6detail35device_block_merge_mergepath_kernelINS1_37wrapped_merge_sort_block_merge_configINS0_14default_configE6__halfN2at4cuda3cub6detail10OpaqueTypeILi8EEEEEPS5_SD_PSB_SE_jNS1_19radix_merge_compareILb0ELb0ES5_NS0_19identity_decomposerEEEEEvT0_T1_T2_T3_T4_SM_jT5_PKSM_NS1_7vsmem_tE,comdat
	.protected	_ZN7rocprim17ROCPRIM_304000_NS6detail35device_block_merge_mergepath_kernelINS1_37wrapped_merge_sort_block_merge_configINS0_14default_configE6__halfN2at4cuda3cub6detail10OpaqueTypeILi8EEEEEPS5_SD_PSB_SE_jNS1_19radix_merge_compareILb0ELb0ES5_NS0_19identity_decomposerEEEEEvT0_T1_T2_T3_T4_SM_jT5_PKSM_NS1_7vsmem_tE ; -- Begin function _ZN7rocprim17ROCPRIM_304000_NS6detail35device_block_merge_mergepath_kernelINS1_37wrapped_merge_sort_block_merge_configINS0_14default_configE6__halfN2at4cuda3cub6detail10OpaqueTypeILi8EEEEEPS5_SD_PSB_SE_jNS1_19radix_merge_compareILb0ELb0ES5_NS0_19identity_decomposerEEEEEvT0_T1_T2_T3_T4_SM_jT5_PKSM_NS1_7vsmem_tE
	.globl	_ZN7rocprim17ROCPRIM_304000_NS6detail35device_block_merge_mergepath_kernelINS1_37wrapped_merge_sort_block_merge_configINS0_14default_configE6__halfN2at4cuda3cub6detail10OpaqueTypeILi8EEEEEPS5_SD_PSB_SE_jNS1_19radix_merge_compareILb0ELb0ES5_NS0_19identity_decomposerEEEEEvT0_T1_T2_T3_T4_SM_jT5_PKSM_NS1_7vsmem_tE
	.p2align	8
	.type	_ZN7rocprim17ROCPRIM_304000_NS6detail35device_block_merge_mergepath_kernelINS1_37wrapped_merge_sort_block_merge_configINS0_14default_configE6__halfN2at4cuda3cub6detail10OpaqueTypeILi8EEEEEPS5_SD_PSB_SE_jNS1_19radix_merge_compareILb0ELb0ES5_NS0_19identity_decomposerEEEEEvT0_T1_T2_T3_T4_SM_jT5_PKSM_NS1_7vsmem_tE,@function
_ZN7rocprim17ROCPRIM_304000_NS6detail35device_block_merge_mergepath_kernelINS1_37wrapped_merge_sort_block_merge_configINS0_14default_configE6__halfN2at4cuda3cub6detail10OpaqueTypeILi8EEEEEPS5_SD_PSB_SE_jNS1_19radix_merge_compareILb0ELb0ES5_NS0_19identity_decomposerEEEEEvT0_T1_T2_T3_T4_SM_jT5_PKSM_NS1_7vsmem_tE: ; @_ZN7rocprim17ROCPRIM_304000_NS6detail35device_block_merge_mergepath_kernelINS1_37wrapped_merge_sort_block_merge_configINS0_14default_configE6__halfN2at4cuda3cub6detail10OpaqueTypeILi8EEEEEPS5_SD_PSB_SE_jNS1_19radix_merge_compareILb0ELb0ES5_NS0_19identity_decomposerEEEEEvT0_T1_T2_T3_T4_SM_jT5_PKSM_NS1_7vsmem_tE
; %bb.0:
	s_load_dwordx2 s[26:27], s[4:5], 0x40
	s_load_dwordx4 s[16:19], s[4:5], 0x20
	s_add_u32 s2, s4, 64
	s_addc_u32 s3, s5, 0
	s_waitcnt lgkmcnt(0)
	s_mul_i32 s0, s27, s8
	s_add_i32 s0, s0, s7
	s_mul_i32 s0, s0, s26
	s_add_i32 s0, s0, s6
	s_cmp_ge_u32 s0, s18
	s_cbranch_scc1 .LBB195_83
; %bb.1:
	s_load_dwordx8 s[8:15], s[4:5], 0x0
	s_load_dwordx2 s[18:19], s[4:5], 0x30
	s_lshr_b32 s27, s16, 10
	s_cmp_lg_u32 s0, s27
	s_mov_b32 s1, 0
	s_cselect_b64 s[20:21], -1, 0
	s_lshl_b64 s[4:5], s[0:1], 2
	s_waitcnt lgkmcnt(0)
	s_add_u32 s4, s18, s4
	s_addc_u32 s5, s19, s5
	s_load_dwordx2 s[22:23], s[4:5], 0x0
	s_lshr_b32 s4, s17, 9
	s_and_b32 s4, s4, 0x7ffffe
	s_sub_i32 s4, 0, s4
	s_and_b32 s5, s0, s4
	s_lshl_b32 s7, s5, 10
	s_lshl_b32 s18, s0, 10
	;; [unrolled: 1-line block ×3, first 2 shown]
	s_sub_i32 s19, s18, s7
	s_add_i32 s5, s5, s17
	s_add_i32 s19, s5, s19
	s_waitcnt lgkmcnt(0)
	s_sub_i32 s24, s19, s22
	s_sub_i32 s19, s19, s23
	;; [unrolled: 1-line block ×3, first 2 shown]
	s_min_u32 s24, s16, s24
	s_addk_i32 s19, 0x400
	s_or_b32 s4, s0, s4
	s_min_u32 s7, s16, s5
	s_add_i32 s5, s5, s17
	s_cmp_eq_u32 s4, -1
	s_cselect_b32 s4, s5, s19
	s_cselect_b32 s5, s7, s23
	s_min_u32 s4, s4, s16
	s_mov_b32 s23, s1
	s_sub_i32 s19, s5, s22
	s_sub_i32 s30, s4, s24
	s_lshl_b64 s[28:29], s[22:23], 1
	s_add_u32 s5, s8, s28
	s_mov_b32 s25, s1
	s_addc_u32 s7, s9, s29
	s_lshl_b64 s[28:29], s[24:25], 1
	s_add_u32 s4, s8, s28
	v_mov_b32_e32 v2, 0
	global_load_dword v1, v2, s[2:3] offset:14
	s_addc_u32 s8, s9, s29
	s_cmp_lt_u32 s6, s26
	s_cselect_b32 s1, 12, 18
	s_add_u32 s2, s2, s1
	s_addc_u32 s3, s3, 0
	global_load_ushort v3, v2, s[2:3]
	s_cmp_eq_u32 s0, s27
	v_cmp_gt_u32_e32 vcc, s19, v0
	v_lshlrev_b32_e32 v5, 1, v0
	s_waitcnt vmcnt(1)
	v_lshrrev_b32_e32 v4, 16, v1
	v_and_b32_e32 v1, 0xffff, v1
	v_mul_lo_u32 v1, v1, v4
	s_waitcnt vmcnt(0)
	v_mul_lo_u32 v3, v1, v3
	v_add_u32_e32 v1, v3, v0
	s_cbranch_scc1 .LBB195_3
; %bb.2:
	v_mov_b32_e32 v4, s7
	v_add_co_u32_e64 v6, s[0:1], s5, v5
	v_subrev_u32_e32 v7, s19, v0
	v_addc_co_u32_e64 v4, s[0:1], 0, v4, s[0:1]
	v_lshlrev_b32_e32 v7, 1, v7
	v_mov_b32_e32 v8, s8
	v_add_co_u32_e64 v9, s[0:1], s4, v7
	v_addc_co_u32_e64 v7, s[0:1], 0, v8, s[0:1]
	v_cndmask_b32_e32 v7, v7, v4, vcc
	v_cndmask_b32_e32 v6, v9, v6, vcc
	global_load_ushort v6, v[6:7], off
	v_lshlrev_b64 v[7:8], 1, v[1:2]
	v_mov_b32_e32 v4, s7
	v_add_co_u32_e32 v9, vcc, s5, v7
	v_addc_co_u32_e32 v4, vcc, v4, v8, vcc
	v_subrev_co_u32_e32 v7, vcc, s19, v1
	v_mov_b32_e32 v8, v2
	v_lshlrev_b64 v[7:8], 1, v[7:8]
	v_mov_b32_e32 v10, s8
	v_add_co_u32_e64 v7, s[0:1], s4, v7
	v_addc_co_u32_e64 v8, s[0:1], v10, v8, s[0:1]
	v_add_u32_e32 v10, v1, v3
	v_mov_b32_e32 v11, v2
	v_lshlrev_b64 v[11:12], 1, v[10:11]
	v_cndmask_b32_e32 v8, v8, v4, vcc
	v_cndmask_b32_e32 v7, v7, v9, vcc
	global_load_ushort v8, v[7:8], off
	v_mov_b32_e32 v4, s7
	v_add_co_u32_e32 v7, vcc, s5, v11
	v_addc_co_u32_e32 v4, vcc, v4, v12, vcc
	v_subrev_co_u32_e32 v11, vcc, s19, v10
	v_mov_b32_e32 v12, v2
	v_lshlrev_b64 v[11:12], 1, v[11:12]
	v_mov_b32_e32 v9, s8
	v_add_co_u32_e64 v11, s[0:1], s4, v11
	v_addc_co_u32_e64 v9, s[0:1], v9, v12, s[0:1]
	v_cndmask_b32_e32 v12, v9, v4, vcc
	v_cndmask_b32_e32 v11, v11, v7, vcc
	global_load_ushort v9, v[11:12], off
	v_add_u32_e32 v10, v10, v3
	v_mov_b32_e32 v11, v2
	v_lshlrev_b64 v[11:12], 1, v[10:11]
	v_mov_b32_e32 v4, s7
	v_add_co_u32_e32 v7, vcc, s5, v11
	v_addc_co_u32_e32 v4, vcc, v4, v12, vcc
	v_subrev_co_u32_e32 v10, vcc, s19, v10
	v_mov_b32_e32 v11, v2
	v_lshlrev_b64 v[10:11], 1, v[10:11]
	v_mov_b32_e32 v2, s8
	v_add_co_u32_e64 v10, s[0:1], s4, v10
	v_addc_co_u32_e64 v2, s[0:1], v2, v11, s[0:1]
	v_cndmask_b32_e32 v11, v2, v4, vcc
	v_cndmask_b32_e32 v10, v10, v7, vcc
	global_load_ushort v10, v[10:11], off
	s_add_i32 s17, s30, s19
	s_cbranch_execz .LBB195_4
	s_branch .LBB195_13
.LBB195_3:
                                        ; implicit-def: $vgpr10
                                        ; implicit-def: $vgpr9
                                        ; implicit-def: $vgpr8
                                        ; implicit-def: $vgpr6
                                        ; implicit-def: $sgpr17
.LBB195_4:
	s_add_i32 s17, s30, s19
	v_cmp_gt_u32_e32 vcc, s17, v0
                                        ; implicit-def: $vgpr6
	s_and_saveexec_b64 s[0:1], vcc
	s_cbranch_execz .LBB195_6
; %bb.5:
	v_mov_b32_e32 v2, s7
	v_add_co_u32_e32 v4, vcc, s5, v5
	s_waitcnt vmcnt(3)
	v_subrev_u32_e32 v6, s19, v0
	v_addc_co_u32_e32 v2, vcc, 0, v2, vcc
	v_lshlrev_b32_e32 v6, 1, v6
	v_mov_b32_e32 v7, s8
	v_add_co_u32_e32 v6, vcc, s4, v6
	v_addc_co_u32_e32 v7, vcc, 0, v7, vcc
	v_cmp_gt_u32_e32 vcc, s19, v0
	v_cndmask_b32_e32 v7, v7, v2, vcc
	v_cndmask_b32_e32 v6, v6, v4, vcc
	global_load_ushort v6, v[6:7], off
.LBB195_6:
	s_or_b64 exec, exec, s[0:1]
	v_cmp_gt_u32_e32 vcc, s17, v1
                                        ; implicit-def: $vgpr8
	s_and_saveexec_b64 s[2:3], vcc
	s_cbranch_execz .LBB195_8
; %bb.7:
	v_mov_b32_e32 v2, 0
	s_waitcnt vmcnt(2)
	v_lshlrev_b64 v[7:8], 1, v[1:2]
	v_mov_b32_e32 v4, s7
	s_waitcnt vmcnt(1)
	v_add_co_u32_e32 v9, vcc, s5, v7
	v_addc_co_u32_e32 v4, vcc, v4, v8, vcc
	v_subrev_co_u32_e32 v7, vcc, s19, v1
	v_mov_b32_e32 v8, v2
	v_lshlrev_b64 v[7:8], 1, v[7:8]
	v_mov_b32_e32 v2, s8
	v_add_co_u32_e64 v7, s[0:1], s4, v7
	v_addc_co_u32_e64 v2, s[0:1], v2, v8, s[0:1]
	v_cndmask_b32_e32 v8, v2, v4, vcc
	v_cndmask_b32_e32 v7, v7, v9, vcc
	global_load_ushort v8, v[7:8], off
.LBB195_8:
	s_or_b64 exec, exec, s[2:3]
	v_add_u32_e32 v1, v1, v3
	v_cmp_gt_u32_e32 vcc, s17, v1
                                        ; implicit-def: $vgpr9
	s_and_saveexec_b64 s[2:3], vcc
	s_cbranch_execz .LBB195_10
; %bb.9:
	v_mov_b32_e32 v2, 0
	s_waitcnt vmcnt(0)
	v_lshlrev_b64 v[9:10], 1, v[1:2]
	v_mov_b32_e32 v4, s7
	v_add_co_u32_e32 v7, vcc, s5, v9
	v_addc_co_u32_e32 v4, vcc, v4, v10, vcc
	v_subrev_co_u32_e32 v9, vcc, s19, v1
	v_mov_b32_e32 v10, v2
	v_lshlrev_b64 v[9:10], 1, v[9:10]
	v_mov_b32_e32 v2, s8
	v_add_co_u32_e64 v9, s[0:1], s4, v9
	v_addc_co_u32_e64 v2, s[0:1], v2, v10, s[0:1]
	v_cndmask_b32_e32 v10, v2, v4, vcc
	v_cndmask_b32_e32 v9, v9, v7, vcc
	global_load_ushort v9, v[9:10], off
.LBB195_10:
	s_or_b64 exec, exec, s[2:3]
	v_add_u32_e32 v1, v1, v3
	v_cmp_gt_u32_e32 vcc, s17, v1
                                        ; implicit-def: $vgpr10
	s_and_saveexec_b64 s[2:3], vcc
	s_cbranch_execz .LBB195_12
; %bb.11:
	v_mov_b32_e32 v2, 0
	v_lshlrev_b64 v[3:4], 1, v[1:2]
	v_mov_b32_e32 v7, s7
	v_add_co_u32_e32 v3, vcc, s5, v3
	v_addc_co_u32_e32 v4, vcc, v7, v4, vcc
	v_subrev_co_u32_e32 v1, vcc, s19, v1
	v_lshlrev_b64 v[1:2], 1, v[1:2]
	v_mov_b32_e32 v7, s8
	v_add_co_u32_e64 v1, s[0:1], s4, v1
	v_addc_co_u32_e64 v2, s[0:1], v7, v2, s[0:1]
	v_cndmask_b32_e32 v2, v2, v4, vcc
	v_cndmask_b32_e32 v1, v1, v3, vcc
	global_load_ushort v10, v[1:2], off
.LBB195_12:
	s_or_b64 exec, exec, s[2:3]
.LBB195_13:
	v_lshlrev_b32_e32 v7, 2, v0
	v_min_u32_e32 v1, s17, v7
	v_sub_u32_e64 v3, v1, s30 clamp
	v_min_u32_e32 v2, s19, v1
	v_cmp_lt_u32_e32 vcc, v3, v2
	s_waitcnt vmcnt(0)
	ds_write_b16 v5, v6
	ds_write_b16 v5, v8 offset:512
	ds_write_b16 v5, v9 offset:1024
	;; [unrolled: 1-line block ×3, first 2 shown]
	s_waitcnt lgkmcnt(0)
	s_barrier
	s_and_saveexec_b64 s[0:1], vcc
	s_cbranch_execz .LBB195_17
; %bb.14:
	v_lshlrev_b32_e32 v4, 1, v1
	v_lshl_add_u32 v4, s19, 1, v4
	s_mov_b64 s[2:3], 0
	s_movk_i32 s4, 0x8000
	v_mov_b32_e32 v11, 0xffff8000
.LBB195_15:                             ; =>This Inner Loop Header: Depth=1
	v_add_u32_e32 v12, v2, v3
	v_lshrrev_b32_e32 v13, 1, v12
	v_and_b32_e32 v12, -2, v12
	ds_read_u16 v12, v12
	v_not_b32_e32 v14, v13
	v_lshl_add_u32 v14, v14, 1, v4
	ds_read_u16 v14, v14
	v_add_u32_e32 v15, 1, v13
	s_waitcnt lgkmcnt(1)
	v_cmp_ne_u16_e32 vcc, s4, v12
	v_cndmask_b32_e32 v12, 0, v12, vcc
	v_cmp_lt_i16_e32 vcc, -1, v12
	v_cndmask_b32_e32 v16, -1, v11, vcc
	s_waitcnt lgkmcnt(0)
	v_cmp_ne_u16_e32 vcc, s4, v14
	v_cndmask_b32_e32 v14, 0, v14, vcc
	v_cmp_lt_i16_e32 vcc, -1, v14
	v_xor_b32_e32 v12, v16, v12
	v_cndmask_b32_e32 v16, -1, v11, vcc
	v_xor_b32_e32 v14, v16, v14
	v_cmp_gt_u16_e32 vcc, v12, v14
	v_cndmask_b32_e32 v2, v2, v13, vcc
	v_cndmask_b32_e32 v3, v15, v3, vcc
	v_cmp_ge_u32_e32 vcc, v3, v2
	s_or_b64 s[2:3], vcc, s[2:3]
	s_andn2_b64 exec, exec, s[2:3]
	s_cbranch_execnz .LBB195_15
; %bb.16:
	s_or_b64 exec, exec, s[2:3]
.LBB195_17:
	s_or_b64 exec, exec, s[0:1]
	v_sub_u32_e32 v1, v1, v3
	v_add_u32_e32 v15, s19, v1
	v_cmp_ge_u32_e32 vcc, s19, v3
	v_cmp_ge_u32_e64 s[0:1], s17, v15
	s_or_b64 s[0:1], vcc, s[0:1]
	v_mov_b32_e32 v14, 0
	v_mov_b32_e32 v13, 0
	;; [unrolled: 1-line block ×4, first 2 shown]
	s_and_saveexec_b64 s[2:3], s[0:1]
	s_cbranch_execz .LBB195_37
; %bb.18:
	v_cmp_le_u32_e32 vcc, s19, v3
	v_cmp_gt_u32_e64 s[0:1], s19, v3
                                        ; implicit-def: $vgpr1
	s_and_saveexec_b64 s[4:5], s[0:1]
; %bb.19:
	v_lshlrev_b32_e32 v1, 1, v3
	ds_read_u16 v1, v1
; %bb.20:
	s_or_b64 exec, exec, s[4:5]
	v_cmp_le_u32_e64 s[4:5], s17, v15
	v_cmp_gt_u32_e64 s[0:1], s17, v15
                                        ; implicit-def: $vgpr2
	s_and_saveexec_b64 s[6:7], s[0:1]
; %bb.21:
	v_lshlrev_b32_e32 v2, 1, v15
	ds_read_u16 v2, v2
; %bb.22:
	s_or_b64 exec, exec, s[6:7]
	s_nor_b64 s[6:7], vcc, s[4:5]
	s_and_saveexec_b64 s[0:1], s[6:7]
	s_cbranch_execz .LBB195_24
; %bb.23:
	s_movk_i32 s6, 0x8000
	s_waitcnt lgkmcnt(0)
	v_cmp_ne_u16_e32 vcc, s6, v1
	v_cndmask_b32_e32 v4, 0, v1, vcc
	v_cmp_ne_u16_e32 vcc, s6, v2
	v_cndmask_b32_e32 v6, 0, v2, vcc
	v_mov_b32_e32 v8, 0xffff8000
	v_cmp_lt_i16_e32 vcc, -1, v4
	v_cndmask_b32_e32 v9, -1, v8, vcc
	v_cmp_lt_i16_e32 vcc, -1, v6
	v_cndmask_b32_e32 v8, -1, v8, vcc
	v_xor_b32_e32 v4, v9, v4
	v_xor_b32_e32 v6, v8, v6
	v_cmp_le_u16_e32 vcc, v4, v6
	s_andn2_b64 s[4:5], s[4:5], exec
	s_and_b64 s[6:7], vcc, exec
	s_or_b64 s[4:5], s[4:5], s[6:7]
.LBB195_24:
	s_or_b64 exec, exec, s[0:1]
	v_mov_b32_e32 v4, s17
	v_mov_b32_e32 v6, s19
	v_cndmask_b32_e64 v11, v15, v3, s[4:5]
	v_cndmask_b32_e64 v4, v4, v6, s[4:5]
	v_add_u32_e32 v8, 1, v11
	v_add_u32_e32 v4, -1, v4
	v_min_u32_e32 v4, v8, v4
	v_lshlrev_b32_e32 v4, 1, v4
	ds_read_u16 v6, v4
	v_cndmask_b32_e64 v9, v8, v15, s[4:5]
	v_cndmask_b32_e64 v10, v3, v8, s[4:5]
	v_cmp_gt_u32_e32 vcc, s17, v9
	s_mov_b64 s[6:7], -1
	s_waitcnt lgkmcnt(0)
	v_cndmask_b32_e64 v4, v6, v2, s[4:5]
	v_cndmask_b32_e64 v6, v1, v6, s[4:5]
	s_mov_b64 s[0:1], -1
	s_and_saveexec_b64 s[8:9], vcc
	s_cbranch_execz .LBB195_28
; %bb.25:
	v_cmp_gt_u32_e32 vcc, s19, v10
	s_mov_b64 s[26:27], 0
	s_and_saveexec_b64 s[0:1], vcc
	s_cbranch_execz .LBB195_27
; %bb.26:
	s_movk_i32 s26, 0x8000
	v_cmp_ne_u16_e32 vcc, s26, v6
	v_cndmask_b32_e32 v3, 0, v6, vcc
	v_cmp_ne_u16_e32 vcc, s26, v4
	v_cndmask_b32_e32 v8, 0, v4, vcc
	v_mov_b32_e32 v12, 0xffff8000
	v_cmp_lt_i16_e32 vcc, -1, v3
	v_cndmask_b32_e32 v13, -1, v12, vcc
	v_cmp_lt_i16_e32 vcc, -1, v8
	v_cndmask_b32_e32 v12, -1, v12, vcc
	v_xor_b32_e32 v3, v13, v3
	v_xor_b32_e32 v8, v12, v8
	v_cmp_le_u16_e32 vcc, v3, v8
	s_and_b64 s[26:27], vcc, exec
.LBB195_27:
	s_or_b64 exec, exec, s[0:1]
	s_orn2_b64 s[0:1], s[26:27], exec
.LBB195_28:
	s_or_b64 exec, exec, s[8:9]
	v_mov_b32_e32 v3, s17
	v_mov_b32_e32 v8, s19
	v_cndmask_b32_e64 v12, v9, v10, s[0:1]
	v_cndmask_b32_e64 v3, v3, v8, s[0:1]
	v_add_u32_e32 v13, 1, v12
	v_add_u32_e32 v3, -1, v3
	v_min_u32_e32 v3, v13, v3
	v_lshlrev_b32_e32 v3, 1, v3
	ds_read_u16 v8, v3
	v_cndmask_b32_e64 v9, v13, v9, s[0:1]
	v_cndmask_b32_e64 v10, v10, v13, s[0:1]
	v_cmp_gt_u32_e32 vcc, s17, v9
	s_waitcnt lgkmcnt(0)
	v_cndmask_b32_e64 v3, v8, v4, s[0:1]
	v_cndmask_b32_e64 v8, v6, v8, s[0:1]
	s_and_saveexec_b64 s[8:9], vcc
	s_cbranch_execz .LBB195_32
; %bb.29:
	v_cmp_gt_u32_e32 vcc, s19, v10
	s_mov_b64 s[26:27], 0
	s_and_saveexec_b64 s[6:7], vcc
	s_cbranch_execz .LBB195_31
; %bb.30:
	s_movk_i32 s26, 0x8000
	v_cmp_ne_u16_e32 vcc, s26, v8
	v_cndmask_b32_e32 v13, 0, v8, vcc
	v_cmp_ne_u16_e32 vcc, s26, v3
	v_cndmask_b32_e32 v14, 0, v3, vcc
	v_mov_b32_e32 v15, 0xffff8000
	v_cmp_lt_i16_e32 vcc, -1, v13
	v_cndmask_b32_e32 v16, -1, v15, vcc
	v_cmp_lt_i16_e32 vcc, -1, v14
	v_cndmask_b32_e32 v15, -1, v15, vcc
	v_xor_b32_e32 v13, v16, v13
	v_xor_b32_e32 v14, v15, v14
	v_cmp_le_u16_e32 vcc, v13, v14
	s_and_b64 s[26:27], vcc, exec
.LBB195_31:
	s_or_b64 exec, exec, s[6:7]
	s_orn2_b64 s[6:7], s[26:27], exec
.LBB195_32:
	s_or_b64 exec, exec, s[8:9]
	v_mov_b32_e32 v14, s17
	v_mov_b32_e32 v15, s19
	v_cndmask_b32_e64 v13, v9, v10, s[6:7]
	v_cndmask_b32_e64 v14, v14, v15, s[6:7]
	v_add_u32_e32 v17, 1, v13
	v_add_u32_e32 v14, -1, v14
	v_min_u32_e32 v14, v17, v14
	v_lshlrev_b32_e32 v14, 1, v14
	ds_read_u16 v14, v14
	v_cndmask_b32_e64 v10, v10, v17, s[6:7]
	s_mov_b64 s[26:27], -1
	s_waitcnt lgkmcnt(0)
	v_cndmask_b32_e64 v15, v14, v3, s[6:7]
	v_cndmask_b32_e64 v16, v8, v14, s[6:7]
	;; [unrolled: 1-line block ×3, first 2 shown]
	v_cmp_gt_u32_e32 vcc, s17, v14
	s_and_saveexec_b64 s[8:9], vcc
	s_cbranch_execz .LBB195_36
; %bb.33:
	v_cmp_gt_u32_e32 vcc, s19, v10
	s_mov_b64 s[28:29], 0
	s_and_saveexec_b64 s[26:27], vcc
	s_cbranch_execz .LBB195_35
; %bb.34:
	s_movk_i32 s28, 0x8000
	v_cmp_ne_u16_e32 vcc, s28, v16
	v_cndmask_b32_e32 v9, 0, v16, vcc
	v_cmp_ne_u16_e32 vcc, s28, v15
	v_cndmask_b32_e32 v17, 0, v15, vcc
	v_mov_b32_e32 v18, 0xffff8000
	v_cmp_lt_i16_e32 vcc, -1, v9
	v_cndmask_b32_e32 v19, -1, v18, vcc
	v_cmp_lt_i16_e32 vcc, -1, v17
	v_cndmask_b32_e32 v18, -1, v18, vcc
	v_xor_b32_e32 v9, v19, v9
	v_xor_b32_e32 v17, v18, v17
	v_cmp_le_u16_e32 vcc, v9, v17
	s_and_b64 s[28:29], vcc, exec
.LBB195_35:
	s_or_b64 exec, exec, s[26:27]
	s_orn2_b64 s[26:27], s[28:29], exec
.LBB195_36:
	s_or_b64 exec, exec, s[8:9]
	v_cndmask_b32_e64 v9, v3, v8, s[6:7]
	v_cndmask_b32_e64 v8, v4, v6, s[0:1]
	;; [unrolled: 1-line block ×5, first 2 shown]
.LBB195_37:
	s_or_b64 exec, exec, s[2:3]
	s_lshl_b64 s[0:1], s[22:23], 3
	s_add_u32 s8, s12, s0
	s_addc_u32 s9, s13, s1
	s_lshl_b64 s[0:1], s[24:25], 3
	s_add_u32 s6, s12, s0
	v_cndmask_b32_e64 v1, 0, 1, s[20:21]
	s_addc_u32 s7, s13, s1
	v_cmp_gt_u32_e64 s[4:5], s19, v0
	v_cmp_ne_u32_e64 s[0:1], 1, v1
	s_andn2_b64 vcc, exec, s[20:21]
	v_cmp_le_u32_e64 s[2:3], s19, v0
	s_barrier
	s_cbranch_vccnz .LBB195_39
; %bb.38:
	v_lshlrev_b32_e32 v4, 3, v0
	v_mov_b32_e32 v1, s9
	v_add_co_u32_e32 v3, vcc, s8, v4
	v_subrev_u32_e32 v2, s19, v0
	v_addc_co_u32_e32 v1, vcc, 0, v1, vcc
	v_lshlrev_b32_e32 v2, 3, v2
	v_mov_b32_e32 v15, s7
	v_add_co_u32_e32 v16, vcc, s6, v2
	v_addc_co_u32_e32 v2, vcc, 0, v15, vcc
	v_cndmask_b32_e64 v2, v2, v1, s[4:5]
	v_cndmask_b32_e64 v1, v16, v3, s[4:5]
	global_load_dwordx2 v[16:17], v[1:2], off
	v_or_b32_e32 v1, 0x100, v0
	v_subrev_u32_e32 v2, s19, v1
	v_min_u32_e32 v2, v1, v2
	v_cmp_gt_u32_e32 vcc, s19, v1
	v_mov_b32_e32 v23, s6
	v_mov_b32_e32 v24, s8
	;; [unrolled: 1-line block ×4, first 2 shown]
	v_cndmask_b32_e32 v1, v23, v24, vcc
	v_lshlrev_b32_e32 v2, 3, v2
	v_cndmask_b32_e32 v15, v3, v22, vcc
	v_add_co_u32_e32 v1, vcc, v1, v2
	v_addc_co_u32_e32 v2, vcc, 0, v15, vcc
	global_load_dwordx2 v[18:19], v[1:2], off
	v_or_b32_e32 v1, 0x200, v0
	v_subrev_u32_e32 v2, s19, v1
	v_min_u32_e32 v2, v1, v2
	v_cmp_gt_u32_e32 vcc, s19, v1
	v_cndmask_b32_e32 v1, v23, v24, vcc
	v_lshlrev_b32_e32 v2, 3, v2
	v_cndmask_b32_e32 v15, v3, v22, vcc
	v_add_co_u32_e32 v1, vcc, v1, v2
	v_addc_co_u32_e32 v2, vcc, 0, v15, vcc
	global_load_dwordx2 v[20:21], v[1:2], off
	v_or_b32_e32 v15, 0x300, v0
	v_subrev_u32_e32 v1, s19, v15
	v_cmp_gt_u32_e32 vcc, s19, v15
	v_cndmask_b32_e32 v2, v3, v22, vcc
	v_min_u32_e32 v3, v15, v1
	v_cndmask_b32_e32 v1, v23, v24, vcc
	s_mov_b64 s[4:5], -1
	s_waitcnt vmcnt(1)
	ds_write2st64_b64 v4, v[16:17], v[18:19] offset1:4
	s_waitcnt vmcnt(0)
	ds_write_b64 v4, v[20:21] offset:4096
	s_cbranch_execz .LBB195_40
	s_branch .LBB195_57
.LBB195_39:
	s_mov_b64 s[4:5], 0
                                        ; implicit-def: $vgpr15
                                        ; implicit-def: $vgpr1_vgpr2
                                        ; implicit-def: $vgpr3
.LBB195_40:
	s_and_saveexec_b64 s[4:5], s[2:3]
	s_xor_b64 s[2:3], exec, s[4:5]
	s_cbranch_execz .LBB195_44
; %bb.41:
	v_subrev_u32_e32 v1, s19, v0
	v_cmp_gt_u32_e32 vcc, s30, v1
	s_and_saveexec_b64 s[4:5], vcc
	s_cbranch_execz .LBB195_43
; %bb.42:
	v_lshlrev_b32_e32 v1, 3, v1
	global_load_dwordx2 v[1:2], v1, s[6:7]
	v_mad_u32_u24 v3, v0, 6, v5
	s_waitcnt vmcnt(0)
	ds_write_b64 v3, v[1:2]
.LBB195_43:
	s_or_b64 exec, exec, s[4:5]
.LBB195_44:
	s_or_saveexec_b64 s[2:3], s[2:3]
	v_mad_u32_u24 v3, v0, 6, v5
	s_xor_b64 exec, exec, s[2:3]
	s_cbranch_execz .LBB195_46
; %bb.45:
	v_lshlrev_b32_e32 v1, 3, v0
	global_load_dwordx2 v[1:2], v1, s[8:9]
	s_waitcnt vmcnt(0)
	ds_write_b64 v3, v[1:2]
.LBB195_46:
	s_or_b64 exec, exec, s[2:3]
	v_or_b32_e32 v4, 0x100, v0
	v_mov_b32_e32 v1, s22
	v_cmp_le_u32_e32 vcc, s19, v4
	s_mov_b64 s[2:3], -1
	v_mov_b32_e32 v2, s23
	s_and_saveexec_b64 s[4:5], vcc
; %bb.47:
	v_subrev_u32_e32 v4, s19, v4
	v_cmp_gt_u32_e32 vcc, s30, v4
	v_mov_b32_e32 v1, s24
	v_mov_b32_e32 v2, s25
	s_orn2_b64 s[2:3], vcc, exec
; %bb.48:
	s_or_b64 exec, exec, s[4:5]
	s_and_saveexec_b64 s[4:5], s[2:3]
	s_cbranch_execz .LBB195_50
; %bb.49:
	v_lshlrev_b64 v[1:2], 3, v[1:2]
	v_mov_b32_e32 v15, s13
	v_add_co_u32_e32 v1, vcc, s12, v1
	v_addc_co_u32_e32 v2, vcc, v15, v2, vcc
	v_lshlrev_b32_e32 v4, 3, v4
	v_add_co_u32_e32 v1, vcc, v1, v4
	v_addc_co_u32_e32 v2, vcc, 0, v2, vcc
	global_load_dwordx2 v[1:2], v[1:2], off
	s_waitcnt vmcnt(0)
	ds_write_b64 v3, v[1:2] offset:2048
.LBB195_50:
	s_or_b64 exec, exec, s[4:5]
	v_or_b32_e32 v4, 0x200, v0
	v_mov_b32_e32 v1, s22
	v_cmp_le_u32_e32 vcc, s19, v4
	s_mov_b64 s[2:3], -1
	v_mov_b32_e32 v2, s23
	s_and_saveexec_b64 s[4:5], vcc
; %bb.51:
	v_subrev_u32_e32 v4, s19, v4
	v_cmp_gt_u32_e32 vcc, s30, v4
	v_mov_b32_e32 v1, s24
	v_mov_b32_e32 v2, s25
	s_orn2_b64 s[2:3], vcc, exec
; %bb.52:
	s_or_b64 exec, exec, s[4:5]
	s_and_saveexec_b64 s[4:5], s[2:3]
	s_cbranch_execz .LBB195_54
; %bb.53:
	v_lshlrev_b64 v[1:2], 3, v[1:2]
	v_mov_b32_e32 v15, s13
	v_add_co_u32_e32 v1, vcc, s12, v1
	v_addc_co_u32_e32 v2, vcc, v15, v2, vcc
	v_lshlrev_b32_e32 v4, 3, v4
	v_add_co_u32_e32 v1, vcc, v1, v4
	v_addc_co_u32_e32 v2, vcc, 0, v2, vcc
	global_load_dwordx2 v[1:2], v[1:2], off
	s_waitcnt vmcnt(0)
	ds_write_b64 v3, v[1:2] offset:4096
.LBB195_54:
	s_or_b64 exec, exec, s[4:5]
	v_or_b32_e32 v15, 0x300, v0
	v_mov_b32_e32 v1, s8
	v_cmp_le_u32_e32 vcc, s19, v15
	s_mov_b64 s[4:5], -1
	v_mov_b32_e32 v2, s9
	v_mov_b32_e32 v3, v15
	s_and_saveexec_b64 s[2:3], vcc
; %bb.55:
	v_subrev_u32_e32 v3, s19, v15
	v_cmp_gt_u32_e32 vcc, s30, v3
	v_mov_b32_e32 v1, s6
	v_mov_b32_e32 v2, s7
	s_orn2_b64 s[4:5], vcc, exec
; %bb.56:
	s_or_b64 exec, exec, s[2:3]
.LBB195_57:
	s_and_saveexec_b64 s[2:3], s[4:5]
	s_cbranch_execz .LBB195_59
; %bb.58:
	v_mov_b32_e32 v4, 0
	v_lshlrev_b64 v[3:4], 3, v[3:4]
	v_add_co_u32_e32 v1, vcc, v1, v3
	v_addc_co_u32_e32 v2, vcc, v2, v4, vcc
	global_load_dwordx2 v[1:2], v[1:2], off
	v_lshlrev_b32_e32 v3, 3, v15
	s_waitcnt vmcnt(0)
	ds_write_b64 v3, v[1:2]
.LBB195_59:
	s_or_b64 exec, exec, s[2:3]
	s_and_b64 vcc, exec, s[0:1]
	v_add_u32_e32 v1, s18, v7
	s_waitcnt lgkmcnt(0)
	s_barrier
	s_cbranch_vccnz .LBB195_61
; %bb.60:
	v_lshlrev_b32_e32 v15, 3, v11
	v_lshlrev_b32_e32 v17, 3, v12
	;; [unrolled: 1-line block ×3, first 2 shown]
	v_mov_b32_e32 v2, 0
	ds_read_b64 v[15:16], v15
	ds_read_b64 v[17:18], v17
	;; [unrolled: 1-line block ×3, first 2 shown]
	v_lshlrev_b64 v[3:4], 3, v[1:2]
	v_mov_b32_e32 v21, s15
	v_add_co_u32_e32 v3, vcc, s14, v3
	v_addc_co_u32_e32 v4, vcc, v21, v4, vcc
	s_mov_b64 s[0:1], -1
	s_waitcnt lgkmcnt(1)
	global_store_dwordx4 v[3:4], v[15:18], off
	s_waitcnt lgkmcnt(0)
	global_store_dwordx2 v[3:4], v[19:20], off offset:16
	s_cbranch_execz .LBB195_62
	s_branch .LBB195_71
.LBB195_61:
	s_mov_b64 s[0:1], 0
.LBB195_62:
	v_cmp_gt_u32_e32 vcc, s17, v7
	s_and_saveexec_b64 s[2:3], vcc
	s_cbranch_execz .LBB195_64
; %bb.63:
	v_lshlrev_b32_e32 v4, 3, v11
	v_mov_b32_e32 v2, 0
	ds_read_b64 v[15:16], v4
	v_lshlrev_b64 v[2:3], 3, v[1:2]
	v_mov_b32_e32 v11, s15
	v_add_co_u32_e32 v2, vcc, s14, v2
	v_addc_co_u32_e32 v3, vcc, v11, v3, vcc
	s_waitcnt lgkmcnt(0)
	global_store_dwordx2 v[2:3], v[15:16], off
.LBB195_64:
	s_or_b64 exec, exec, s[2:3]
	v_or_b32_e32 v2, 1, v7
	v_cmp_gt_u32_e32 vcc, s17, v2
	s_and_saveexec_b64 s[2:3], vcc
	s_cbranch_execz .LBB195_66
; %bb.65:
	v_lshlrev_b32_e32 v4, 3, v12
	v_mov_b32_e32 v2, 0
	ds_read_b64 v[11:12], v4
	v_lshlrev_b64 v[2:3], 3, v[1:2]
	v_mov_b32_e32 v15, s15
	v_add_co_u32_e32 v2, vcc, s14, v2
	v_addc_co_u32_e32 v3, vcc, v15, v3, vcc
	s_waitcnt lgkmcnt(0)
	global_store_dwordx2 v[2:3], v[11:12], off offset:8
.LBB195_66:
	s_or_b64 exec, exec, s[2:3]
	v_or_b32_e32 v2, 2, v7
	v_cmp_gt_u32_e32 vcc, s17, v2
	s_and_saveexec_b64 s[2:3], vcc
	s_cbranch_execz .LBB195_68
; %bb.67:
	v_lshlrev_b32_e32 v4, 3, v13
	v_mov_b32_e32 v2, 0
	ds_read_b64 v[11:12], v4
	v_lshlrev_b64 v[2:3], 3, v[1:2]
	v_mov_b32_e32 v13, s15
	v_add_co_u32_e32 v2, vcc, s14, v2
	v_addc_co_u32_e32 v3, vcc, v13, v3, vcc
	s_waitcnt lgkmcnt(0)
	global_store_dwordx2 v[2:3], v[11:12], off offset:16
.LBB195_68:
	s_or_b64 exec, exec, s[2:3]
	v_or_b32_e32 v2, 3, v7
	v_cmp_gt_u32_e32 vcc, s17, v2
	s_and_saveexec_b64 s[2:3], vcc
; %bb.69:
	v_mov_b32_e32 v2, 0
	s_or_b64 s[0:1], s[0:1], exec
; %bb.70:
	s_or_b64 exec, exec, s[2:3]
.LBB195_71:
	s_and_saveexec_b64 s[2:3], s[0:1]
	s_cbranch_execz .LBB195_73
; %bb.72:
	v_lshlrev_b32_e32 v3, 3, v14
	ds_read_b64 v[3:4], v3
	v_lshlrev_b64 v[1:2], 3, v[1:2]
	v_mov_b32_e32 v11, s15
	v_add_co_u32_e32 v1, vcc, s14, v1
	v_addc_co_u32_e32 v2, vcc, v11, v2, vcc
	s_waitcnt lgkmcnt(0)
	global_store_dwordx2 v[1:2], v[3:4], off offset:24
.LBB195_73:
	s_or_b64 exec, exec, s[2:3]
	v_lshrrev_b32_e32 v1, 2, v0
	v_and_b32_e32 v1, 60, v1
	s_mov_b32 s2, 0x5040100
	v_lshl_add_u32 v1, v7, 1, v1
	v_perm_b32 v2, v10, v9, s2
	v_perm_b32 v3, v8, v6, s2
	s_waitcnt vmcnt(0)
	s_barrier
	s_barrier
	ds_write2_b32 v1, v3, v2 offset1:1
	v_lshrrev_b32_e32 v1, 4, v0
	v_and_b32_e32 v1, 12, v1
	v_or_b32_e32 v6, 0x100, v0
	v_add_u32_e32 v7, v1, v5
	v_lshrrev_b32_e32 v1, 4, v6
	v_and_b32_e32 v1, 28, v1
	v_or_b32_e32 v4, 0x200, v0
	s_mov_b32 s19, 0
	v_add_u32_e32 v8, v1, v5
	v_lshrrev_b32_e32 v1, 4, v4
	s_lshl_b64 s[0:1], s[18:19], 1
	v_and_b32_e32 v1, 44, v1
	v_or_b32_e32 v3, 0x300, v0
	s_add_u32 s0, s10, s0
	v_add_u32_e32 v9, v1, v5
	v_lshrrev_b32_e32 v1, 4, v3
	s_addc_u32 s1, s11, s1
	v_and_b32_e32 v1, 60, v1
	v_add_u32_e32 v10, v1, v5
	v_mov_b32_e32 v2, s1
	v_add_co_u32_e32 v1, vcc, s0, v5
	v_addc_co_u32_e32 v2, vcc, 0, v2, vcc
	s_and_b64 vcc, exec, s[20:21]
	s_waitcnt lgkmcnt(0)
	s_cbranch_vccz .LBB195_75
; %bb.74:
	s_barrier
	ds_read_u16 v11, v7
	ds_read_u16 v12, v8 offset:512
	ds_read_u16 v13, v9 offset:1024
	ds_read_u16 v5, v10 offset:1536
	s_waitcnt lgkmcnt(3)
	global_store_short v[1:2], v11, off
	s_waitcnt lgkmcnt(2)
	global_store_short v[1:2], v12, off offset:512
	s_waitcnt lgkmcnt(1)
	global_store_short v[1:2], v13, off offset:1024
	s_mov_b64 s[0:1], -1
	s_cbranch_execz .LBB195_76
	s_branch .LBB195_81
.LBB195_75:
	s_mov_b64 s[0:1], 0
                                        ; implicit-def: $vgpr5
.LBB195_76:
	s_waitcnt vmcnt(0) lgkmcnt(0)
	s_barrier
	ds_read_u16 v11, v8 offset:512
	ds_read_u16 v8, v9 offset:1024
	;; [unrolled: 1-line block ×3, first 2 shown]
	s_sub_i32 s2, s16, s18
	v_cmp_gt_u32_e32 vcc, s2, v0
	s_and_saveexec_b64 s[0:1], vcc
	s_cbranch_execnz .LBB195_84
; %bb.77:
	s_or_b64 exec, exec, s[0:1]
	v_cmp_gt_u32_e32 vcc, s2, v6
	s_and_saveexec_b64 s[0:1], vcc
	s_cbranch_execnz .LBB195_85
.LBB195_78:
	s_or_b64 exec, exec, s[0:1]
	v_cmp_gt_u32_e32 vcc, s2, v4
	s_and_saveexec_b64 s[0:1], vcc
	s_cbranch_execz .LBB195_80
.LBB195_79:
	s_waitcnt lgkmcnt(1)
	global_store_short v[1:2], v8, off offset:1024
.LBB195_80:
	s_or_b64 exec, exec, s[0:1]
	v_cmp_gt_u32_e64 s[0:1], s2, v3
.LBB195_81:
	s_and_saveexec_b64 s[2:3], s[0:1]
	s_cbranch_execz .LBB195_83
; %bb.82:
	s_waitcnt lgkmcnt(0)
	global_store_short v[1:2], v5, off offset:1536
.LBB195_83:
	s_endpgm
.LBB195_84:
	ds_read_u16 v0, v7
	s_waitcnt lgkmcnt(0)
	global_store_short v[1:2], v0, off
	s_or_b64 exec, exec, s[0:1]
	v_cmp_gt_u32_e32 vcc, s2, v6
	s_and_saveexec_b64 s[0:1], vcc
	s_cbranch_execz .LBB195_78
.LBB195_85:
	s_waitcnt lgkmcnt(2)
	global_store_short v[1:2], v11, off offset:512
	s_or_b64 exec, exec, s[0:1]
	v_cmp_gt_u32_e32 vcc, s2, v4
	s_and_saveexec_b64 s[0:1], vcc
	s_cbranch_execnz .LBB195_79
	s_branch .LBB195_80
	.section	.rodata,"a",@progbits
	.p2align	6, 0x0
	.amdhsa_kernel _ZN7rocprim17ROCPRIM_304000_NS6detail35device_block_merge_mergepath_kernelINS1_37wrapped_merge_sort_block_merge_configINS0_14default_configE6__halfN2at4cuda3cub6detail10OpaqueTypeILi8EEEEEPS5_SD_PSB_SE_jNS1_19radix_merge_compareILb0ELb0ES5_NS0_19identity_decomposerEEEEEvT0_T1_T2_T3_T4_SM_jT5_PKSM_NS1_7vsmem_tE
		.amdhsa_group_segment_fixed_size 8208
		.amdhsa_private_segment_fixed_size 0
		.amdhsa_kernarg_size 320
		.amdhsa_user_sgpr_count 6
		.amdhsa_user_sgpr_private_segment_buffer 1
		.amdhsa_user_sgpr_dispatch_ptr 0
		.amdhsa_user_sgpr_queue_ptr 0
		.amdhsa_user_sgpr_kernarg_segment_ptr 1
		.amdhsa_user_sgpr_dispatch_id 0
		.amdhsa_user_sgpr_flat_scratch_init 0
		.amdhsa_user_sgpr_private_segment_size 0
		.amdhsa_uses_dynamic_stack 0
		.amdhsa_system_sgpr_private_segment_wavefront_offset 0
		.amdhsa_system_sgpr_workgroup_id_x 1
		.amdhsa_system_sgpr_workgroup_id_y 1
		.amdhsa_system_sgpr_workgroup_id_z 1
		.amdhsa_system_sgpr_workgroup_info 0
		.amdhsa_system_vgpr_workitem_id 0
		.amdhsa_next_free_vgpr 33
		.amdhsa_next_free_sgpr 77
		.amdhsa_reserve_vcc 1
		.amdhsa_reserve_flat_scratch 0
		.amdhsa_float_round_mode_32 0
		.amdhsa_float_round_mode_16_64 0
		.amdhsa_float_denorm_mode_32 3
		.amdhsa_float_denorm_mode_16_64 3
		.amdhsa_dx10_clamp 1
		.amdhsa_ieee_mode 1
		.amdhsa_fp16_overflow 0
		.amdhsa_exception_fp_ieee_invalid_op 0
		.amdhsa_exception_fp_denorm_src 0
		.amdhsa_exception_fp_ieee_div_zero 0
		.amdhsa_exception_fp_ieee_overflow 0
		.amdhsa_exception_fp_ieee_underflow 0
		.amdhsa_exception_fp_ieee_inexact 0
		.amdhsa_exception_int_div_zero 0
	.end_amdhsa_kernel
	.section	.text._ZN7rocprim17ROCPRIM_304000_NS6detail35device_block_merge_mergepath_kernelINS1_37wrapped_merge_sort_block_merge_configINS0_14default_configE6__halfN2at4cuda3cub6detail10OpaqueTypeILi8EEEEEPS5_SD_PSB_SE_jNS1_19radix_merge_compareILb0ELb0ES5_NS0_19identity_decomposerEEEEEvT0_T1_T2_T3_T4_SM_jT5_PKSM_NS1_7vsmem_tE,"axG",@progbits,_ZN7rocprim17ROCPRIM_304000_NS6detail35device_block_merge_mergepath_kernelINS1_37wrapped_merge_sort_block_merge_configINS0_14default_configE6__halfN2at4cuda3cub6detail10OpaqueTypeILi8EEEEEPS5_SD_PSB_SE_jNS1_19radix_merge_compareILb0ELb0ES5_NS0_19identity_decomposerEEEEEvT0_T1_T2_T3_T4_SM_jT5_PKSM_NS1_7vsmem_tE,comdat
.Lfunc_end195:
	.size	_ZN7rocprim17ROCPRIM_304000_NS6detail35device_block_merge_mergepath_kernelINS1_37wrapped_merge_sort_block_merge_configINS0_14default_configE6__halfN2at4cuda3cub6detail10OpaqueTypeILi8EEEEEPS5_SD_PSB_SE_jNS1_19radix_merge_compareILb0ELb0ES5_NS0_19identity_decomposerEEEEEvT0_T1_T2_T3_T4_SM_jT5_PKSM_NS1_7vsmem_tE, .Lfunc_end195-_ZN7rocprim17ROCPRIM_304000_NS6detail35device_block_merge_mergepath_kernelINS1_37wrapped_merge_sort_block_merge_configINS0_14default_configE6__halfN2at4cuda3cub6detail10OpaqueTypeILi8EEEEEPS5_SD_PSB_SE_jNS1_19radix_merge_compareILb0ELb0ES5_NS0_19identity_decomposerEEEEEvT0_T1_T2_T3_T4_SM_jT5_PKSM_NS1_7vsmem_tE
                                        ; -- End function
	.set _ZN7rocprim17ROCPRIM_304000_NS6detail35device_block_merge_mergepath_kernelINS1_37wrapped_merge_sort_block_merge_configINS0_14default_configE6__halfN2at4cuda3cub6detail10OpaqueTypeILi8EEEEEPS5_SD_PSB_SE_jNS1_19radix_merge_compareILb0ELb0ES5_NS0_19identity_decomposerEEEEEvT0_T1_T2_T3_T4_SM_jT5_PKSM_NS1_7vsmem_tE.num_vgpr, 25
	.set _ZN7rocprim17ROCPRIM_304000_NS6detail35device_block_merge_mergepath_kernelINS1_37wrapped_merge_sort_block_merge_configINS0_14default_configE6__halfN2at4cuda3cub6detail10OpaqueTypeILi8EEEEEPS5_SD_PSB_SE_jNS1_19radix_merge_compareILb0ELb0ES5_NS0_19identity_decomposerEEEEEvT0_T1_T2_T3_T4_SM_jT5_PKSM_NS1_7vsmem_tE.num_agpr, 0
	.set _ZN7rocprim17ROCPRIM_304000_NS6detail35device_block_merge_mergepath_kernelINS1_37wrapped_merge_sort_block_merge_configINS0_14default_configE6__halfN2at4cuda3cub6detail10OpaqueTypeILi8EEEEEPS5_SD_PSB_SE_jNS1_19radix_merge_compareILb0ELb0ES5_NS0_19identity_decomposerEEEEEvT0_T1_T2_T3_T4_SM_jT5_PKSM_NS1_7vsmem_tE.numbered_sgpr, 31
	.set _ZN7rocprim17ROCPRIM_304000_NS6detail35device_block_merge_mergepath_kernelINS1_37wrapped_merge_sort_block_merge_configINS0_14default_configE6__halfN2at4cuda3cub6detail10OpaqueTypeILi8EEEEEPS5_SD_PSB_SE_jNS1_19radix_merge_compareILb0ELb0ES5_NS0_19identity_decomposerEEEEEvT0_T1_T2_T3_T4_SM_jT5_PKSM_NS1_7vsmem_tE.num_named_barrier, 0
	.set _ZN7rocprim17ROCPRIM_304000_NS6detail35device_block_merge_mergepath_kernelINS1_37wrapped_merge_sort_block_merge_configINS0_14default_configE6__halfN2at4cuda3cub6detail10OpaqueTypeILi8EEEEEPS5_SD_PSB_SE_jNS1_19radix_merge_compareILb0ELb0ES5_NS0_19identity_decomposerEEEEEvT0_T1_T2_T3_T4_SM_jT5_PKSM_NS1_7vsmem_tE.private_seg_size, 0
	.set _ZN7rocprim17ROCPRIM_304000_NS6detail35device_block_merge_mergepath_kernelINS1_37wrapped_merge_sort_block_merge_configINS0_14default_configE6__halfN2at4cuda3cub6detail10OpaqueTypeILi8EEEEEPS5_SD_PSB_SE_jNS1_19radix_merge_compareILb0ELb0ES5_NS0_19identity_decomposerEEEEEvT0_T1_T2_T3_T4_SM_jT5_PKSM_NS1_7vsmem_tE.uses_vcc, 1
	.set _ZN7rocprim17ROCPRIM_304000_NS6detail35device_block_merge_mergepath_kernelINS1_37wrapped_merge_sort_block_merge_configINS0_14default_configE6__halfN2at4cuda3cub6detail10OpaqueTypeILi8EEEEEPS5_SD_PSB_SE_jNS1_19radix_merge_compareILb0ELb0ES5_NS0_19identity_decomposerEEEEEvT0_T1_T2_T3_T4_SM_jT5_PKSM_NS1_7vsmem_tE.uses_flat_scratch, 0
	.set _ZN7rocprim17ROCPRIM_304000_NS6detail35device_block_merge_mergepath_kernelINS1_37wrapped_merge_sort_block_merge_configINS0_14default_configE6__halfN2at4cuda3cub6detail10OpaqueTypeILi8EEEEEPS5_SD_PSB_SE_jNS1_19radix_merge_compareILb0ELb0ES5_NS0_19identity_decomposerEEEEEvT0_T1_T2_T3_T4_SM_jT5_PKSM_NS1_7vsmem_tE.has_dyn_sized_stack, 0
	.set _ZN7rocprim17ROCPRIM_304000_NS6detail35device_block_merge_mergepath_kernelINS1_37wrapped_merge_sort_block_merge_configINS0_14default_configE6__halfN2at4cuda3cub6detail10OpaqueTypeILi8EEEEEPS5_SD_PSB_SE_jNS1_19radix_merge_compareILb0ELb0ES5_NS0_19identity_decomposerEEEEEvT0_T1_T2_T3_T4_SM_jT5_PKSM_NS1_7vsmem_tE.has_recursion, 0
	.set _ZN7rocprim17ROCPRIM_304000_NS6detail35device_block_merge_mergepath_kernelINS1_37wrapped_merge_sort_block_merge_configINS0_14default_configE6__halfN2at4cuda3cub6detail10OpaqueTypeILi8EEEEEPS5_SD_PSB_SE_jNS1_19radix_merge_compareILb0ELb0ES5_NS0_19identity_decomposerEEEEEvT0_T1_T2_T3_T4_SM_jT5_PKSM_NS1_7vsmem_tE.has_indirect_call, 0
	.section	.AMDGPU.csdata,"",@progbits
; Kernel info:
; codeLenInByte = 3676
; TotalNumSgprs: 35
; NumVgprs: 25
; ScratchSize: 0
; MemoryBound: 0
; FloatMode: 240
; IeeeMode: 1
; LDSByteSize: 8208 bytes/workgroup (compile time only)
; SGPRBlocks: 10
; VGPRBlocks: 8
; NumSGPRsForWavesPerEU: 81
; NumVGPRsForWavesPerEU: 33
; Occupancy: 7
; WaveLimiterHint : 1
; COMPUTE_PGM_RSRC2:SCRATCH_EN: 0
; COMPUTE_PGM_RSRC2:USER_SGPR: 6
; COMPUTE_PGM_RSRC2:TRAP_HANDLER: 0
; COMPUTE_PGM_RSRC2:TGID_X_EN: 1
; COMPUTE_PGM_RSRC2:TGID_Y_EN: 1
; COMPUTE_PGM_RSRC2:TGID_Z_EN: 1
; COMPUTE_PGM_RSRC2:TIDIG_COMP_CNT: 0
	.section	.text._ZN7rocprim17ROCPRIM_304000_NS6detail33device_block_merge_oddeven_kernelINS1_37wrapped_merge_sort_block_merge_configINS0_14default_configE6__halfN2at4cuda3cub6detail10OpaqueTypeILi8EEEEEPS5_SD_PSB_SE_jNS1_19radix_merge_compareILb0ELb0ES5_NS0_19identity_decomposerEEEEEvT0_T1_T2_T3_T4_SM_T5_,"axG",@progbits,_ZN7rocprim17ROCPRIM_304000_NS6detail33device_block_merge_oddeven_kernelINS1_37wrapped_merge_sort_block_merge_configINS0_14default_configE6__halfN2at4cuda3cub6detail10OpaqueTypeILi8EEEEEPS5_SD_PSB_SE_jNS1_19radix_merge_compareILb0ELb0ES5_NS0_19identity_decomposerEEEEEvT0_T1_T2_T3_T4_SM_T5_,comdat
	.protected	_ZN7rocprim17ROCPRIM_304000_NS6detail33device_block_merge_oddeven_kernelINS1_37wrapped_merge_sort_block_merge_configINS0_14default_configE6__halfN2at4cuda3cub6detail10OpaqueTypeILi8EEEEEPS5_SD_PSB_SE_jNS1_19radix_merge_compareILb0ELb0ES5_NS0_19identity_decomposerEEEEEvT0_T1_T2_T3_T4_SM_T5_ ; -- Begin function _ZN7rocprim17ROCPRIM_304000_NS6detail33device_block_merge_oddeven_kernelINS1_37wrapped_merge_sort_block_merge_configINS0_14default_configE6__halfN2at4cuda3cub6detail10OpaqueTypeILi8EEEEEPS5_SD_PSB_SE_jNS1_19radix_merge_compareILb0ELb0ES5_NS0_19identity_decomposerEEEEEvT0_T1_T2_T3_T4_SM_T5_
	.globl	_ZN7rocprim17ROCPRIM_304000_NS6detail33device_block_merge_oddeven_kernelINS1_37wrapped_merge_sort_block_merge_configINS0_14default_configE6__halfN2at4cuda3cub6detail10OpaqueTypeILi8EEEEEPS5_SD_PSB_SE_jNS1_19radix_merge_compareILb0ELb0ES5_NS0_19identity_decomposerEEEEEvT0_T1_T2_T3_T4_SM_T5_
	.p2align	8
	.type	_ZN7rocprim17ROCPRIM_304000_NS6detail33device_block_merge_oddeven_kernelINS1_37wrapped_merge_sort_block_merge_configINS0_14default_configE6__halfN2at4cuda3cub6detail10OpaqueTypeILi8EEEEEPS5_SD_PSB_SE_jNS1_19radix_merge_compareILb0ELb0ES5_NS0_19identity_decomposerEEEEEvT0_T1_T2_T3_T4_SM_T5_,@function
_ZN7rocprim17ROCPRIM_304000_NS6detail33device_block_merge_oddeven_kernelINS1_37wrapped_merge_sort_block_merge_configINS0_14default_configE6__halfN2at4cuda3cub6detail10OpaqueTypeILi8EEEEEPS5_SD_PSB_SE_jNS1_19radix_merge_compareILb0ELb0ES5_NS0_19identity_decomposerEEEEEvT0_T1_T2_T3_T4_SM_T5_: ; @_ZN7rocprim17ROCPRIM_304000_NS6detail33device_block_merge_oddeven_kernelINS1_37wrapped_merge_sort_block_merge_configINS0_14default_configE6__halfN2at4cuda3cub6detail10OpaqueTypeILi8EEEEEPS5_SD_PSB_SE_jNS1_19radix_merge_compareILb0ELb0ES5_NS0_19identity_decomposerEEEEEvT0_T1_T2_T3_T4_SM_T5_
; %bb.0:
	s_load_dwordx2 s[18:19], s[4:5], 0x20
	s_waitcnt lgkmcnt(0)
	s_lshr_b32 s0, s18, 8
	s_cmp_eq_u32 s6, s0
	s_cselect_b64 s[16:17], -1, 0
	s_cmp_lg_u32 s6, s0
	s_cselect_b64 s[0:1], -1, 0
	s_lshl_b32 s20, s6, 8
	s_sub_i32 s2, s18, s20
	v_cmp_gt_u32_e64 s[2:3], s2, v0
	s_or_b64 s[0:1], s[0:1], s[2:3]
	s_and_saveexec_b64 s[8:9], s[0:1]
	s_cbranch_execz .LBB196_24
; %bb.1:
	s_load_dwordx8 s[8:15], s[4:5], 0x0
	s_mov_b32 s21, 0
	s_lshl_b64 s[0:1], s[20:21], 1
	v_lshlrev_b32_e32 v4, 3, v0
	v_lshlrev_b32_e32 v3, 1, v0
	s_waitcnt lgkmcnt(0)
	s_add_u32 s0, s8, s0
	s_addc_u32 s1, s9, s1
	s_lshl_b64 s[4:5], s[20:21], 3
	s_add_u32 s4, s12, s4
	s_addc_u32 s5, s13, s5
	global_load_dwordx2 v[1:2], v4, s[4:5]
	global_load_ushort v5, v3, s[0:1]
	s_lshr_b32 s0, s19, 8
	s_sub_i32 s1, 0, s0
	s_and_b32 s1, s6, s1
	s_and_b32 s0, s1, s0
	s_lshl_b32 s13, s1, 8
	s_sub_i32 s6, 0, s19
	s_cmp_eq_u32 s0, 0
	s_cselect_b64 s[0:1], -1, 0
	s_and_b64 s[4:5], s[0:1], exec
	s_cselect_b32 s6, s19, s6
	s_add_i32 s6, s6, s13
	s_mov_b64 s[4:5], -1
	s_cmp_gt_u32 s18, s6
	v_add_u32_e32 v3, s20, v0
	s_cbranch_scc1 .LBB196_9
; %bb.2:
	s_and_b64 vcc, exec, s[16:17]
	s_cbranch_vccz .LBB196_6
; %bb.3:
	v_cmp_gt_u32_e32 vcc, s18, v3
	s_and_saveexec_b64 s[4:5], vcc
	s_cbranch_execz .LBB196_5
; %bb.4:
	v_mov_b32_e32 v4, 0
	v_lshlrev_b64 v[6:7], 3, v[3:4]
	v_mov_b32_e32 v0, s15
	v_add_co_u32_e32 v6, vcc, s14, v6
	v_lshlrev_b64 v[8:9], 1, v[3:4]
	v_addc_co_u32_e32 v7, vcc, v0, v7, vcc
	v_mov_b32_e32 v0, s11
	v_add_co_u32_e32 v8, vcc, s10, v8
	v_addc_co_u32_e32 v9, vcc, v0, v9, vcc
	s_waitcnt vmcnt(0)
	global_store_short v[8:9], v5, off
	global_store_dwordx2 v[6:7], v[1:2], off
.LBB196_5:
	s_or_b64 exec, exec, s[4:5]
	s_mov_b64 s[4:5], 0
.LBB196_6:
	s_andn2_b64 vcc, exec, s[4:5]
	s_cbranch_vccnz .LBB196_8
; %bb.7:
	v_mov_b32_e32 v4, 0
	v_lshlrev_b64 v[6:7], 1, v[3:4]
	v_mov_b32_e32 v0, s11
	v_add_co_u32_e32 v6, vcc, s10, v6
	v_lshlrev_b64 v[8:9], 3, v[3:4]
	v_addc_co_u32_e32 v7, vcc, v0, v7, vcc
	v_mov_b32_e32 v0, s15
	v_add_co_u32_e32 v8, vcc, s14, v8
	v_addc_co_u32_e32 v9, vcc, v0, v9, vcc
	s_waitcnt vmcnt(0)
	global_store_short v[6:7], v5, off
	global_store_dwordx2 v[8:9], v[1:2], off
.LBB196_8:
	s_mov_b64 s[4:5], 0
.LBB196_9:
	s_andn2_b64 vcc, exec, s[4:5]
	s_cbranch_vccnz .LBB196_24
; %bb.10:
	s_min_u32 s7, s6, s18
	s_add_i32 s4, s7, s19
	s_min_u32 s12, s4, s18
	s_min_u32 s4, s13, s7
	s_add_i32 s13, s13, s7
	v_subrev_u32_e32 v0, s13, v3
	v_add_u32_e32 v0, s4, v0
	s_movk_i32 s4, 0x8000
	s_waitcnt vmcnt(0)
	v_cmp_ne_u16_e32 vcc, s4, v5
	v_cndmask_b32_e32 v3, 0, v5, vcc
	v_mov_b32_e32 v4, 0xffff8000
	v_cmp_lt_i16_e32 vcc, -1, v3
	v_cndmask_b32_e32 v4, -1, v4, vcc
	v_xor_b32_e32 v3, v4, v3
	s_mov_b64 s[4:5], -1
	s_and_b64 vcc, exec, s[16:17]
	s_cbranch_vccz .LBB196_18
; %bb.11:
	s_and_saveexec_b64 s[4:5], s[2:3]
	s_cbranch_execz .LBB196_17
; %bb.12:
	s_cmp_ge_u32 s6, s12
	v_mov_b32_e32 v4, s7
	s_cbranch_scc1 .LBB196_16
; %bb.13:
	s_mov_b64 s[2:3], 0
	v_mov_b32_e32 v6, s12
	v_mov_b32_e32 v4, s7
	s_movk_i32 s13, 0x8000
	v_mov_b32_e32 v7, 0xffff8000
.LBB196_14:                             ; =>This Inner Loop Header: Depth=1
	v_add_u32_e32 v8, v4, v6
	v_and_b32_e32 v9, -2, v8
	global_load_ushort v9, v9, s[8:9]
	v_lshrrev_b32_e32 v8, 1, v8
	v_add_u32_e32 v10, 1, v8
	s_waitcnt vmcnt(0)
	v_cmp_ne_u16_e32 vcc, s13, v9
	v_cndmask_b32_e32 v9, 0, v9, vcc
	v_cmp_lt_i16_e32 vcc, -1, v9
	v_cndmask_b32_e32 v11, -1, v7, vcc
	v_xor_b32_e32 v9, v11, v9
	v_cmp_gt_u16_e32 vcc, v3, v9
	v_cndmask_b32_e64 v11, 0, 1, vcc
	v_cmp_le_u16_e32 vcc, v9, v3
	v_cndmask_b32_e64 v9, 0, 1, vcc
	v_cndmask_b32_e64 v9, v9, v11, s[0:1]
	v_and_b32_e32 v9, 1, v9
	v_cmp_eq_u32_e32 vcc, 1, v9
	v_cndmask_b32_e32 v6, v8, v6, vcc
	v_cndmask_b32_e32 v4, v4, v10, vcc
	v_cmp_ge_u32_e32 vcc, v4, v6
	s_or_b64 s[2:3], vcc, s[2:3]
	s_andn2_b64 exec, exec, s[2:3]
	s_cbranch_execnz .LBB196_14
; %bb.15:
	s_or_b64 exec, exec, s[2:3]
.LBB196_16:
	v_add_u32_e32 v6, v4, v0
	v_mov_b32_e32 v7, 0
	v_lshlrev_b64 v[8:9], 1, v[6:7]
	v_mov_b32_e32 v4, s11
	v_add_co_u32_e32 v8, vcc, s10, v8
	v_lshlrev_b64 v[6:7], 3, v[6:7]
	v_addc_co_u32_e32 v9, vcc, v4, v9, vcc
	v_mov_b32_e32 v4, s15
	v_add_co_u32_e32 v6, vcc, s14, v6
	v_addc_co_u32_e32 v7, vcc, v4, v7, vcc
	global_store_short v[8:9], v5, off
	global_store_dwordx2 v[6:7], v[1:2], off
.LBB196_17:
	s_or_b64 exec, exec, s[4:5]
	s_mov_b64 s[4:5], 0
.LBB196_18:
	s_andn2_b64 vcc, exec, s[4:5]
	s_cbranch_vccnz .LBB196_24
; %bb.19:
	s_cmp_ge_u32 s6, s12
	v_mov_b32_e32 v4, s7
	s_cbranch_scc1 .LBB196_23
; %bb.20:
	s_mov_b64 s[2:3], 0
	v_mov_b32_e32 v6, s12
	v_mov_b32_e32 v4, s7
	s_movk_i32 s4, 0x8000
	v_mov_b32_e32 v7, 0xffff8000
.LBB196_21:                             ; =>This Inner Loop Header: Depth=1
	v_add_u32_e32 v8, v4, v6
	v_and_b32_e32 v9, -2, v8
	global_load_ushort v9, v9, s[8:9]
	v_lshrrev_b32_e32 v8, 1, v8
	v_add_u32_e32 v10, 1, v8
	s_waitcnt vmcnt(0)
	v_cmp_ne_u16_e32 vcc, s4, v9
	v_cndmask_b32_e32 v9, 0, v9, vcc
	v_cmp_lt_i16_e32 vcc, -1, v9
	v_cndmask_b32_e32 v11, -1, v7, vcc
	v_xor_b32_e32 v9, v11, v9
	v_cmp_gt_u16_e32 vcc, v3, v9
	v_cndmask_b32_e64 v11, 0, 1, vcc
	v_cmp_le_u16_e32 vcc, v9, v3
	v_cndmask_b32_e64 v9, 0, 1, vcc
	v_cndmask_b32_e64 v9, v9, v11, s[0:1]
	v_and_b32_e32 v9, 1, v9
	v_cmp_eq_u32_e32 vcc, 1, v9
	v_cndmask_b32_e32 v6, v8, v6, vcc
	v_cndmask_b32_e32 v4, v4, v10, vcc
	v_cmp_ge_u32_e32 vcc, v4, v6
	s_or_b64 s[2:3], vcc, s[2:3]
	s_andn2_b64 exec, exec, s[2:3]
	s_cbranch_execnz .LBB196_21
; %bb.22:
	s_or_b64 exec, exec, s[2:3]
.LBB196_23:
	v_add_u32_e32 v3, v4, v0
	v_mov_b32_e32 v4, 0
	v_lshlrev_b64 v[6:7], 1, v[3:4]
	v_mov_b32_e32 v0, s11
	v_add_co_u32_e32 v6, vcc, s10, v6
	v_lshlrev_b64 v[3:4], 3, v[3:4]
	v_addc_co_u32_e32 v7, vcc, v0, v7, vcc
	v_mov_b32_e32 v0, s15
	v_add_co_u32_e32 v3, vcc, s14, v3
	v_addc_co_u32_e32 v4, vcc, v0, v4, vcc
	global_store_short v[6:7], v5, off
	global_store_dwordx2 v[3:4], v[1:2], off
.LBB196_24:
	s_endpgm
	.section	.rodata,"a",@progbits
	.p2align	6, 0x0
	.amdhsa_kernel _ZN7rocprim17ROCPRIM_304000_NS6detail33device_block_merge_oddeven_kernelINS1_37wrapped_merge_sort_block_merge_configINS0_14default_configE6__halfN2at4cuda3cub6detail10OpaqueTypeILi8EEEEEPS5_SD_PSB_SE_jNS1_19radix_merge_compareILb0ELb0ES5_NS0_19identity_decomposerEEEEEvT0_T1_T2_T3_T4_SM_T5_
		.amdhsa_group_segment_fixed_size 0
		.amdhsa_private_segment_fixed_size 0
		.amdhsa_kernarg_size 44
		.amdhsa_user_sgpr_count 6
		.amdhsa_user_sgpr_private_segment_buffer 1
		.amdhsa_user_sgpr_dispatch_ptr 0
		.amdhsa_user_sgpr_queue_ptr 0
		.amdhsa_user_sgpr_kernarg_segment_ptr 1
		.amdhsa_user_sgpr_dispatch_id 0
		.amdhsa_user_sgpr_flat_scratch_init 0
		.amdhsa_user_sgpr_private_segment_size 0
		.amdhsa_uses_dynamic_stack 0
		.amdhsa_system_sgpr_private_segment_wavefront_offset 0
		.amdhsa_system_sgpr_workgroup_id_x 1
		.amdhsa_system_sgpr_workgroup_id_y 0
		.amdhsa_system_sgpr_workgroup_id_z 0
		.amdhsa_system_sgpr_workgroup_info 0
		.amdhsa_system_vgpr_workitem_id 0
		.amdhsa_next_free_vgpr 12
		.amdhsa_next_free_sgpr 22
		.amdhsa_reserve_vcc 1
		.amdhsa_reserve_flat_scratch 0
		.amdhsa_float_round_mode_32 0
		.amdhsa_float_round_mode_16_64 0
		.amdhsa_float_denorm_mode_32 3
		.amdhsa_float_denorm_mode_16_64 3
		.amdhsa_dx10_clamp 1
		.amdhsa_ieee_mode 1
		.amdhsa_fp16_overflow 0
		.amdhsa_exception_fp_ieee_invalid_op 0
		.amdhsa_exception_fp_denorm_src 0
		.amdhsa_exception_fp_ieee_div_zero 0
		.amdhsa_exception_fp_ieee_overflow 0
		.amdhsa_exception_fp_ieee_underflow 0
		.amdhsa_exception_fp_ieee_inexact 0
		.amdhsa_exception_int_div_zero 0
	.end_amdhsa_kernel
	.section	.text._ZN7rocprim17ROCPRIM_304000_NS6detail33device_block_merge_oddeven_kernelINS1_37wrapped_merge_sort_block_merge_configINS0_14default_configE6__halfN2at4cuda3cub6detail10OpaqueTypeILi8EEEEEPS5_SD_PSB_SE_jNS1_19radix_merge_compareILb0ELb0ES5_NS0_19identity_decomposerEEEEEvT0_T1_T2_T3_T4_SM_T5_,"axG",@progbits,_ZN7rocprim17ROCPRIM_304000_NS6detail33device_block_merge_oddeven_kernelINS1_37wrapped_merge_sort_block_merge_configINS0_14default_configE6__halfN2at4cuda3cub6detail10OpaqueTypeILi8EEEEEPS5_SD_PSB_SE_jNS1_19radix_merge_compareILb0ELb0ES5_NS0_19identity_decomposerEEEEEvT0_T1_T2_T3_T4_SM_T5_,comdat
.Lfunc_end196:
	.size	_ZN7rocprim17ROCPRIM_304000_NS6detail33device_block_merge_oddeven_kernelINS1_37wrapped_merge_sort_block_merge_configINS0_14default_configE6__halfN2at4cuda3cub6detail10OpaqueTypeILi8EEEEEPS5_SD_PSB_SE_jNS1_19radix_merge_compareILb0ELb0ES5_NS0_19identity_decomposerEEEEEvT0_T1_T2_T3_T4_SM_T5_, .Lfunc_end196-_ZN7rocprim17ROCPRIM_304000_NS6detail33device_block_merge_oddeven_kernelINS1_37wrapped_merge_sort_block_merge_configINS0_14default_configE6__halfN2at4cuda3cub6detail10OpaqueTypeILi8EEEEEPS5_SD_PSB_SE_jNS1_19radix_merge_compareILb0ELb0ES5_NS0_19identity_decomposerEEEEEvT0_T1_T2_T3_T4_SM_T5_
                                        ; -- End function
	.set _ZN7rocprim17ROCPRIM_304000_NS6detail33device_block_merge_oddeven_kernelINS1_37wrapped_merge_sort_block_merge_configINS0_14default_configE6__halfN2at4cuda3cub6detail10OpaqueTypeILi8EEEEEPS5_SD_PSB_SE_jNS1_19radix_merge_compareILb0ELb0ES5_NS0_19identity_decomposerEEEEEvT0_T1_T2_T3_T4_SM_T5_.num_vgpr, 12
	.set _ZN7rocprim17ROCPRIM_304000_NS6detail33device_block_merge_oddeven_kernelINS1_37wrapped_merge_sort_block_merge_configINS0_14default_configE6__halfN2at4cuda3cub6detail10OpaqueTypeILi8EEEEEPS5_SD_PSB_SE_jNS1_19radix_merge_compareILb0ELb0ES5_NS0_19identity_decomposerEEEEEvT0_T1_T2_T3_T4_SM_T5_.num_agpr, 0
	.set _ZN7rocprim17ROCPRIM_304000_NS6detail33device_block_merge_oddeven_kernelINS1_37wrapped_merge_sort_block_merge_configINS0_14default_configE6__halfN2at4cuda3cub6detail10OpaqueTypeILi8EEEEEPS5_SD_PSB_SE_jNS1_19radix_merge_compareILb0ELb0ES5_NS0_19identity_decomposerEEEEEvT0_T1_T2_T3_T4_SM_T5_.numbered_sgpr, 22
	.set _ZN7rocprim17ROCPRIM_304000_NS6detail33device_block_merge_oddeven_kernelINS1_37wrapped_merge_sort_block_merge_configINS0_14default_configE6__halfN2at4cuda3cub6detail10OpaqueTypeILi8EEEEEPS5_SD_PSB_SE_jNS1_19radix_merge_compareILb0ELb0ES5_NS0_19identity_decomposerEEEEEvT0_T1_T2_T3_T4_SM_T5_.num_named_barrier, 0
	.set _ZN7rocprim17ROCPRIM_304000_NS6detail33device_block_merge_oddeven_kernelINS1_37wrapped_merge_sort_block_merge_configINS0_14default_configE6__halfN2at4cuda3cub6detail10OpaqueTypeILi8EEEEEPS5_SD_PSB_SE_jNS1_19radix_merge_compareILb0ELb0ES5_NS0_19identity_decomposerEEEEEvT0_T1_T2_T3_T4_SM_T5_.private_seg_size, 0
	.set _ZN7rocprim17ROCPRIM_304000_NS6detail33device_block_merge_oddeven_kernelINS1_37wrapped_merge_sort_block_merge_configINS0_14default_configE6__halfN2at4cuda3cub6detail10OpaqueTypeILi8EEEEEPS5_SD_PSB_SE_jNS1_19radix_merge_compareILb0ELb0ES5_NS0_19identity_decomposerEEEEEvT0_T1_T2_T3_T4_SM_T5_.uses_vcc, 1
	.set _ZN7rocprim17ROCPRIM_304000_NS6detail33device_block_merge_oddeven_kernelINS1_37wrapped_merge_sort_block_merge_configINS0_14default_configE6__halfN2at4cuda3cub6detail10OpaqueTypeILi8EEEEEPS5_SD_PSB_SE_jNS1_19radix_merge_compareILb0ELb0ES5_NS0_19identity_decomposerEEEEEvT0_T1_T2_T3_T4_SM_T5_.uses_flat_scratch, 0
	.set _ZN7rocprim17ROCPRIM_304000_NS6detail33device_block_merge_oddeven_kernelINS1_37wrapped_merge_sort_block_merge_configINS0_14default_configE6__halfN2at4cuda3cub6detail10OpaqueTypeILi8EEEEEPS5_SD_PSB_SE_jNS1_19radix_merge_compareILb0ELb0ES5_NS0_19identity_decomposerEEEEEvT0_T1_T2_T3_T4_SM_T5_.has_dyn_sized_stack, 0
	.set _ZN7rocprim17ROCPRIM_304000_NS6detail33device_block_merge_oddeven_kernelINS1_37wrapped_merge_sort_block_merge_configINS0_14default_configE6__halfN2at4cuda3cub6detail10OpaqueTypeILi8EEEEEPS5_SD_PSB_SE_jNS1_19radix_merge_compareILb0ELb0ES5_NS0_19identity_decomposerEEEEEvT0_T1_T2_T3_T4_SM_T5_.has_recursion, 0
	.set _ZN7rocprim17ROCPRIM_304000_NS6detail33device_block_merge_oddeven_kernelINS1_37wrapped_merge_sort_block_merge_configINS0_14default_configE6__halfN2at4cuda3cub6detail10OpaqueTypeILi8EEEEEPS5_SD_PSB_SE_jNS1_19radix_merge_compareILb0ELb0ES5_NS0_19identity_decomposerEEEEEvT0_T1_T2_T3_T4_SM_T5_.has_indirect_call, 0
	.section	.AMDGPU.csdata,"",@progbits
; Kernel info:
; codeLenInByte = 896
; TotalNumSgprs: 26
; NumVgprs: 12
; ScratchSize: 0
; MemoryBound: 0
; FloatMode: 240
; IeeeMode: 1
; LDSByteSize: 0 bytes/workgroup (compile time only)
; SGPRBlocks: 3
; VGPRBlocks: 2
; NumSGPRsForWavesPerEU: 26
; NumVGPRsForWavesPerEU: 12
; Occupancy: 10
; WaveLimiterHint : 0
; COMPUTE_PGM_RSRC2:SCRATCH_EN: 0
; COMPUTE_PGM_RSRC2:USER_SGPR: 6
; COMPUTE_PGM_RSRC2:TRAP_HANDLER: 0
; COMPUTE_PGM_RSRC2:TGID_X_EN: 1
; COMPUTE_PGM_RSRC2:TGID_Y_EN: 0
; COMPUTE_PGM_RSRC2:TGID_Z_EN: 0
; COMPUTE_PGM_RSRC2:TIDIG_COMP_CNT: 0
	.section	.text._ZN7rocprim17ROCPRIM_304000_NS6detail26onesweep_histograms_kernelINS1_34wrapped_radix_sort_onesweep_configINS0_14default_configE6__halfN2at4cuda3cub6detail10OpaqueTypeILi8EEEEELb0EPKS5_mNS0_19identity_decomposerEEEvT1_PT2_SH_SH_T3_jj,"axG",@progbits,_ZN7rocprim17ROCPRIM_304000_NS6detail26onesweep_histograms_kernelINS1_34wrapped_radix_sort_onesweep_configINS0_14default_configE6__halfN2at4cuda3cub6detail10OpaqueTypeILi8EEEEELb0EPKS5_mNS0_19identity_decomposerEEEvT1_PT2_SH_SH_T3_jj,comdat
	.protected	_ZN7rocprim17ROCPRIM_304000_NS6detail26onesweep_histograms_kernelINS1_34wrapped_radix_sort_onesweep_configINS0_14default_configE6__halfN2at4cuda3cub6detail10OpaqueTypeILi8EEEEELb0EPKS5_mNS0_19identity_decomposerEEEvT1_PT2_SH_SH_T3_jj ; -- Begin function _ZN7rocprim17ROCPRIM_304000_NS6detail26onesweep_histograms_kernelINS1_34wrapped_radix_sort_onesweep_configINS0_14default_configE6__halfN2at4cuda3cub6detail10OpaqueTypeILi8EEEEELb0EPKS5_mNS0_19identity_decomposerEEEvT1_PT2_SH_SH_T3_jj
	.globl	_ZN7rocprim17ROCPRIM_304000_NS6detail26onesweep_histograms_kernelINS1_34wrapped_radix_sort_onesweep_configINS0_14default_configE6__halfN2at4cuda3cub6detail10OpaqueTypeILi8EEEEELb0EPKS5_mNS0_19identity_decomposerEEEvT1_PT2_SH_SH_T3_jj
	.p2align	8
	.type	_ZN7rocprim17ROCPRIM_304000_NS6detail26onesweep_histograms_kernelINS1_34wrapped_radix_sort_onesweep_configINS0_14default_configE6__halfN2at4cuda3cub6detail10OpaqueTypeILi8EEEEELb0EPKS5_mNS0_19identity_decomposerEEEvT1_PT2_SH_SH_T3_jj,@function
_ZN7rocprim17ROCPRIM_304000_NS6detail26onesweep_histograms_kernelINS1_34wrapped_radix_sort_onesweep_configINS0_14default_configE6__halfN2at4cuda3cub6detail10OpaqueTypeILi8EEEEELb0EPKS5_mNS0_19identity_decomposerEEEvT1_PT2_SH_SH_T3_jj: ; @_ZN7rocprim17ROCPRIM_304000_NS6detail26onesweep_histograms_kernelINS1_34wrapped_radix_sort_onesweep_configINS0_14default_configE6__halfN2at4cuda3cub6detail10OpaqueTypeILi8EEEEELb0EPKS5_mNS0_19identity_decomposerEEEvT1_PT2_SH_SH_T3_jj
; %bb.0:
	s_load_dwordx8 s[24:31], s[4:5], 0x0
	s_load_dwordx2 s[34:35], s[4:5], 0x24
	v_mov_b32_e32 v1, s6
	v_mov_b32_e32 v2, 0
	s_mul_hi_u32 s0, s6, 0x1800
	s_waitcnt lgkmcnt(0)
	v_cmp_le_u64_e32 vcc, s[30:31], v[1:2]
	s_mulk_i32 s6, 0x1800
	s_add_u32 s24, s24, s6
	s_addc_u32 s25, s25, s0
	s_mov_b64 s[0:1], -1
	v_lshlrev_b32_e32 v3, 1, v0
	s_cbranch_vccz .LBB197_84
; %bb.1:
	s_mul_i32 s0, s30, 0xfffff400
	s_add_i32 s28, s0, s28
	v_mov_b32_e32 v2, s25
	v_add_co_u32_e32 v1, vcc, s24, v3
	v_addc_co_u32_e32 v2, vcc, 0, v2, vcc
	v_cmp_gt_u32_e64 s[22:23], s28, v0
                                        ; implicit-def: $vgpr15
	s_and_saveexec_b64 s[0:1], s[22:23]
	s_cbranch_execz .LBB197_3
; %bb.2:
	global_load_ushort v15, v[1:2], off
.LBB197_3:
	s_or_b64 exec, exec, s[0:1]
	v_or_b32_e32 v4, 0x100, v0
	v_cmp_gt_u32_e64 s[20:21], s28, v4
                                        ; implicit-def: $vgpr14
	s_and_saveexec_b64 s[0:1], s[20:21]
	s_cbranch_execz .LBB197_5
; %bb.4:
	global_load_ushort v14, v[1:2], off offset:512
.LBB197_5:
	s_or_b64 exec, exec, s[0:1]
	v_or_b32_e32 v4, 0x200, v0
	v_cmp_gt_u32_e64 s[18:19], s28, v4
                                        ; implicit-def: $vgpr13
	s_and_saveexec_b64 s[0:1], s[18:19]
	s_cbranch_execz .LBB197_7
; %bb.6:
	global_load_ushort v13, v[1:2], off offset:1024
.LBB197_7:
	s_or_b64 exec, exec, s[0:1]
	v_or_b32_e32 v4, 0x300, v0
	v_cmp_gt_u32_e64 s[16:17], s28, v4
                                        ; implicit-def: $vgpr12
	s_and_saveexec_b64 s[0:1], s[16:17]
	s_cbranch_execz .LBB197_9
; %bb.8:
	global_load_ushort v12, v[1:2], off offset:1536
.LBB197_9:
	s_or_b64 exec, exec, s[0:1]
	v_or_b32_e32 v16, 0x400, v0
	v_cmp_gt_u32_e64 s[14:15], s28, v16
                                        ; implicit-def: $vgpr11
	s_and_saveexec_b64 s[0:1], s[14:15]
	s_cbranch_execz .LBB197_11
; %bb.10:
	global_load_ushort v11, v[1:2], off offset:2048
.LBB197_11:
	s_or_b64 exec, exec, s[0:1]
	v_or_b32_e32 v4, 0x500, v0
	v_cmp_gt_u32_e64 s[12:13], s28, v4
                                        ; implicit-def: $vgpr10
	s_and_saveexec_b64 s[0:1], s[12:13]
	s_cbranch_execz .LBB197_13
; %bb.12:
	global_load_ushort v10, v[1:2], off offset:2560
.LBB197_13:
	s_or_b64 exec, exec, s[0:1]
	v_or_b32_e32 v4, 0x600, v0
	v_cmp_gt_u32_e64 s[10:11], s28, v4
                                        ; implicit-def: $vgpr9
	s_and_saveexec_b64 s[0:1], s[10:11]
	s_cbranch_execz .LBB197_15
; %bb.14:
	global_load_ushort v9, v[1:2], off offset:3072
.LBB197_15:
	s_or_b64 exec, exec, s[0:1]
	v_or_b32_e32 v4, 0x700, v0
	v_cmp_gt_u32_e64 s[8:9], s28, v4
                                        ; implicit-def: $vgpr8
	s_and_saveexec_b64 s[0:1], s[8:9]
	s_cbranch_execz .LBB197_17
; %bb.16:
	global_load_ushort v8, v[1:2], off offset:3584
.LBB197_17:
	s_or_b64 exec, exec, s[0:1]
	v_or_b32_e32 v4, 0x800, v0
	v_cmp_gt_u32_e64 s[6:7], s28, v4
                                        ; implicit-def: $vgpr7
	s_and_saveexec_b64 s[0:1], s[6:7]
	s_cbranch_execz .LBB197_19
; %bb.18:
	v_add_co_u32_e32 v4, vcc, 0x1000, v1
	v_addc_co_u32_e32 v5, vcc, 0, v2, vcc
	global_load_ushort v7, v[4:5], off
.LBB197_19:
	s_or_b64 exec, exec, s[0:1]
	v_or_b32_e32 v4, 0x900, v0
	v_cmp_gt_u32_e64 s[4:5], s28, v4
                                        ; implicit-def: $vgpr6
	s_and_saveexec_b64 s[0:1], s[4:5]
	s_cbranch_execz .LBB197_21
; %bb.20:
	v_add_co_u32_e32 v4, vcc, 0x1000, v1
	v_addc_co_u32_e32 v5, vcc, 0, v2, vcc
	global_load_ushort v6, v[4:5], off offset:512
.LBB197_21:
	s_or_b64 exec, exec, s[0:1]
	v_or_b32_e32 v4, 0xa00, v0
	v_cmp_gt_u32_e64 s[2:3], s28, v4
                                        ; implicit-def: $vgpr5
	s_and_saveexec_b64 s[0:1], s[2:3]
	s_cbranch_execz .LBB197_23
; %bb.22:
	v_add_co_u32_e32 v4, vcc, 0x1000, v1
	v_addc_co_u32_e32 v5, vcc, 0, v2, vcc
	global_load_ushort v5, v[4:5], off offset:1024
.LBB197_23:
	s_or_b64 exec, exec, s[0:1]
	v_or_b32_e32 v4, 0xb00, v0
	v_cmp_gt_u32_e64 s[0:1], s28, v4
                                        ; implicit-def: $vgpr4
	s_and_saveexec_b64 s[28:29], s[0:1]
	s_cbranch_execz .LBB197_25
; %bb.24:
	v_add_co_u32_e32 v1, vcc, 0x1000, v1
	v_addc_co_u32_e32 v2, vcc, 0, v2, vcc
	global_load_ushort v4, v[1:2], off offset:1536
.LBB197_25:
	s_or_b64 exec, exec, s[28:29]
	s_movk_i32 s28, 0x700
	v_lshlrev_b32_e32 v1, 2, v0
	v_mov_b32_e32 v2, 0
	v_cmp_gt_u32_e32 vcc, s28, v16
	ds_write2st64_b32 v1, v2, v2 offset1:4
	ds_write2st64_b32 v1, v2, v2 offset0:8 offset1:12
	ds_write_b32 v1, v2 offset:4096
	s_and_saveexec_b64 s[28:29], vcc
	s_cbranch_execz .LBB197_29
; %bb.26:
	s_movk_i32 s30, 0x200
	v_cmp_gt_u32_e32 vcc, s30, v0
	ds_write_b32 v1, v2 offset:5120
	s_and_b64 exec, exec, vcc
	s_cbranch_execz .LBB197_29
; %bb.27:
	s_movk_i32 s30, 0x100
	v_mov_b32_e32 v2, 0
	v_cmp_gt_u32_e32 vcc, s30, v0
	ds_write_b32 v1, v2 offset:6144
	s_and_b64 exec, exec, vcc
; %bb.28:
	ds_write_b32 v1, v2 offset:7168
.LBB197_29:
	s_or_b64 exec, exec, s[28:29]
	s_cmp_gt_u32 s35, s34
	s_cselect_b64 s[28:29], -1, 0
	s_cmp_le_u32 s35, s34
	s_waitcnt vmcnt(0) lgkmcnt(0)
	s_barrier
	s_cbranch_scc1 .LBB197_78
; %bb.30:
	v_mov_b32_e32 v2, 0xffff8000
	v_cmp_lt_i16_e32 vcc, -1, v15
	v_cndmask_b32_e32 v16, -1, v2, vcc
	v_and_b32_e32 v1, 3, v0
	v_xor_b32_e32 v15, v16, v15
	s_movk_i32 s30, 0x7fff
	v_cmp_ne_u16_e32 vcc, s30, v15
	v_lshlrev_b32_e32 v1, 2, v1
	s_sub_i32 s33, s35, s34
	v_cndmask_b32_e32 v2, v2, v15, vcc
	v_mov_b32_e32 v15, 1
	s_mov_b32 s36, s33
	v_mov_b32_e32 v16, v1
	s_mov_b32 s37, s34
	s_branch .LBB197_32
.LBB197_31:                             ;   in Loop: Header=BB197_32 Depth=1
	s_or_b64 exec, exec, s[30:31]
	s_add_i32 s37, s37, 8
	s_add_i32 s36, s36, -8
	s_cmp_ge_u32 s37, s35
	v_add_u32_e32 v16, 0x1000, v16
	s_cbranch_scc1 .LBB197_34
.LBB197_32:                             ; =>This Inner Loop Header: Depth=1
	s_and_saveexec_b64 s[30:31], s[22:23]
	s_cbranch_execz .LBB197_31
; %bb.33:                               ;   in Loop: Header=BB197_32 Depth=1
	s_min_u32 s38, s36, 8
	v_lshrrev_b32_sdwa v17, s37, v2 dst_sel:DWORD dst_unused:UNUSED_PAD src0_sel:DWORD src1_sel:WORD_0
	v_bfe_u32 v17, v17, 0, s38
	v_lshl_add_u32 v17, v17, 4, v16
	ds_add_u32 v17, v15
	s_branch .LBB197_31
.LBB197_34:
	v_mov_b32_e32 v2, 0xffff8000
	v_cmp_lt_i16_e32 vcc, -1, v14
	v_cndmask_b32_e32 v15, -1, v2, vcc
	v_xor_b32_e32 v14, v15, v14
	s_movk_i32 s22, 0x7fff
	v_cmp_ne_u16_e32 vcc, s22, v14
	v_cndmask_b32_e32 v2, v2, v14, vcc
	v_mov_b32_e32 v14, 1
	s_mov_b32 s30, s33
	v_mov_b32_e32 v15, v1
	s_mov_b32 s31, s34
	s_branch .LBB197_36
.LBB197_35:                             ;   in Loop: Header=BB197_36 Depth=1
	s_or_b64 exec, exec, s[22:23]
	s_add_i32 s31, s31, 8
	s_add_i32 s30, s30, -8
	s_cmp_lt_u32 s31, s35
	v_add_u32_e32 v15, 0x1000, v15
	s_cbranch_scc0 .LBB197_38
.LBB197_36:                             ; =>This Inner Loop Header: Depth=1
	s_and_saveexec_b64 s[22:23], s[20:21]
	s_cbranch_execz .LBB197_35
; %bb.37:                               ;   in Loop: Header=BB197_36 Depth=1
	s_min_u32 s36, s30, 8
	v_lshrrev_b32_sdwa v16, s31, v2 dst_sel:DWORD dst_unused:UNUSED_PAD src0_sel:DWORD src1_sel:WORD_0
	v_bfe_u32 v16, v16, 0, s36
	v_lshl_add_u32 v16, v16, 4, v15
	ds_add_u32 v16, v14
	s_branch .LBB197_35
.LBB197_38:
	v_mov_b32_e32 v2, 0xffff8000
	v_cmp_lt_i16_e32 vcc, -1, v13
	v_cndmask_b32_e32 v14, -1, v2, vcc
	v_xor_b32_e32 v13, v14, v13
	s_movk_i32 s20, 0x7fff
	v_cmp_ne_u16_e32 vcc, s20, v13
	v_cndmask_b32_e32 v2, v2, v13, vcc
	v_mov_b32_e32 v13, 1
	s_mov_b32 s22, s33
	v_mov_b32_e32 v14, v1
	s_mov_b32 s23, s34
	s_branch .LBB197_40
.LBB197_39:                             ;   in Loop: Header=BB197_40 Depth=1
	s_or_b64 exec, exec, s[20:21]
	s_add_i32 s23, s23, 8
	s_add_i32 s22, s22, -8
	s_cmp_lt_u32 s23, s35
	v_add_u32_e32 v14, 0x1000, v14
	s_cbranch_scc0 .LBB197_42
.LBB197_40:                             ; =>This Inner Loop Header: Depth=1
	s_and_saveexec_b64 s[20:21], s[18:19]
	s_cbranch_execz .LBB197_39
; %bb.41:                               ;   in Loop: Header=BB197_40 Depth=1
	s_min_u32 s30, s22, 8
	v_lshrrev_b32_sdwa v15, s23, v2 dst_sel:DWORD dst_unused:UNUSED_PAD src0_sel:DWORD src1_sel:WORD_0
	v_bfe_u32 v15, v15, 0, s30
	v_lshl_add_u32 v15, v15, 4, v14
	ds_add_u32 v15, v13
	s_branch .LBB197_39
.LBB197_42:
	;; [unrolled: 30-line block ×10, first 2 shown]
	v_mov_b32_e32 v2, 0xffff8000
	v_cmp_lt_i16_e32 vcc, -1, v4
	v_cndmask_b32_e32 v5, -1, v2, vcc
	v_xor_b32_e32 v4, v5, v4
	s_movk_i32 s2, 0x7fff
	v_cmp_ne_u16_e32 vcc, s2, v4
	v_cndmask_b32_e32 v2, v2, v4, vcc
	v_mov_b32_e32 v4, 1
	s_mov_b32 s4, s34
	s_branch .LBB197_76
.LBB197_75:                             ;   in Loop: Header=BB197_76 Depth=1
	s_or_b64 exec, exec, s[2:3]
	s_add_i32 s4, s4, 8
	s_add_i32 s33, s33, -8
	s_cmp_lt_u32 s4, s35
	v_add_u32_e32 v1, 0x1000, v1
	s_cbranch_scc0 .LBB197_78
.LBB197_76:                             ; =>This Inner Loop Header: Depth=1
	s_and_saveexec_b64 s[2:3], s[0:1]
	s_cbranch_execz .LBB197_75
; %bb.77:                               ;   in Loop: Header=BB197_76 Depth=1
	s_min_u32 s5, s33, 8
	v_lshrrev_b32_sdwa v5, s4, v2 dst_sel:DWORD dst_unused:UNUSED_PAD src0_sel:DWORD src1_sel:WORD_0
	v_bfe_u32 v5, v5, 0, s5
	v_lshl_add_u32 v5, v5, 4, v1
	ds_add_u32 v5, v4
	s_branch .LBB197_75
.LBB197_78:
	s_and_b64 vcc, exec, s[28:29]
	s_waitcnt lgkmcnt(0)
	s_barrier
	s_cbranch_vccz .LBB197_83
; %bb.79:
	s_movk_i32 s0, 0x100
	v_cmp_gt_u32_e32 vcc, s0, v0
	v_lshlrev_b32_e32 v4, 4, v0
	v_mov_b32_e32 v2, 0
	v_mov_b32_e32 v1, v0
	s_mov_b32 s4, s34
	s_branch .LBB197_81
.LBB197_80:                             ;   in Loop: Header=BB197_81 Depth=1
	s_or_b64 exec, exec, s[2:3]
	s_add_i32 s4, s4, 8
	v_add_u32_e32 v1, 0x100, v1
	s_cmp_lt_u32 s4, s35
	v_add_u32_e32 v4, 0x1000, v4
	s_cbranch_scc0 .LBB197_83
.LBB197_81:                             ; =>This Inner Loop Header: Depth=1
	s_and_saveexec_b64 s[2:3], vcc
	s_cbranch_execz .LBB197_80
; %bb.82:                               ;   in Loop: Header=BB197_81 Depth=1
	ds_read2_b32 v[5:6], v4 offset1:1
	ds_read2_b32 v[7:8], v4 offset0:2 offset1:3
	v_lshlrev_b64 v[9:10], 3, v[1:2]
	v_mov_b32_e32 v11, s27
	s_waitcnt lgkmcnt(1)
	v_add_u32_e32 v5, v6, v5
	s_waitcnt lgkmcnt(0)
	v_add3_u32 v5, v5, v7, v8
	v_add_co_u32_e64 v7, s[0:1], s26, v9
	v_addc_co_u32_e64 v8, s[0:1], v11, v10, s[0:1]
	v_mov_b32_e32 v6, v2
	global_atomic_add_x2 v[7:8], v[5:6], off
	s_branch .LBB197_80
.LBB197_83:
	s_mov_b64 s[0:1], 0
.LBB197_84:
	s_and_b64 vcc, exec, s[0:1]
	s_cbranch_vccz .LBB197_128
; %bb.85:
	v_mov_b32_e32 v1, s25
	v_add_co_u32_e32 v2, vcc, s24, v3
	v_addc_co_u32_e32 v5, vcc, 0, v1, vcc
	v_add_co_u32_e32 v1, vcc, 0x1000, v2
	global_load_ushort v10, v3, s[24:25] offset:2048
	global_load_ushort v8, v3, s[24:25] offset:2560
	;; [unrolled: 1-line block ×4, first 2 shown]
	v_addc_co_u32_e32 v2, vcc, 0, v5, vcc
	global_load_ushort v15, v3, s[24:25]
	global_load_ushort v14, v3, s[24:25] offset:512
	global_load_ushort v13, v3, s[24:25] offset:1024
	;; [unrolled: 1-line block ×3, first 2 shown]
	global_load_ushort v11, v[1:2], off
	global_load_ushort v9, v[1:2], off offset:512
	global_load_ushort v7, v[1:2], off offset:1024
	;; [unrolled: 1-line block ×3, first 2 shown]
	s_cmp_lg_u32 s34, 0
	s_cselect_b64 s[0:1], -1, 0
	s_cmp_lg_u32 s35, 16
	s_cselect_b64 s[2:3], -1, 0
	s_or_b64 s[2:3], s[0:1], s[2:3]
	v_mov_b32_e32 v1, 0
	s_mov_b64 s[0:1], -1
	s_and_b64 vcc, exec, s[2:3]
	v_lshlrev_b32_e32 v3, 2, v0
	s_cbranch_vccz .LBB197_121
; %bb.86:
	v_or_b32_e32 v2, 0x400, v0
	s_movk_i32 s0, 0x700
	v_cmp_gt_u32_e32 vcc, s0, v2
	ds_write2st64_b32 v3, v1, v1 offset1:4
	ds_write2st64_b32 v3, v1, v1 offset0:8 offset1:12
	ds_write_b32 v3, v1 offset:4096
	s_and_saveexec_b64 s[0:1], vcc
	s_cbranch_execz .LBB197_90
; %bb.87:
	s_movk_i32 s2, 0x200
	v_mov_b32_e32 v1, 0
	v_cmp_gt_u32_e32 vcc, s2, v0
	ds_write_b32 v3, v1 offset:5120
	s_and_b64 exec, exec, vcc
	s_cbranch_execz .LBB197_90
; %bb.88:
	s_movk_i32 s2, 0x100
	v_cmp_gt_u32_e32 vcc, s2, v0
	ds_write_b32 v3, v1 offset:6144
	s_and_b64 exec, exec, vcc
; %bb.89:
	v_mov_b32_e32 v1, 0
	ds_write_b32 v3, v1 offset:7168
.LBB197_90:
	s_or_b64 exec, exec, s[0:1]
	s_cmp_gt_u32 s35, s34
	s_cselect_b64 s[0:1], -1, 0
	s_cmp_le_u32 s35, s34
	s_waitcnt vmcnt(0) lgkmcnt(0)
	s_barrier
	s_cbranch_scc1 .LBB197_115
; %bb.91:
	v_mov_b32_e32 v2, 0xffff8000
	v_cmp_lt_i16_e32 vcc, -1, v15
	v_cndmask_b32_e32 v16, -1, v2, vcc
	v_and_b32_e32 v1, 3, v0
	v_xor_b32_e32 v16, v16, v15
	s_movk_i32 s2, 0x7fff
	v_cmp_ne_u16_e32 vcc, s2, v16
	v_lshlrev_b32_e32 v1, 2, v1
	s_sub_i32 s2, s35, s34
	v_cndmask_b32_e32 v2, v2, v16, vcc
	v_mov_b32_e32 v16, 1
	s_mov_b32 s3, s2
	v_mov_b32_e32 v17, v1
	s_mov_b32 s4, s34
.LBB197_92:                             ; =>This Inner Loop Header: Depth=1
	s_min_u32 s5, s3, 8
	v_lshrrev_b32_sdwa v18, s4, v2 dst_sel:DWORD dst_unused:UNUSED_PAD src0_sel:DWORD src1_sel:WORD_0
	v_bfe_u32 v18, v18, 0, s5
	v_lshl_add_u32 v18, v18, 4, v17
	ds_add_u32 v18, v16
	s_add_i32 s4, s4, 8
	s_add_i32 s3, s3, -8
	s_cmp_ge_u32 s4, s35
	v_add_u32_e32 v17, 0x1000, v17
	s_cbranch_scc0 .LBB197_92
; %bb.93:
	v_mov_b32_e32 v2, 0xffff8000
	v_cmp_lt_i16_e32 vcc, -1, v14
	v_cndmask_b32_e32 v16, -1, v2, vcc
	v_xor_b32_e32 v16, v16, v14
	s_movk_i32 s3, 0x7fff
	v_cmp_ne_u16_e32 vcc, s3, v16
	v_cndmask_b32_e32 v2, v2, v16, vcc
	v_mov_b32_e32 v16, 1
	s_mov_b32 s3, s2
	v_mov_b32_e32 v17, v1
	s_mov_b32 s4, s34
.LBB197_94:                             ; =>This Inner Loop Header: Depth=1
	s_min_u32 s5, s3, 8
	v_lshrrev_b32_sdwa v18, s4, v2 dst_sel:DWORD dst_unused:UNUSED_PAD src0_sel:DWORD src1_sel:WORD_0
	v_bfe_u32 v18, v18, 0, s5
	v_lshl_add_u32 v18, v18, 4, v17
	ds_add_u32 v18, v16
	s_add_i32 s4, s4, 8
	s_add_i32 s3, s3, -8
	s_cmp_lt_u32 s4, s35
	v_add_u32_e32 v17, 0x1000, v17
	s_cbranch_scc1 .LBB197_94
; %bb.95:
	v_mov_b32_e32 v2, 0xffff8000
	v_cmp_lt_i16_e32 vcc, -1, v13
	v_cndmask_b32_e32 v16, -1, v2, vcc
	v_xor_b32_e32 v16, v16, v13
	s_movk_i32 s3, 0x7fff
	v_cmp_ne_u16_e32 vcc, s3, v16
	v_cndmask_b32_e32 v2, v2, v16, vcc
	v_mov_b32_e32 v16, 1
	s_mov_b32 s3, s2
	v_mov_b32_e32 v17, v1
	s_mov_b32 s4, s34
.LBB197_96:                             ; =>This Inner Loop Header: Depth=1
	s_min_u32 s5, s3, 8
	v_lshrrev_b32_sdwa v18, s4, v2 dst_sel:DWORD dst_unused:UNUSED_PAD src0_sel:DWORD src1_sel:WORD_0
	v_bfe_u32 v18, v18, 0, s5
	v_lshl_add_u32 v18, v18, 4, v17
	ds_add_u32 v18, v16
	s_add_i32 s4, s4, 8
	s_add_i32 s3, s3, -8
	s_cmp_lt_u32 s4, s35
	v_add_u32_e32 v17, 0x1000, v17
	s_cbranch_scc1 .LBB197_96
	;; [unrolled: 23-line block ×3, first 2 shown]
; %bb.99:
	v_mov_b32_e32 v2, 0xffff8000
	v_cmp_lt_i16_e32 vcc, -1, v10
	v_cndmask_b32_e32 v16, -1, v2, vcc
	v_xor_b32_e32 v16, v16, v10
	s_movk_i32 s3, 0x7fff
	v_cmp_ne_u16_e32 vcc, s3, v16
	v_cndmask_b32_e32 v2, v2, v16, vcc
	v_mov_b32_e32 v16, 1
	s_mov_b32 s3, s2
	v_mov_b32_e32 v17, v1
	s_mov_b32 s4, s34
.LBB197_100:                            ; =>This Inner Loop Header: Depth=1
	s_min_u32 s5, s3, 8
	v_lshrrev_b32_sdwa v18, s4, v2 dst_sel:DWORD dst_unused:UNUSED_PAD src0_sel:DWORD src1_sel:WORD_0
	v_bfe_u32 v18, v18, 0, s5
	v_lshl_add_u32 v18, v18, 4, v17
	ds_add_u32 v18, v16
	s_add_i32 s4, s4, 8
	s_add_i32 s3, s3, -8
	s_cmp_lt_u32 s4, s35
	v_add_u32_e32 v17, 0x1000, v17
	s_cbranch_scc1 .LBB197_100
; %bb.101:
	v_mov_b32_e32 v2, 0xffff8000
	v_cmp_lt_i16_e32 vcc, -1, v8
	v_cndmask_b32_e32 v16, -1, v2, vcc
	v_xor_b32_e32 v16, v16, v8
	s_movk_i32 s3, 0x7fff
	v_cmp_ne_u16_e32 vcc, s3, v16
	v_cndmask_b32_e32 v2, v2, v16, vcc
	v_mov_b32_e32 v16, 1
	s_mov_b32 s3, s2
	v_mov_b32_e32 v17, v1
	s_mov_b32 s4, s34
.LBB197_102:                            ; =>This Inner Loop Header: Depth=1
	s_min_u32 s5, s3, 8
	v_lshrrev_b32_sdwa v18, s4, v2 dst_sel:DWORD dst_unused:UNUSED_PAD src0_sel:DWORD src1_sel:WORD_0
	v_bfe_u32 v18, v18, 0, s5
	v_lshl_add_u32 v18, v18, 4, v17
	ds_add_u32 v18, v16
	s_add_i32 s4, s4, 8
	s_add_i32 s3, s3, -8
	s_cmp_lt_u32 s4, s35
	v_add_u32_e32 v17, 0x1000, v17
	s_cbranch_scc1 .LBB197_102
	;; [unrolled: 23-line block ×7, first 2 shown]
; %bb.113:
	v_mov_b32_e32 v2, 0xffff8000
	v_cmp_lt_i16_e32 vcc, -1, v5
	v_cndmask_b32_e32 v16, -1, v2, vcc
	v_xor_b32_e32 v16, v16, v5
	s_movk_i32 s3, 0x7fff
	v_cmp_ne_u16_e32 vcc, s3, v16
	v_cndmask_b32_e32 v2, v2, v16, vcc
	v_mov_b32_e32 v16, 1
	s_mov_b32 s3, s34
.LBB197_114:                            ; =>This Inner Loop Header: Depth=1
	s_min_u32 s4, s2, 8
	v_lshrrev_b32_sdwa v17, s3, v2 dst_sel:DWORD dst_unused:UNUSED_PAD src0_sel:DWORD src1_sel:WORD_0
	v_bfe_u32 v17, v17, 0, s4
	v_lshl_add_u32 v17, v17, 4, v1
	ds_add_u32 v17, v16
	s_add_i32 s3, s3, 8
	s_add_i32 s2, s2, -8
	s_cmp_lt_u32 s3, s35
	v_add_u32_e32 v1, 0x1000, v1
	s_cbranch_scc1 .LBB197_114
.LBB197_115:
	s_and_b64 vcc, exec, s[0:1]
	s_waitcnt lgkmcnt(0)
	s_barrier
	s_cbranch_vccz .LBB197_120
; %bb.116:
	s_movk_i32 s0, 0x100
	v_cmp_gt_u32_e32 vcc, s0, v0
	v_lshlrev_b32_e32 v16, 4, v0
	v_mov_b32_e32 v2, 0
	v_mov_b32_e32 v1, v0
	s_branch .LBB197_118
.LBB197_117:                            ;   in Loop: Header=BB197_118 Depth=1
	s_or_b64 exec, exec, s[2:3]
	s_add_i32 s34, s34, 8
	v_add_u32_e32 v1, 0x100, v1
	s_cmp_ge_u32 s34, s35
	v_add_u32_e32 v16, 0x1000, v16
	s_cbranch_scc1 .LBB197_120
.LBB197_118:                            ; =>This Inner Loop Header: Depth=1
	s_and_saveexec_b64 s[2:3], vcc
	s_cbranch_execz .LBB197_117
; %bb.119:                              ;   in Loop: Header=BB197_118 Depth=1
	ds_read2_b32 v[17:18], v16 offset1:1
	ds_read2_b32 v[19:20], v16 offset0:2 offset1:3
	v_lshlrev_b64 v[21:22], 3, v[1:2]
	v_mov_b32_e32 v23, s27
	s_waitcnt lgkmcnt(1)
	v_add_u32_e32 v17, v18, v17
	s_waitcnt lgkmcnt(0)
	v_add3_u32 v17, v17, v19, v20
	v_add_co_u32_e64 v19, s[0:1], s26, v21
	v_addc_co_u32_e64 v20, s[0:1], v23, v22, s[0:1]
	v_mov_b32_e32 v18, v2
	global_atomic_add_x2 v[19:20], v[17:18], off
	s_branch .LBB197_117
.LBB197_120:
	s_mov_b64 s[0:1], 0
.LBB197_121:
	s_and_b64 vcc, exec, s[0:1]
	s_cbranch_vccz .LBB197_128
; %bb.122:
	v_or_b32_e32 v2, 0x400, v0
	s_movk_i32 s0, 0x700
	v_mov_b32_e32 v1, 0
	v_cmp_gt_u32_e32 vcc, s0, v2
	ds_write2st64_b32 v3, v1, v1 offset1:4
	ds_write2st64_b32 v3, v1, v1 offset0:8 offset1:12
	ds_write_b32 v3, v1 offset:4096
	s_and_saveexec_b64 s[0:1], vcc
	s_cbranch_execz .LBB197_126
; %bb.123:
	s_movk_i32 s2, 0x200
	v_cmp_gt_u32_e32 vcc, s2, v0
	ds_write_b32 v3, v1 offset:5120
	s_and_b64 exec, exec, vcc
	s_cbranch_execz .LBB197_126
; %bb.124:
	s_movk_i32 s2, 0x100
	v_mov_b32_e32 v1, 0
	v_cmp_gt_u32_e32 vcc, s2, v0
	ds_write_b32 v3, v1 offset:6144
	s_and_b64 exec, exec, vcc
; %bb.125:
	ds_write_b32 v3, v1 offset:7168
.LBB197_126:
	s_or_b64 exec, exec, s[0:1]
	v_mov_b32_e32 v1, 0xffff8000
	s_waitcnt vmcnt(7)
	v_cmp_lt_i16_e32 vcc, -1, v15
	v_cndmask_b32_e32 v2, -1, v1, vcc
	s_waitcnt vmcnt(6)
	v_cmp_lt_i16_e32 vcc, -1, v14
	v_cndmask_b32_e32 v3, -1, v1, vcc
	s_waitcnt vmcnt(5)
	v_cmp_lt_i16_e32 vcc, -1, v13
	v_xor_b32_e32 v3, v3, v14
	v_cndmask_b32_e32 v14, -1, v1, vcc
	s_waitcnt vmcnt(4)
	v_cmp_lt_i16_e32 vcc, -1, v12
	v_xor_b32_e32 v13, v14, v13
	v_cndmask_b32_e32 v14, -1, v1, vcc
	v_cmp_lt_i16_e32 vcc, -1, v10
	v_xor_b32_e32 v12, v14, v12
	v_cndmask_b32_e32 v14, -1, v1, vcc
	;; [unrolled: 3-line block ×5, first 2 shown]
	s_waitcnt vmcnt(3)
	v_cmp_lt_i16_e32 vcc, -1, v11
	v_xor_b32_e32 v4, v14, v4
	v_cndmask_b32_e32 v14, -1, v1, vcc
	s_waitcnt vmcnt(2)
	v_cmp_lt_i16_e32 vcc, -1, v9
	v_xor_b32_e32 v11, v14, v11
	v_cndmask_b32_e32 v14, -1, v1, vcc
	s_waitcnt vmcnt(1)
	v_cmp_lt_i16_e32 vcc, -1, v7
	v_xor_b32_e32 v2, v2, v15
	v_xor_b32_e32 v9, v14, v9
	v_cndmask_b32_e32 v14, -1, v1, vcc
	s_waitcnt vmcnt(0)
	v_cmp_lt_i16_e32 vcc, -1, v5
	s_movk_i32 s0, 0x7fff
	v_xor_b32_e32 v7, v14, v7
	v_cndmask_b32_e32 v14, -1, v1, vcc
	v_cmp_ne_u16_e32 vcc, s0, v2
	v_cndmask_b32_e32 v2, v1, v2, vcc
	v_xor_b32_e32 v5, v14, v5
	v_and_b32_e32 v14, 3, v0
	v_and_b32_e32 v2, 0xffff, v2
	v_lshlrev_b32_e32 v15, 4, v2
	v_lshlrev_b32_e32 v14, 2, v14
	s_movk_i32 s1, 0xff0
	v_and_or_b32 v15, v15, s1, v14
	v_mov_b32_e32 v16, 1
	v_bfe_u32 v2, v2, 8, 8
	s_waitcnt lgkmcnt(0)
	s_barrier
	ds_add_u32 v15, v16
	v_lshl_or_b32 v2, v2, 4, v14
	v_cmp_ne_u16_e32 vcc, s0, v3
	ds_add_u32 v2, v16 offset:4096
	v_cndmask_b32_e32 v2, v1, v3, vcc
	v_and_b32_e32 v2, 0xffff, v2
	v_lshlrev_b32_e32 v3, 4, v2
	v_and_or_b32 v3, v3, s1, v14
	v_bfe_u32 v2, v2, 8, 8
	ds_add_u32 v3, v16
	v_lshl_or_b32 v2, v2, 4, v14
	v_cmp_ne_u16_e32 vcc, s0, v13
	ds_add_u32 v2, v16 offset:4096
	v_cndmask_b32_e32 v2, v1, v13, vcc
	v_and_b32_e32 v2, 0xffff, v2
	v_lshlrev_b32_e32 v3, 4, v2
	v_and_or_b32 v3, v3, s1, v14
	v_bfe_u32 v2, v2, 8, 8
	;; [unrolled: 9-line block ×9, first 2 shown]
	ds_add_u32 v3, v16
	v_lshl_or_b32 v2, v2, 4, v14
	v_cmp_ne_u16_e32 vcc, s0, v7
	ds_add_u32 v2, v16 offset:4096
	v_cndmask_b32_e32 v2, v1, v7, vcc
	v_and_b32_e32 v2, 0xffff, v2
	v_lshlrev_b32_e32 v3, 4, v2
	v_cmp_ne_u16_e32 vcc, s0, v5
	v_and_or_b32 v3, v3, s1, v14
	v_bfe_u32 v2, v2, 8, 8
	v_cndmask_b32_e32 v1, v1, v5, vcc
	ds_add_u32 v3, v16
	v_lshl_or_b32 v2, v2, 4, v14
	v_and_b32_e32 v1, 0xffff, v1
	ds_add_u32 v2, v16 offset:4096
	v_lshlrev_b32_e32 v2, 4, v1
	v_and_or_b32 v2, v2, s1, v14
	v_bfe_u32 v1, v1, 8, 8
	ds_add_u32 v2, v16
	v_lshl_or_b32 v1, v1, 4, v14
	ds_add_u32 v1, v16 offset:4096
	s_movk_i32 s0, 0x100
	v_cmp_gt_u32_e32 vcc, s0, v0
	s_waitcnt lgkmcnt(0)
	s_barrier
	s_and_saveexec_b64 s[0:1], vcc
	s_cbranch_execz .LBB197_128
; %bb.127:
	v_lshlrev_b32_e32 v6, 4, v0
	ds_read2_b32 v[1:2], v6 offset1:1
	ds_read2_b32 v[3:4], v6 offset0:2 offset1:3
	v_lshlrev_b32_e32 v7, 3, v0
	v_mov_b32_e32 v5, 0
	v_or_b32_e32 v0, 0x1000, v6
	s_waitcnt lgkmcnt(1)
	v_add_u32_e32 v1, v2, v1
	s_waitcnt lgkmcnt(0)
	v_add3_u32 v4, v1, v3, v4
	global_atomic_add_x2 v7, v[4:5], s[26:27]
	v_or_b32_e32 v2, 0x1008, v6
	ds_read2_b32 v[0:1], v0 offset1:1
	ds_read2_b32 v[2:3], v2 offset1:1
	s_waitcnt lgkmcnt(1)
	v_add_u32_e32 v0, v1, v0
	s_waitcnt lgkmcnt(0)
	v_add3_u32 v4, v0, v2, v3
	global_atomic_add_x2 v7, v[4:5], s[26:27] offset:2048
.LBB197_128:
	s_endpgm
	.section	.rodata,"a",@progbits
	.p2align	6, 0x0
	.amdhsa_kernel _ZN7rocprim17ROCPRIM_304000_NS6detail26onesweep_histograms_kernelINS1_34wrapped_radix_sort_onesweep_configINS0_14default_configE6__halfN2at4cuda3cub6detail10OpaqueTypeILi8EEEEELb0EPKS5_mNS0_19identity_decomposerEEEvT1_PT2_SH_SH_T3_jj
		.amdhsa_group_segment_fixed_size 8192
		.amdhsa_private_segment_fixed_size 0
		.amdhsa_kernarg_size 44
		.amdhsa_user_sgpr_count 6
		.amdhsa_user_sgpr_private_segment_buffer 1
		.amdhsa_user_sgpr_dispatch_ptr 0
		.amdhsa_user_sgpr_queue_ptr 0
		.amdhsa_user_sgpr_kernarg_segment_ptr 1
		.amdhsa_user_sgpr_dispatch_id 0
		.amdhsa_user_sgpr_flat_scratch_init 0
		.amdhsa_user_sgpr_private_segment_size 0
		.amdhsa_uses_dynamic_stack 0
		.amdhsa_system_sgpr_private_segment_wavefront_offset 0
		.amdhsa_system_sgpr_workgroup_id_x 1
		.amdhsa_system_sgpr_workgroup_id_y 0
		.amdhsa_system_sgpr_workgroup_id_z 0
		.amdhsa_system_sgpr_workgroup_info 0
		.amdhsa_system_vgpr_workitem_id 0
		.amdhsa_next_free_vgpr 29
		.amdhsa_next_free_sgpr 61
		.amdhsa_reserve_vcc 1
		.amdhsa_reserve_flat_scratch 0
		.amdhsa_float_round_mode_32 0
		.amdhsa_float_round_mode_16_64 0
		.amdhsa_float_denorm_mode_32 3
		.amdhsa_float_denorm_mode_16_64 3
		.amdhsa_dx10_clamp 1
		.amdhsa_ieee_mode 1
		.amdhsa_fp16_overflow 0
		.amdhsa_exception_fp_ieee_invalid_op 0
		.amdhsa_exception_fp_denorm_src 0
		.amdhsa_exception_fp_ieee_div_zero 0
		.amdhsa_exception_fp_ieee_overflow 0
		.amdhsa_exception_fp_ieee_underflow 0
		.amdhsa_exception_fp_ieee_inexact 0
		.amdhsa_exception_int_div_zero 0
	.end_amdhsa_kernel
	.section	.text._ZN7rocprim17ROCPRIM_304000_NS6detail26onesweep_histograms_kernelINS1_34wrapped_radix_sort_onesweep_configINS0_14default_configE6__halfN2at4cuda3cub6detail10OpaqueTypeILi8EEEEELb0EPKS5_mNS0_19identity_decomposerEEEvT1_PT2_SH_SH_T3_jj,"axG",@progbits,_ZN7rocprim17ROCPRIM_304000_NS6detail26onesweep_histograms_kernelINS1_34wrapped_radix_sort_onesweep_configINS0_14default_configE6__halfN2at4cuda3cub6detail10OpaqueTypeILi8EEEEELb0EPKS5_mNS0_19identity_decomposerEEEvT1_PT2_SH_SH_T3_jj,comdat
.Lfunc_end197:
	.size	_ZN7rocprim17ROCPRIM_304000_NS6detail26onesweep_histograms_kernelINS1_34wrapped_radix_sort_onesweep_configINS0_14default_configE6__halfN2at4cuda3cub6detail10OpaqueTypeILi8EEEEELb0EPKS5_mNS0_19identity_decomposerEEEvT1_PT2_SH_SH_T3_jj, .Lfunc_end197-_ZN7rocprim17ROCPRIM_304000_NS6detail26onesweep_histograms_kernelINS1_34wrapped_radix_sort_onesweep_configINS0_14default_configE6__halfN2at4cuda3cub6detail10OpaqueTypeILi8EEEEELb0EPKS5_mNS0_19identity_decomposerEEEvT1_PT2_SH_SH_T3_jj
                                        ; -- End function
	.set _ZN7rocprim17ROCPRIM_304000_NS6detail26onesweep_histograms_kernelINS1_34wrapped_radix_sort_onesweep_configINS0_14default_configE6__halfN2at4cuda3cub6detail10OpaqueTypeILi8EEEEELb0EPKS5_mNS0_19identity_decomposerEEEvT1_PT2_SH_SH_T3_jj.num_vgpr, 24
	.set _ZN7rocprim17ROCPRIM_304000_NS6detail26onesweep_histograms_kernelINS1_34wrapped_radix_sort_onesweep_configINS0_14default_configE6__halfN2at4cuda3cub6detail10OpaqueTypeILi8EEEEELb0EPKS5_mNS0_19identity_decomposerEEEvT1_PT2_SH_SH_T3_jj.num_agpr, 0
	.set _ZN7rocprim17ROCPRIM_304000_NS6detail26onesweep_histograms_kernelINS1_34wrapped_radix_sort_onesweep_configINS0_14default_configE6__halfN2at4cuda3cub6detail10OpaqueTypeILi8EEEEELb0EPKS5_mNS0_19identity_decomposerEEEvT1_PT2_SH_SH_T3_jj.numbered_sgpr, 39
	.set _ZN7rocprim17ROCPRIM_304000_NS6detail26onesweep_histograms_kernelINS1_34wrapped_radix_sort_onesweep_configINS0_14default_configE6__halfN2at4cuda3cub6detail10OpaqueTypeILi8EEEEELb0EPKS5_mNS0_19identity_decomposerEEEvT1_PT2_SH_SH_T3_jj.num_named_barrier, 0
	.set _ZN7rocprim17ROCPRIM_304000_NS6detail26onesweep_histograms_kernelINS1_34wrapped_radix_sort_onesweep_configINS0_14default_configE6__halfN2at4cuda3cub6detail10OpaqueTypeILi8EEEEELb0EPKS5_mNS0_19identity_decomposerEEEvT1_PT2_SH_SH_T3_jj.private_seg_size, 0
	.set _ZN7rocprim17ROCPRIM_304000_NS6detail26onesweep_histograms_kernelINS1_34wrapped_radix_sort_onesweep_configINS0_14default_configE6__halfN2at4cuda3cub6detail10OpaqueTypeILi8EEEEELb0EPKS5_mNS0_19identity_decomposerEEEvT1_PT2_SH_SH_T3_jj.uses_vcc, 1
	.set _ZN7rocprim17ROCPRIM_304000_NS6detail26onesweep_histograms_kernelINS1_34wrapped_radix_sort_onesweep_configINS0_14default_configE6__halfN2at4cuda3cub6detail10OpaqueTypeILi8EEEEELb0EPKS5_mNS0_19identity_decomposerEEEvT1_PT2_SH_SH_T3_jj.uses_flat_scratch, 0
	.set _ZN7rocprim17ROCPRIM_304000_NS6detail26onesweep_histograms_kernelINS1_34wrapped_radix_sort_onesweep_configINS0_14default_configE6__halfN2at4cuda3cub6detail10OpaqueTypeILi8EEEEELb0EPKS5_mNS0_19identity_decomposerEEEvT1_PT2_SH_SH_T3_jj.has_dyn_sized_stack, 0
	.set _ZN7rocprim17ROCPRIM_304000_NS6detail26onesweep_histograms_kernelINS1_34wrapped_radix_sort_onesweep_configINS0_14default_configE6__halfN2at4cuda3cub6detail10OpaqueTypeILi8EEEEELb0EPKS5_mNS0_19identity_decomposerEEEvT1_PT2_SH_SH_T3_jj.has_recursion, 0
	.set _ZN7rocprim17ROCPRIM_304000_NS6detail26onesweep_histograms_kernelINS1_34wrapped_radix_sort_onesweep_configINS0_14default_configE6__halfN2at4cuda3cub6detail10OpaqueTypeILi8EEEEELb0EPKS5_mNS0_19identity_decomposerEEEvT1_PT2_SH_SH_T3_jj.has_indirect_call, 0
	.section	.AMDGPU.csdata,"",@progbits
; Kernel info:
; codeLenInByte = 5364
; TotalNumSgprs: 43
; NumVgprs: 24
; ScratchSize: 0
; MemoryBound: 0
; FloatMode: 240
; IeeeMode: 1
; LDSByteSize: 8192 bytes/workgroup (compile time only)
; SGPRBlocks: 8
; VGPRBlocks: 7
; NumSGPRsForWavesPerEU: 65
; NumVGPRsForWavesPerEU: 29
; Occupancy: 8
; WaveLimiterHint : 1
; COMPUTE_PGM_RSRC2:SCRATCH_EN: 0
; COMPUTE_PGM_RSRC2:USER_SGPR: 6
; COMPUTE_PGM_RSRC2:TRAP_HANDLER: 0
; COMPUTE_PGM_RSRC2:TGID_X_EN: 1
; COMPUTE_PGM_RSRC2:TGID_Y_EN: 0
; COMPUTE_PGM_RSRC2:TGID_Z_EN: 0
; COMPUTE_PGM_RSRC2:TIDIG_COMP_CNT: 0
	.section	.text._ZN7rocprim17ROCPRIM_304000_NS6detail25onesweep_iteration_kernelINS1_34wrapped_radix_sort_onesweep_configINS0_14default_configE6__halfN2at4cuda3cub6detail10OpaqueTypeILi8EEEEELb0EPKS5_PS5_PKSB_PSB_mNS0_19identity_decomposerEEEvT1_T2_T3_T4_jPT5_SP_PNS1_23onesweep_lookback_stateET6_jjj,"axG",@progbits,_ZN7rocprim17ROCPRIM_304000_NS6detail25onesweep_iteration_kernelINS1_34wrapped_radix_sort_onesweep_configINS0_14default_configE6__halfN2at4cuda3cub6detail10OpaqueTypeILi8EEEEELb0EPKS5_PS5_PKSB_PSB_mNS0_19identity_decomposerEEEvT1_T2_T3_T4_jPT5_SP_PNS1_23onesweep_lookback_stateET6_jjj,comdat
	.protected	_ZN7rocprim17ROCPRIM_304000_NS6detail25onesweep_iteration_kernelINS1_34wrapped_radix_sort_onesweep_configINS0_14default_configE6__halfN2at4cuda3cub6detail10OpaqueTypeILi8EEEEELb0EPKS5_PS5_PKSB_PSB_mNS0_19identity_decomposerEEEvT1_T2_T3_T4_jPT5_SP_PNS1_23onesweep_lookback_stateET6_jjj ; -- Begin function _ZN7rocprim17ROCPRIM_304000_NS6detail25onesweep_iteration_kernelINS1_34wrapped_radix_sort_onesweep_configINS0_14default_configE6__halfN2at4cuda3cub6detail10OpaqueTypeILi8EEEEELb0EPKS5_PS5_PKSB_PSB_mNS0_19identity_decomposerEEEvT1_T2_T3_T4_jPT5_SP_PNS1_23onesweep_lookback_stateET6_jjj
	.globl	_ZN7rocprim17ROCPRIM_304000_NS6detail25onesweep_iteration_kernelINS1_34wrapped_radix_sort_onesweep_configINS0_14default_configE6__halfN2at4cuda3cub6detail10OpaqueTypeILi8EEEEELb0EPKS5_PS5_PKSB_PSB_mNS0_19identity_decomposerEEEvT1_T2_T3_T4_jPT5_SP_PNS1_23onesweep_lookback_stateET6_jjj
	.p2align	8
	.type	_ZN7rocprim17ROCPRIM_304000_NS6detail25onesweep_iteration_kernelINS1_34wrapped_radix_sort_onesweep_configINS0_14default_configE6__halfN2at4cuda3cub6detail10OpaqueTypeILi8EEEEELb0EPKS5_PS5_PKSB_PSB_mNS0_19identity_decomposerEEEvT1_T2_T3_T4_jPT5_SP_PNS1_23onesweep_lookback_stateET6_jjj,@function
_ZN7rocprim17ROCPRIM_304000_NS6detail25onesweep_iteration_kernelINS1_34wrapped_radix_sort_onesweep_configINS0_14default_configE6__halfN2at4cuda3cub6detail10OpaqueTypeILi8EEEEELb0EPKS5_PS5_PKSB_PSB_mNS0_19identity_decomposerEEEvT1_T2_T3_T4_jPT5_SP_PNS1_23onesweep_lookback_stateET6_jjj: ; @_ZN7rocprim17ROCPRIM_304000_NS6detail25onesweep_iteration_kernelINS1_34wrapped_radix_sort_onesweep_configINS0_14default_configE6__halfN2at4cuda3cub6detail10OpaqueTypeILi8EEEEELb0EPKS5_PS5_PKSB_PSB_mNS0_19identity_decomposerEEEvT1_T2_T3_T4_jPT5_SP_PNS1_23onesweep_lookback_stateET6_jjj
; %bb.0:
	s_load_dwordx8 s[56:63], s[4:5], 0x0
	s_load_dwordx4 s[68:71], s[4:5], 0x44
	s_load_dwordx4 s[64:67], s[4:5], 0x28
	s_load_dwordx2 s[72:73], s[4:5], 0x38
	s_mov_b32 s7, s6
	s_mov_b64 s[0:1], -1
	s_waitcnt lgkmcnt(0)
	s_cmp_ge_u32 s6, s70
	s_mul_i32 s54, s6, 0xc00
	v_mbcnt_lo_u32_b32 v29, -1, 0
	s_cbranch_scc0 .LBB198_152
; %bb.1:
	s_load_dword s2, s[4:5], 0x20
	s_mulk_i32 s70, 0xf400
	s_mov_b32 s55, 0
	s_lshl_b64 s[0:1], s[54:55], 1
	v_mbcnt_hi_u32_b32 v9, -1, v29
	s_waitcnt lgkmcnt(0)
	s_add_i32 s70, s70, s2
	s_add_u32 s0, s56, s0
	s_addc_u32 s1, s57, s1
	v_and_b32_e32 v7, 0xc0, v0
	v_lshlrev_b32_e32 v3, 1, v9
	v_mul_u32_u24_e32 v10, 12, v7
	v_mov_b32_e32 v4, s1
	v_add_co_u32_e32 v3, vcc, s0, v3
	v_addc_co_u32_e32 v4, vcc, 0, v4, vcc
	v_lshlrev_b32_e32 v5, 1, v10
	v_add_co_u32_e32 v3, vcc, v3, v5
	v_addc_co_u32_e32 v4, vcc, 0, v4, vcc
	v_or_b32_e32 v8, v9, v10
	v_cmp_gt_u32_e32 vcc, s70, v8
	v_mov_b32_e32 v13, 0x7fff
	v_mov_b32_e32 v5, 0x7fff
	s_and_saveexec_b64 s[0:1], vcc
	s_cbranch_execz .LBB198_3
; %bb.2:
	global_load_ushort v5, v[3:4], off
.LBB198_3:
	s_or_b64 exec, exec, s[0:1]
	v_add_u32_e32 v6, 64, v8
	v_cmp_gt_u32_e64 s[0:1], s70, v6
	s_and_saveexec_b64 s[2:3], s[0:1]
	s_cbranch_execz .LBB198_5
; %bb.4:
	global_load_ushort v13, v[3:4], off offset:128
.LBB198_5:
	s_or_b64 exec, exec, s[2:3]
	v_add_u32_e32 v6, 0x80, v8
	v_cmp_gt_u32_e64 s[2:3], s70, v6
	v_mov_b32_e32 v22, 0x7fff
	v_mov_b32_e32 v18, 0x7fff
	s_and_saveexec_b64 s[8:9], s[2:3]
	s_cbranch_execz .LBB198_7
; %bb.6:
	global_load_ushort v18, v[3:4], off offset:256
.LBB198_7:
	s_or_b64 exec, exec, s[8:9]
	v_add_u32_e32 v6, 0xc0, v8
	v_cmp_gt_u32_e64 s[50:51], s70, v6
	s_and_saveexec_b64 s[8:9], s[50:51]
	s_cbranch_execz .LBB198_9
; %bb.8:
	global_load_ushort v22, v[3:4], off offset:384
.LBB198_9:
	s_or_b64 exec, exec, s[8:9]
	v_add_u32_e32 v6, 0x100, v8
	v_cmp_gt_u32_e64 s[8:9], s70, v6
	v_mov_b32_e32 v36, 0x7fff
	v_mov_b32_e32 v31, 0x7fff
	s_and_saveexec_b64 s[10:11], s[8:9]
	s_cbranch_execz .LBB198_11
; %bb.10:
	global_load_ushort v31, v[3:4], off offset:512
.LBB198_11:
	;; [unrolled: 18-line block ×5, first 2 shown]
	s_or_b64 exec, exec, s[10:11]
	v_add_u32_e32 v8, 0x2c0, v8
	v_cmp_gt_u32_e64 s[10:11], s70, v8
	s_and_saveexec_b64 s[24:25], s[10:11]
	s_cbranch_execz .LBB198_25
; %bb.24:
	global_load_ushort v6, v[3:4], off offset:1408
.LBB198_25:
	s_or_b64 exec, exec, s[24:25]
	s_load_dword s24, s[4:5], 0x5c
	s_load_dword s33, s[4:5], 0x50
	s_add_u32 s25, s4, 0x50
	s_addc_u32 s26, s5, 0
	v_mov_b32_e32 v3, 0
	s_waitcnt lgkmcnt(0)
	s_lshr_b32 s27, s24, 16
	s_cmp_lt_u32 s6, s33
	s_cselect_b32 s24, 12, 18
	s_add_u32 s24, s25, s24
	s_addc_u32 s25, s26, 0
	global_load_ushort v12, v3, s[24:25]
	v_mov_b32_e32 v15, 0xffff8000
	s_waitcnt vmcnt(1)
	v_cmp_lt_i16_e64 s[24:25], -1, v5
	v_cndmask_b32_e64 v4, -1, v15, s[24:25]
	s_movk_i32 s28, 0x7fff
	v_xor_b32_e32 v8, v4, v5
	v_cmp_ne_u16_e64 s[24:25], s28, v8
	v_cndmask_b32_e64 v4, v15, v8, s[24:25]
	s_lshl_b32 s24, -1, s69
	v_lshrrev_b32_sdwa v4, s68, v4 dst_sel:DWORD dst_unused:UNUSED_PAD src0_sel:DWORD src1_sel:WORD_0
	s_not_b32 s74, s24
	v_and_b32_e32 v14, s74, v4
	v_and_b32_e32 v16, 1, v14
	v_add_co_u32_e64 v17, s[24:25], -1, v16
	v_lshlrev_b32_e32 v4, 30, v14
	v_addc_co_u32_e64 v19, s[24:25], 0, -1, s[24:25]
	v_mad_u32_u24 v5, v2, s27, v1
	v_cmp_ne_u32_e64 s[24:25], 0, v16
	v_cmp_gt_i64_e64 s[26:27], 0, v[3:4]
	v_not_b32_e32 v16, v4
	v_lshlrev_b32_e32 v4, 29, v14
	v_xor_b32_e32 v19, s25, v19
	v_xor_b32_e32 v17, s24, v17
	v_ashrrev_i32_e32 v16, 31, v16
	v_cmp_gt_i64_e64 s[24:25], 0, v[3:4]
	v_not_b32_e32 v20, v4
	v_lshlrev_b32_e32 v4, 28, v14
	v_and_b32_e32 v19, exec_hi, v19
	v_and_b32_e32 v17, exec_lo, v17
	v_xor_b32_e32 v23, s27, v16
	v_xor_b32_e32 v16, s26, v16
	v_ashrrev_i32_e32 v20, 31, v20
	v_cmp_gt_i64_e64 s[26:27], 0, v[3:4]
	v_not_b32_e32 v24, v4
	v_lshlrev_b32_e32 v4, 27, v14
	v_and_b32_e32 v19, v19, v23
	v_and_b32_e32 v16, v17, v16
	v_xor_b32_e32 v17, s25, v20
	v_xor_b32_e32 v20, s24, v20
	v_ashrrev_i32_e32 v23, 31, v24
	v_cmp_gt_i64_e64 s[24:25], 0, v[3:4]
	v_not_b32_e32 v24, v4
	v_lshlrev_b32_e32 v4, 26, v14
	v_and_b32_e32 v17, v19, v17
	v_and_b32_e32 v16, v16, v20
	;; [unrolled: 8-line block ×4, first 2 shown]
	v_xor_b32_e32 v19, s27, v23
	v_xor_b32_e32 v20, s26, v23
	v_ashrrev_i32_e32 v23, 31, v24
	v_cmp_gt_i64_e64 s[26:27], 0, v[3:4]
	v_not_b32_e32 v24, v4
	v_and_b32_e32 v17, v17, v19
	v_and_b32_e32 v16, v16, v20
	v_xor_b32_e32 v19, s25, v23
	v_xor_b32_e32 v20, s24, v23
	v_and_b32_e32 v16, v16, v20
	v_mul_u32_u24_e32 v11, 20, v0
	ds_write2_b32 v11, v3, v3 offset0:4 offset1:5
	ds_write2_b32 v11, v3, v3 offset0:6 offset1:7
	ds_write_b32 v11, v3 offset:32
	s_waitcnt vmcnt(0) lgkmcnt(0)
	s_barrier
	; wave barrier
	v_mad_u64_u32 v[4:5], s[24:25], v5, v12, v[0:1]
	v_ashrrev_i32_e32 v5, 31, v24
	v_and_b32_e32 v12, v17, v19
	v_lshrrev_b32_e32 v4, 6, v4
	v_lshlrev_b32_e32 v24, 2, v4
	v_xor_b32_e32 v4, s27, v5
	v_xor_b32_e32 v17, s26, v5
	v_and_b32_e32 v5, v12, v4
	v_and_b32_e32 v4, v16, v17
	v_mbcnt_lo_u32_b32 v12, v4, 0
	v_mbcnt_hi_u32_b32 v12, v5, v12
	v_cmp_ne_u64_e64 s[24:25], 0, v[4:5]
	v_cmp_eq_u32_e64 s[26:27], 0, v12
	v_mad_u32_u24 v14, v14, 20, v24
	s_and_b64 s[26:27], s[24:25], s[26:27]
	s_and_saveexec_b64 s[24:25], s[26:27]
; %bb.26:
	v_bcnt_u32_b32 v4, v4, 0
	v_bcnt_u32_b32 v4, v5, v4
	ds_write_b32 v14, v4 offset:16
; %bb.27:
	s_or_b64 exec, exec, s[24:25]
	v_cmp_lt_i16_e64 s[24:25], -1, v13
	v_cndmask_b32_e64 v4, -1, v15, s[24:25]
	v_xor_b32_e32 v13, v4, v13
	v_cmp_ne_u16_e64 s[24:25], s28, v13
	v_cndmask_b32_e64 v4, v15, v13, s[24:25]
	v_lshrrev_b32_sdwa v4, s68, v4 dst_sel:DWORD dst_unused:UNUSED_PAD src0_sel:DWORD src1_sel:WORD_0
	v_and_b32_e32 v5, s74, v4
	v_and_b32_e32 v4, 1, v5
	v_add_co_u32_e64 v17, s[24:25], -1, v4
	v_addc_co_u32_e64 v19, s[24:25], 0, -1, s[24:25]
	v_cmp_ne_u32_e64 s[24:25], 0, v4
	v_xor_b32_e32 v4, s25, v19
	v_and_b32_e32 v19, exec_hi, v4
	v_lshlrev_b32_e32 v4, 30, v5
	v_xor_b32_e32 v17, s24, v17
	v_cmp_gt_i64_e64 s[24:25], 0, v[3:4]
	v_not_b32_e32 v4, v4
	v_ashrrev_i32_e32 v4, 31, v4
	v_and_b32_e32 v17, exec_lo, v17
	v_xor_b32_e32 v20, s25, v4
	v_xor_b32_e32 v4, s24, v4
	v_and_b32_e32 v17, v17, v4
	v_lshlrev_b32_e32 v4, 29, v5
	v_cmp_gt_i64_e64 s[24:25], 0, v[3:4]
	v_not_b32_e32 v4, v4
	v_ashrrev_i32_e32 v4, 31, v4
	v_and_b32_e32 v19, v19, v20
	v_xor_b32_e32 v20, s25, v4
	v_xor_b32_e32 v4, s24, v4
	v_and_b32_e32 v17, v17, v4
	v_lshlrev_b32_e32 v4, 28, v5
	v_cmp_gt_i64_e64 s[24:25], 0, v[3:4]
	v_not_b32_e32 v4, v4
	v_ashrrev_i32_e32 v4, 31, v4
	v_and_b32_e32 v19, v19, v20
	;; [unrolled: 8-line block ×5, first 2 shown]
	v_xor_b32_e32 v20, s25, v4
	v_xor_b32_e32 v4, s24, v4
	v_and_b32_e32 v17, v17, v4
	v_lshlrev_b32_e32 v4, 24, v5
	v_cmp_gt_i64_e64 s[24:25], 0, v[3:4]
	v_not_b32_e32 v3, v4
	v_ashrrev_i32_e32 v3, 31, v3
	v_mad_u32_u24 v16, v5, 20, v24
	v_xor_b32_e32 v4, s25, v3
	v_xor_b32_e32 v3, s24, v3
	; wave barrier
	ds_read_b32 v15, v16 offset:16
	v_and_b32_e32 v19, v19, v20
	v_and_b32_e32 v3, v17, v3
	;; [unrolled: 1-line block ×3, first 2 shown]
	v_mbcnt_lo_u32_b32 v5, v3, 0
	v_mbcnt_hi_u32_b32 v17, v4, v5
	v_cmp_ne_u64_e64 s[24:25], 0, v[3:4]
	v_cmp_eq_u32_e64 s[26:27], 0, v17
	s_and_b64 s[26:27], s[24:25], s[26:27]
	; wave barrier
	s_and_saveexec_b64 s[24:25], s[26:27]
	s_cbranch_execz .LBB198_29
; %bb.28:
	v_bcnt_u32_b32 v3, v3, 0
	v_bcnt_u32_b32 v3, v4, v3
	s_waitcnt lgkmcnt(0)
	v_add_u32_e32 v3, v15, v3
	ds_write_b32 v16, v3 offset:16
.LBB198_29:
	s_or_b64 exec, exec, s[24:25]
	v_mov_b32_e32 v25, 0xffff8000
	v_cmp_lt_i16_e64 s[24:25], -1, v18
	v_cndmask_b32_e64 v3, -1, v25, s[24:25]
	v_xor_b32_e32 v18, v3, v18
	v_cmp_ne_u16_e64 s[24:25], s28, v18
	v_cndmask_b32_e64 v3, v25, v18, s[24:25]
	v_lshrrev_b32_sdwa v3, s68, v3 dst_sel:DWORD dst_unused:UNUSED_PAD src0_sel:DWORD src1_sel:WORD_0
	v_and_b32_e32 v5, s74, v3
	v_and_b32_e32 v4, 1, v5
	v_add_co_u32_e64 v23, s[24:25], -1, v4
	v_addc_co_u32_e64 v27, s[24:25], 0, -1, s[24:25]
	v_cmp_ne_u32_e64 s[24:25], 0, v4
	v_xor_b32_e32 v4, s25, v27
	v_mov_b32_e32 v3, 0
	v_and_b32_e32 v27, exec_hi, v4
	v_lshlrev_b32_e32 v4, 30, v5
	v_xor_b32_e32 v23, s24, v23
	v_cmp_gt_i64_e64 s[24:25], 0, v[3:4]
	v_not_b32_e32 v4, v4
	v_ashrrev_i32_e32 v4, 31, v4
	v_and_b32_e32 v23, exec_lo, v23
	v_xor_b32_e32 v28, s25, v4
	v_xor_b32_e32 v4, s24, v4
	v_and_b32_e32 v23, v23, v4
	v_lshlrev_b32_e32 v4, 29, v5
	v_cmp_gt_i64_e64 s[24:25], 0, v[3:4]
	v_not_b32_e32 v4, v4
	v_ashrrev_i32_e32 v4, 31, v4
	v_and_b32_e32 v27, v27, v28
	v_xor_b32_e32 v28, s25, v4
	v_xor_b32_e32 v4, s24, v4
	v_and_b32_e32 v23, v23, v4
	v_lshlrev_b32_e32 v4, 28, v5
	v_cmp_gt_i64_e64 s[24:25], 0, v[3:4]
	v_not_b32_e32 v4, v4
	v_ashrrev_i32_e32 v4, 31, v4
	v_and_b32_e32 v27, v27, v28
	;; [unrolled: 8-line block ×5, first 2 shown]
	v_xor_b32_e32 v28, s25, v4
	v_xor_b32_e32 v4, s24, v4
	v_and_b32_e32 v23, v23, v4
	v_lshlrev_b32_e32 v4, 24, v5
	v_cmp_gt_i64_e64 s[24:25], 0, v[3:4]
	v_not_b32_e32 v4, v4
	v_ashrrev_i32_e32 v4, 31, v4
	v_mad_u32_u24 v20, v5, 20, v24
	v_xor_b32_e32 v5, s25, v4
	v_xor_b32_e32 v4, s24, v4
	; wave barrier
	ds_read_b32 v19, v20 offset:16
	v_and_b32_e32 v27, v27, v28
	v_and_b32_e32 v4, v23, v4
	;; [unrolled: 1-line block ×3, first 2 shown]
	v_mbcnt_lo_u32_b32 v23, v4, 0
	v_mbcnt_hi_u32_b32 v23, v5, v23
	v_cmp_ne_u64_e64 s[24:25], 0, v[4:5]
	v_cmp_eq_u32_e64 s[26:27], 0, v23
	s_and_b64 s[26:27], s[24:25], s[26:27]
	; wave barrier
	s_and_saveexec_b64 s[24:25], s[26:27]
	s_cbranch_execz .LBB198_31
; %bb.30:
	v_bcnt_u32_b32 v4, v4, 0
	v_bcnt_u32_b32 v4, v5, v4
	s_waitcnt lgkmcnt(0)
	v_add_u32_e32 v4, v19, v4
	ds_write_b32 v20, v4 offset:16
.LBB198_31:
	s_or_b64 exec, exec, s[24:25]
	v_cmp_lt_i16_e64 s[24:25], -1, v22
	v_cndmask_b32_e64 v4, -1, v25, s[24:25]
	v_xor_b32_e32 v22, v4, v22
	v_cmp_ne_u16_e64 s[24:25], s28, v22
	v_cndmask_b32_e64 v4, v25, v22, s[24:25]
	v_lshrrev_b32_sdwa v4, s68, v4 dst_sel:DWORD dst_unused:UNUSED_PAD src0_sel:DWORD src1_sel:WORD_0
	v_and_b32_e32 v5, s74, v4
	v_and_b32_e32 v4, 1, v5
	v_add_co_u32_e64 v28, s[24:25], -1, v4
	v_addc_co_u32_e64 v32, s[24:25], 0, -1, s[24:25]
	v_cmp_ne_u32_e64 s[24:25], 0, v4
	v_xor_b32_e32 v4, s25, v32
	v_and_b32_e32 v32, exec_hi, v4
	v_lshlrev_b32_e32 v4, 30, v5
	v_xor_b32_e32 v28, s24, v28
	v_cmp_gt_i64_e64 s[24:25], 0, v[3:4]
	v_not_b32_e32 v4, v4
	v_ashrrev_i32_e32 v4, 31, v4
	v_and_b32_e32 v28, exec_lo, v28
	v_xor_b32_e32 v33, s25, v4
	v_xor_b32_e32 v4, s24, v4
	v_and_b32_e32 v28, v28, v4
	v_lshlrev_b32_e32 v4, 29, v5
	v_cmp_gt_i64_e64 s[24:25], 0, v[3:4]
	v_not_b32_e32 v4, v4
	v_ashrrev_i32_e32 v4, 31, v4
	v_and_b32_e32 v32, v32, v33
	v_xor_b32_e32 v33, s25, v4
	v_xor_b32_e32 v4, s24, v4
	v_and_b32_e32 v28, v28, v4
	v_lshlrev_b32_e32 v4, 28, v5
	v_cmp_gt_i64_e64 s[24:25], 0, v[3:4]
	v_not_b32_e32 v4, v4
	v_ashrrev_i32_e32 v4, 31, v4
	v_and_b32_e32 v32, v32, v33
	;; [unrolled: 8-line block ×5, first 2 shown]
	v_xor_b32_e32 v33, s25, v4
	v_xor_b32_e32 v4, s24, v4
	v_and_b32_e32 v28, v28, v4
	v_lshlrev_b32_e32 v4, 24, v5
	v_cmp_gt_i64_e64 s[24:25], 0, v[3:4]
	v_not_b32_e32 v3, v4
	v_ashrrev_i32_e32 v3, 31, v3
	v_mad_u32_u24 v27, v5, 20, v24
	v_xor_b32_e32 v4, s25, v3
	v_xor_b32_e32 v3, s24, v3
	; wave barrier
	ds_read_b32 v25, v27 offset:16
	v_and_b32_e32 v32, v32, v33
	v_and_b32_e32 v3, v28, v3
	;; [unrolled: 1-line block ×3, first 2 shown]
	v_mbcnt_lo_u32_b32 v5, v3, 0
	v_mbcnt_hi_u32_b32 v28, v4, v5
	v_cmp_ne_u64_e64 s[24:25], 0, v[3:4]
	v_cmp_eq_u32_e64 s[26:27], 0, v28
	s_and_b64 s[26:27], s[24:25], s[26:27]
	; wave barrier
	s_and_saveexec_b64 s[24:25], s[26:27]
	s_cbranch_execz .LBB198_33
; %bb.32:
	v_bcnt_u32_b32 v3, v3, 0
	v_bcnt_u32_b32 v3, v4, v3
	s_waitcnt lgkmcnt(0)
	v_add_u32_e32 v3, v25, v3
	ds_write_b32 v27, v3 offset:16
.LBB198_33:
	s_or_b64 exec, exec, s[24:25]
	v_mov_b32_e32 v37, 0xffff8000
	v_cmp_lt_i16_e64 s[24:25], -1, v31
	v_cndmask_b32_e64 v3, -1, v37, s[24:25]
	v_xor_b32_e32 v31, v3, v31
	v_cmp_ne_u16_e64 s[24:25], s28, v31
	v_cndmask_b32_e64 v3, v37, v31, s[24:25]
	v_lshrrev_b32_sdwa v3, s68, v3 dst_sel:DWORD dst_unused:UNUSED_PAD src0_sel:DWORD src1_sel:WORD_0
	v_and_b32_e32 v5, s74, v3
	v_and_b32_e32 v4, 1, v5
	v_add_co_u32_e64 v34, s[24:25], -1, v4
	v_addc_co_u32_e64 v38, s[24:25], 0, -1, s[24:25]
	v_cmp_ne_u32_e64 s[24:25], 0, v4
	v_xor_b32_e32 v4, s25, v38
	v_mov_b32_e32 v3, 0
	v_and_b32_e32 v38, exec_hi, v4
	v_lshlrev_b32_e32 v4, 30, v5
	v_xor_b32_e32 v34, s24, v34
	v_cmp_gt_i64_e64 s[24:25], 0, v[3:4]
	v_not_b32_e32 v4, v4
	v_ashrrev_i32_e32 v4, 31, v4
	v_and_b32_e32 v34, exec_lo, v34
	v_xor_b32_e32 v40, s25, v4
	v_xor_b32_e32 v4, s24, v4
	v_and_b32_e32 v34, v34, v4
	v_lshlrev_b32_e32 v4, 29, v5
	v_cmp_gt_i64_e64 s[24:25], 0, v[3:4]
	v_not_b32_e32 v4, v4
	v_ashrrev_i32_e32 v4, 31, v4
	v_and_b32_e32 v38, v38, v40
	v_xor_b32_e32 v40, s25, v4
	v_xor_b32_e32 v4, s24, v4
	v_and_b32_e32 v34, v34, v4
	v_lshlrev_b32_e32 v4, 28, v5
	v_cmp_gt_i64_e64 s[24:25], 0, v[3:4]
	v_not_b32_e32 v4, v4
	v_ashrrev_i32_e32 v4, 31, v4
	v_and_b32_e32 v38, v38, v40
	;; [unrolled: 8-line block ×5, first 2 shown]
	v_xor_b32_e32 v40, s25, v4
	v_xor_b32_e32 v4, s24, v4
	v_and_b32_e32 v34, v34, v4
	v_lshlrev_b32_e32 v4, 24, v5
	v_cmp_gt_i64_e64 s[24:25], 0, v[3:4]
	v_not_b32_e32 v4, v4
	v_ashrrev_i32_e32 v4, 31, v4
	v_mad_u32_u24 v33, v5, 20, v24
	v_xor_b32_e32 v5, s25, v4
	v_xor_b32_e32 v4, s24, v4
	; wave barrier
	ds_read_b32 v32, v33 offset:16
	v_and_b32_e32 v38, v38, v40
	v_and_b32_e32 v4, v34, v4
	;; [unrolled: 1-line block ×3, first 2 shown]
	v_mbcnt_lo_u32_b32 v34, v4, 0
	v_mbcnt_hi_u32_b32 v34, v5, v34
	v_cmp_ne_u64_e64 s[24:25], 0, v[4:5]
	v_cmp_eq_u32_e64 s[26:27], 0, v34
	s_and_b64 s[26:27], s[24:25], s[26:27]
	; wave barrier
	s_and_saveexec_b64 s[24:25], s[26:27]
	s_cbranch_execz .LBB198_35
; %bb.34:
	v_bcnt_u32_b32 v4, v4, 0
	v_bcnt_u32_b32 v4, v5, v4
	s_waitcnt lgkmcnt(0)
	v_add_u32_e32 v4, v32, v4
	ds_write_b32 v33, v4 offset:16
.LBB198_35:
	s_or_b64 exec, exec, s[24:25]
	v_cmp_lt_i16_e64 s[24:25], -1, v36
	v_cndmask_b32_e64 v4, -1, v37, s[24:25]
	v_xor_b32_e32 v45, v4, v36
	v_cmp_ne_u16_e64 s[24:25], s28, v45
	v_cndmask_b32_e64 v4, v37, v45, s[24:25]
	v_lshrrev_b32_sdwa v4, s68, v4 dst_sel:DWORD dst_unused:UNUSED_PAD src0_sel:DWORD src1_sel:WORD_0
	v_and_b32_e32 v5, s74, v4
	v_and_b32_e32 v4, 1, v5
	v_add_co_u32_e64 v38, s[24:25], -1, v4
	v_addc_co_u32_e64 v40, s[24:25], 0, -1, s[24:25]
	v_cmp_ne_u32_e64 s[24:25], 0, v4
	v_xor_b32_e32 v4, s25, v40
	v_and_b32_e32 v40, exec_hi, v4
	v_lshlrev_b32_e32 v4, 30, v5
	v_xor_b32_e32 v38, s24, v38
	v_cmp_gt_i64_e64 s[24:25], 0, v[3:4]
	v_not_b32_e32 v4, v4
	v_ashrrev_i32_e32 v4, 31, v4
	v_and_b32_e32 v38, exec_lo, v38
	v_xor_b32_e32 v41, s25, v4
	v_xor_b32_e32 v4, s24, v4
	v_and_b32_e32 v38, v38, v4
	v_lshlrev_b32_e32 v4, 29, v5
	v_cmp_gt_i64_e64 s[24:25], 0, v[3:4]
	v_not_b32_e32 v4, v4
	v_ashrrev_i32_e32 v4, 31, v4
	v_and_b32_e32 v40, v40, v41
	v_xor_b32_e32 v41, s25, v4
	v_xor_b32_e32 v4, s24, v4
	v_and_b32_e32 v38, v38, v4
	v_lshlrev_b32_e32 v4, 28, v5
	v_cmp_gt_i64_e64 s[24:25], 0, v[3:4]
	v_not_b32_e32 v4, v4
	v_ashrrev_i32_e32 v4, 31, v4
	v_and_b32_e32 v40, v40, v41
	v_xor_b32_e32 v41, s25, v4
	v_xor_b32_e32 v4, s24, v4
	v_and_b32_e32 v38, v38, v4
	v_lshlrev_b32_e32 v4, 27, v5
	v_cmp_gt_i64_e64 s[24:25], 0, v[3:4]
	v_not_b32_e32 v4, v4
	v_ashrrev_i32_e32 v4, 31, v4
	v_and_b32_e32 v40, v40, v41
	v_xor_b32_e32 v41, s25, v4
	v_xor_b32_e32 v4, s24, v4
	v_and_b32_e32 v38, v38, v4
	v_lshlrev_b32_e32 v4, 26, v5
	v_cmp_gt_i64_e64 s[24:25], 0, v[3:4]
	v_not_b32_e32 v4, v4
	v_ashrrev_i32_e32 v4, 31, v4
	v_and_b32_e32 v40, v40, v41
	v_xor_b32_e32 v41, s25, v4
	v_xor_b32_e32 v4, s24, v4
	v_and_b32_e32 v38, v38, v4
	v_lshlrev_b32_e32 v4, 25, v5
	v_cmp_gt_i64_e64 s[24:25], 0, v[3:4]
	v_not_b32_e32 v4, v4
	v_ashrrev_i32_e32 v4, 31, v4
	v_and_b32_e32 v40, v40, v41
	v_xor_b32_e32 v41, s25, v4
	v_xor_b32_e32 v4, s24, v4
	v_and_b32_e32 v38, v38, v4
	v_lshlrev_b32_e32 v4, 24, v5
	v_cmp_gt_i64_e64 s[24:25], 0, v[3:4]
	v_not_b32_e32 v3, v4
	v_ashrrev_i32_e32 v3, 31, v3
	v_mad_u32_u24 v37, v5, 20, v24
	v_xor_b32_e32 v4, s25, v3
	v_xor_b32_e32 v3, s24, v3
	; wave barrier
	ds_read_b32 v36, v37 offset:16
	v_and_b32_e32 v40, v40, v41
	v_and_b32_e32 v3, v38, v3
	;; [unrolled: 1-line block ×3, first 2 shown]
	v_mbcnt_lo_u32_b32 v5, v3, 0
	v_mbcnt_hi_u32_b32 v38, v4, v5
	v_cmp_ne_u64_e64 s[24:25], 0, v[3:4]
	v_cmp_eq_u32_e64 s[26:27], 0, v38
	s_and_b64 s[26:27], s[24:25], s[26:27]
	; wave barrier
	s_and_saveexec_b64 s[24:25], s[26:27]
	s_cbranch_execz .LBB198_37
; %bb.36:
	v_bcnt_u32_b32 v3, v3, 0
	v_bcnt_u32_b32 v3, v4, v3
	s_waitcnt lgkmcnt(0)
	v_add_u32_e32 v3, v36, v3
	ds_write_b32 v37, v3 offset:16
.LBB198_37:
	s_or_b64 exec, exec, s[24:25]
	v_mov_b32_e32 v40, 0xffff8000
	v_cmp_lt_i16_e64 s[24:25], -1, v39
	v_cndmask_b32_e64 v3, -1, v40, s[24:25]
	v_xor_b32_e32 v46, v3, v39
	v_cmp_ne_u16_e64 s[24:25], s28, v46
	v_cndmask_b32_e64 v3, v40, v46, s[24:25]
	v_lshrrev_b32_sdwa v3, s68, v3 dst_sel:DWORD dst_unused:UNUSED_PAD src0_sel:DWORD src1_sel:WORD_0
	v_and_b32_e32 v5, s74, v3
	v_and_b32_e32 v4, 1, v5
	v_add_co_u32_e64 v41, s[24:25], -1, v4
	v_addc_co_u32_e64 v42, s[24:25], 0, -1, s[24:25]
	v_cmp_ne_u32_e64 s[24:25], 0, v4
	v_xor_b32_e32 v4, s25, v42
	v_mov_b32_e32 v3, 0
	v_and_b32_e32 v42, exec_hi, v4
	v_lshlrev_b32_e32 v4, 30, v5
	v_xor_b32_e32 v41, s24, v41
	v_cmp_gt_i64_e64 s[24:25], 0, v[3:4]
	v_not_b32_e32 v4, v4
	v_ashrrev_i32_e32 v4, 31, v4
	v_and_b32_e32 v41, exec_lo, v41
	v_xor_b32_e32 v43, s25, v4
	v_xor_b32_e32 v4, s24, v4
	v_and_b32_e32 v41, v41, v4
	v_lshlrev_b32_e32 v4, 29, v5
	v_cmp_gt_i64_e64 s[24:25], 0, v[3:4]
	v_not_b32_e32 v4, v4
	v_ashrrev_i32_e32 v4, 31, v4
	v_and_b32_e32 v42, v42, v43
	v_xor_b32_e32 v43, s25, v4
	v_xor_b32_e32 v4, s24, v4
	v_and_b32_e32 v41, v41, v4
	v_lshlrev_b32_e32 v4, 28, v5
	v_cmp_gt_i64_e64 s[24:25], 0, v[3:4]
	v_not_b32_e32 v4, v4
	v_ashrrev_i32_e32 v4, 31, v4
	v_and_b32_e32 v42, v42, v43
	;; [unrolled: 8-line block ×5, first 2 shown]
	v_xor_b32_e32 v43, s25, v4
	v_xor_b32_e32 v4, s24, v4
	v_and_b32_e32 v41, v41, v4
	v_lshlrev_b32_e32 v4, 24, v5
	v_cmp_gt_i64_e64 s[24:25], 0, v[3:4]
	v_not_b32_e32 v4, v4
	v_ashrrev_i32_e32 v4, 31, v4
	v_mad_u32_u24 v39, v5, 20, v24
	v_xor_b32_e32 v5, s25, v4
	v_xor_b32_e32 v4, s24, v4
	; wave barrier
	ds_read_b32 v47, v39 offset:16
	v_and_b32_e32 v42, v42, v43
	v_and_b32_e32 v4, v41, v4
	;; [unrolled: 1-line block ×3, first 2 shown]
	v_mbcnt_lo_u32_b32 v41, v4, 0
	v_mbcnt_hi_u32_b32 v49, v5, v41
	v_cmp_ne_u64_e64 s[24:25], 0, v[4:5]
	v_cmp_eq_u32_e64 s[26:27], 0, v49
	s_and_b64 s[26:27], s[24:25], s[26:27]
	; wave barrier
	s_and_saveexec_b64 s[24:25], s[26:27]
	s_cbranch_execz .LBB198_39
; %bb.38:
	v_bcnt_u32_b32 v4, v4, 0
	v_bcnt_u32_b32 v4, v5, v4
	s_waitcnt lgkmcnt(0)
	v_add_u32_e32 v4, v47, v4
	ds_write_b32 v39, v4 offset:16
.LBB198_39:
	s_or_b64 exec, exec, s[24:25]
	v_cmp_lt_i16_e64 s[24:25], -1, v35
	v_cndmask_b32_e64 v4, -1, v40, s[24:25]
	v_xor_b32_e32 v48, v4, v35
	v_cmp_ne_u16_e64 s[24:25], s28, v48
	v_cndmask_b32_e64 v4, v40, v48, s[24:25]
	v_lshrrev_b32_sdwa v4, s68, v4 dst_sel:DWORD dst_unused:UNUSED_PAD src0_sel:DWORD src1_sel:WORD_0
	v_and_b32_e32 v5, s74, v4
	v_and_b32_e32 v4, 1, v5
	v_add_co_u32_e64 v41, s[24:25], -1, v4
	v_addc_co_u32_e64 v42, s[24:25], 0, -1, s[24:25]
	v_cmp_ne_u32_e64 s[24:25], 0, v4
	v_xor_b32_e32 v4, s25, v42
	v_and_b32_e32 v42, exec_hi, v4
	v_lshlrev_b32_e32 v4, 30, v5
	v_xor_b32_e32 v41, s24, v41
	v_cmp_gt_i64_e64 s[24:25], 0, v[3:4]
	v_not_b32_e32 v4, v4
	v_ashrrev_i32_e32 v4, 31, v4
	v_and_b32_e32 v41, exec_lo, v41
	v_xor_b32_e32 v43, s25, v4
	v_xor_b32_e32 v4, s24, v4
	v_and_b32_e32 v41, v41, v4
	v_lshlrev_b32_e32 v4, 29, v5
	v_cmp_gt_i64_e64 s[24:25], 0, v[3:4]
	v_not_b32_e32 v4, v4
	v_ashrrev_i32_e32 v4, 31, v4
	v_and_b32_e32 v42, v42, v43
	v_xor_b32_e32 v43, s25, v4
	v_xor_b32_e32 v4, s24, v4
	v_and_b32_e32 v41, v41, v4
	v_lshlrev_b32_e32 v4, 28, v5
	v_cmp_gt_i64_e64 s[24:25], 0, v[3:4]
	v_not_b32_e32 v4, v4
	v_ashrrev_i32_e32 v4, 31, v4
	v_and_b32_e32 v42, v42, v43
	;; [unrolled: 8-line block ×5, first 2 shown]
	v_xor_b32_e32 v43, s25, v4
	v_xor_b32_e32 v4, s24, v4
	v_and_b32_e32 v41, v41, v4
	v_lshlrev_b32_e32 v4, 24, v5
	v_cmp_gt_i64_e64 s[24:25], 0, v[3:4]
	v_not_b32_e32 v3, v4
	v_ashrrev_i32_e32 v3, 31, v3
	v_mad_u32_u24 v40, v5, 20, v24
	v_xor_b32_e32 v4, s25, v3
	v_xor_b32_e32 v3, s24, v3
	; wave barrier
	ds_read_b32 v35, v40 offset:16
	v_and_b32_e32 v42, v42, v43
	v_and_b32_e32 v3, v41, v3
	v_and_b32_e32 v4, v42, v4
	v_mbcnt_lo_u32_b32 v5, v3, 0
	v_mbcnt_hi_u32_b32 v51, v4, v5
	v_cmp_ne_u64_e64 s[24:25], 0, v[3:4]
	v_cmp_eq_u32_e64 s[26:27], 0, v51
	s_and_b64 s[26:27], s[24:25], s[26:27]
	; wave barrier
	s_and_saveexec_b64 s[24:25], s[26:27]
	s_cbranch_execz .LBB198_41
; %bb.40:
	v_bcnt_u32_b32 v3, v3, 0
	v_bcnt_u32_b32 v3, v4, v3
	s_waitcnt lgkmcnt(0)
	v_add_u32_e32 v3, v35, v3
	ds_write_b32 v40, v3 offset:16
.LBB198_41:
	s_or_b64 exec, exec, s[24:25]
	v_mov_b32_e32 v41, 0xffff8000
	v_cmp_lt_i16_e64 s[24:25], -1, v30
	v_cndmask_b32_e64 v3, -1, v41, s[24:25]
	v_xor_b32_e32 v50, v3, v30
	v_cmp_ne_u16_e64 s[24:25], s28, v50
	v_cndmask_b32_e64 v3, v41, v50, s[24:25]
	v_lshrrev_b32_sdwa v3, s68, v3 dst_sel:DWORD dst_unused:UNUSED_PAD src0_sel:DWORD src1_sel:WORD_0
	v_and_b32_e32 v5, s74, v3
	v_and_b32_e32 v4, 1, v5
	v_add_co_u32_e64 v42, s[24:25], -1, v4
	v_addc_co_u32_e64 v43, s[24:25], 0, -1, s[24:25]
	v_cmp_ne_u32_e64 s[24:25], 0, v4
	v_xor_b32_e32 v4, s25, v43
	v_mov_b32_e32 v3, 0
	v_and_b32_e32 v43, exec_hi, v4
	v_lshlrev_b32_e32 v4, 30, v5
	v_xor_b32_e32 v42, s24, v42
	v_cmp_gt_i64_e64 s[24:25], 0, v[3:4]
	v_not_b32_e32 v4, v4
	v_ashrrev_i32_e32 v4, 31, v4
	v_and_b32_e32 v42, exec_lo, v42
	v_xor_b32_e32 v44, s25, v4
	v_xor_b32_e32 v4, s24, v4
	v_and_b32_e32 v42, v42, v4
	v_lshlrev_b32_e32 v4, 29, v5
	v_cmp_gt_i64_e64 s[24:25], 0, v[3:4]
	v_not_b32_e32 v4, v4
	v_ashrrev_i32_e32 v4, 31, v4
	v_and_b32_e32 v43, v43, v44
	v_xor_b32_e32 v44, s25, v4
	v_xor_b32_e32 v4, s24, v4
	v_and_b32_e32 v42, v42, v4
	v_lshlrev_b32_e32 v4, 28, v5
	v_cmp_gt_i64_e64 s[24:25], 0, v[3:4]
	v_not_b32_e32 v4, v4
	v_ashrrev_i32_e32 v4, 31, v4
	v_and_b32_e32 v43, v43, v44
	v_xor_b32_e32 v44, s25, v4
	v_xor_b32_e32 v4, s24, v4
	v_and_b32_e32 v42, v42, v4
	v_lshlrev_b32_e32 v4, 27, v5
	v_cmp_gt_i64_e64 s[24:25], 0, v[3:4]
	v_not_b32_e32 v4, v4
	v_ashrrev_i32_e32 v4, 31, v4
	v_and_b32_e32 v43, v43, v44
	v_xor_b32_e32 v44, s25, v4
	v_xor_b32_e32 v4, s24, v4
	v_and_b32_e32 v42, v42, v4
	v_lshlrev_b32_e32 v4, 26, v5
	v_cmp_gt_i64_e64 s[24:25], 0, v[3:4]
	v_not_b32_e32 v4, v4
	v_ashrrev_i32_e32 v4, 31, v4
	v_and_b32_e32 v43, v43, v44
	v_xor_b32_e32 v44, s25, v4
	v_xor_b32_e32 v4, s24, v4
	v_and_b32_e32 v42, v42, v4
	v_lshlrev_b32_e32 v4, 25, v5
	v_cmp_gt_i64_e64 s[24:25], 0, v[3:4]
	v_not_b32_e32 v4, v4
	v_ashrrev_i32_e32 v4, 31, v4
	v_and_b32_e32 v43, v43, v44
	v_xor_b32_e32 v44, s25, v4
	v_xor_b32_e32 v4, s24, v4
	v_and_b32_e32 v42, v42, v4
	v_lshlrev_b32_e32 v4, 24, v5
	v_cmp_gt_i64_e64 s[24:25], 0, v[3:4]
	v_not_b32_e32 v4, v4
	v_ashrrev_i32_e32 v4, 31, v4
	v_mad_u32_u24 v30, v5, 20, v24
	v_xor_b32_e32 v5, s25, v4
	v_xor_b32_e32 v4, s24, v4
	; wave barrier
	ds_read_b32 v52, v30 offset:16
	v_and_b32_e32 v43, v43, v44
	v_and_b32_e32 v4, v42, v4
	;; [unrolled: 1-line block ×3, first 2 shown]
	v_mbcnt_lo_u32_b32 v42, v4, 0
	v_mbcnt_hi_u32_b32 v53, v5, v42
	v_cmp_ne_u64_e64 s[24:25], 0, v[4:5]
	v_cmp_eq_u32_e64 s[26:27], 0, v53
	s_and_b64 s[26:27], s[24:25], s[26:27]
	; wave barrier
	s_and_saveexec_b64 s[24:25], s[26:27]
	s_cbranch_execz .LBB198_43
; %bb.42:
	v_bcnt_u32_b32 v4, v4, 0
	v_bcnt_u32_b32 v4, v5, v4
	s_waitcnt lgkmcnt(0)
	v_add_u32_e32 v4, v52, v4
	ds_write_b32 v30, v4 offset:16
.LBB198_43:
	s_or_b64 exec, exec, s[24:25]
	v_cmp_lt_i16_e64 s[24:25], -1, v26
	v_cndmask_b32_e64 v4, -1, v41, s[24:25]
	v_xor_b32_e32 v26, v4, v26
	v_cmp_ne_u16_e64 s[24:25], s28, v26
	v_cndmask_b32_e64 v4, v41, v26, s[24:25]
	v_lshrrev_b32_sdwa v4, s68, v4 dst_sel:DWORD dst_unused:UNUSED_PAD src0_sel:DWORD src1_sel:WORD_0
	v_and_b32_e32 v5, s74, v4
	v_and_b32_e32 v4, 1, v5
	v_add_co_u32_e64 v42, s[24:25], -1, v4
	v_addc_co_u32_e64 v43, s[24:25], 0, -1, s[24:25]
	v_cmp_ne_u32_e64 s[24:25], 0, v4
	v_xor_b32_e32 v4, s25, v43
	v_and_b32_e32 v43, exec_hi, v4
	v_lshlrev_b32_e32 v4, 30, v5
	v_xor_b32_e32 v42, s24, v42
	v_cmp_gt_i64_e64 s[24:25], 0, v[3:4]
	v_not_b32_e32 v4, v4
	v_ashrrev_i32_e32 v4, 31, v4
	v_and_b32_e32 v42, exec_lo, v42
	v_xor_b32_e32 v44, s25, v4
	v_xor_b32_e32 v4, s24, v4
	v_and_b32_e32 v42, v42, v4
	v_lshlrev_b32_e32 v4, 29, v5
	v_cmp_gt_i64_e64 s[24:25], 0, v[3:4]
	v_not_b32_e32 v4, v4
	v_ashrrev_i32_e32 v4, 31, v4
	v_and_b32_e32 v43, v43, v44
	v_xor_b32_e32 v44, s25, v4
	v_xor_b32_e32 v4, s24, v4
	v_and_b32_e32 v42, v42, v4
	v_lshlrev_b32_e32 v4, 28, v5
	v_cmp_gt_i64_e64 s[24:25], 0, v[3:4]
	v_not_b32_e32 v4, v4
	v_ashrrev_i32_e32 v4, 31, v4
	v_and_b32_e32 v43, v43, v44
	;; [unrolled: 8-line block ×5, first 2 shown]
	v_xor_b32_e32 v44, s25, v4
	v_xor_b32_e32 v4, s24, v4
	v_and_b32_e32 v42, v42, v4
	v_lshlrev_b32_e32 v4, 24, v5
	v_cmp_gt_i64_e64 s[24:25], 0, v[3:4]
	v_not_b32_e32 v3, v4
	v_ashrrev_i32_e32 v3, 31, v3
	v_mad_u32_u24 v41, v5, 20, v24
	v_xor_b32_e32 v4, s25, v3
	v_xor_b32_e32 v3, s24, v3
	; wave barrier
	ds_read_b32 v54, v41 offset:16
	v_and_b32_e32 v43, v43, v44
	v_and_b32_e32 v3, v42, v3
	;; [unrolled: 1-line block ×3, first 2 shown]
	v_mbcnt_lo_u32_b32 v5, v3, 0
	v_mbcnt_hi_u32_b32 v55, v4, v5
	v_cmp_ne_u64_e64 s[24:25], 0, v[3:4]
	v_cmp_eq_u32_e64 s[26:27], 0, v55
	s_and_b64 s[26:27], s[24:25], s[26:27]
	; wave barrier
	s_and_saveexec_b64 s[24:25], s[26:27]
	s_cbranch_execz .LBB198_45
; %bb.44:
	v_bcnt_u32_b32 v3, v3, 0
	v_bcnt_u32_b32 v3, v4, v3
	s_waitcnt lgkmcnt(0)
	v_add_u32_e32 v3, v54, v3
	ds_write_b32 v41, v3 offset:16
.LBB198_45:
	s_or_b64 exec, exec, s[24:25]
	v_mov_b32_e32 v43, 0xffff8000
	v_cmp_lt_i16_e64 s[24:25], -1, v21
	v_cndmask_b32_e64 v3, -1, v43, s[24:25]
	v_xor_b32_e32 v21, v3, v21
	v_cmp_ne_u16_e64 s[24:25], s28, v21
	v_cndmask_b32_e64 v3, v43, v21, s[24:25]
	v_lshrrev_b32_sdwa v3, s68, v3 dst_sel:DWORD dst_unused:UNUSED_PAD src0_sel:DWORD src1_sel:WORD_0
	v_and_b32_e32 v5, s74, v3
	v_and_b32_e32 v4, 1, v5
	v_add_co_u32_e64 v44, s[24:25], -1, v4
	v_addc_co_u32_e64 v57, s[24:25], 0, -1, s[24:25]
	v_cmp_ne_u32_e64 s[24:25], 0, v4
	v_xor_b32_e32 v4, s25, v57
	v_mov_b32_e32 v3, 0
	v_and_b32_e32 v57, exec_hi, v4
	v_lshlrev_b32_e32 v4, 30, v5
	v_xor_b32_e32 v44, s24, v44
	v_cmp_gt_i64_e64 s[24:25], 0, v[3:4]
	v_not_b32_e32 v4, v4
	v_ashrrev_i32_e32 v4, 31, v4
	v_and_b32_e32 v44, exec_lo, v44
	v_xor_b32_e32 v58, s25, v4
	v_xor_b32_e32 v4, s24, v4
	v_and_b32_e32 v44, v44, v4
	v_lshlrev_b32_e32 v4, 29, v5
	v_cmp_gt_i64_e64 s[24:25], 0, v[3:4]
	v_not_b32_e32 v4, v4
	v_ashrrev_i32_e32 v4, 31, v4
	v_and_b32_e32 v57, v57, v58
	v_xor_b32_e32 v58, s25, v4
	v_xor_b32_e32 v4, s24, v4
	v_and_b32_e32 v44, v44, v4
	v_lshlrev_b32_e32 v4, 28, v5
	v_cmp_gt_i64_e64 s[24:25], 0, v[3:4]
	v_not_b32_e32 v4, v4
	v_ashrrev_i32_e32 v4, 31, v4
	v_and_b32_e32 v57, v57, v58
	;; [unrolled: 8-line block ×5, first 2 shown]
	v_xor_b32_e32 v58, s25, v4
	v_xor_b32_e32 v4, s24, v4
	v_and_b32_e32 v44, v44, v4
	v_lshlrev_b32_e32 v4, 24, v5
	v_cmp_gt_i64_e64 s[24:25], 0, v[3:4]
	v_not_b32_e32 v4, v4
	v_ashrrev_i32_e32 v4, 31, v4
	v_mad_u32_u24 v42, v5, 20, v24
	v_xor_b32_e32 v5, s25, v4
	v_xor_b32_e32 v4, s24, v4
	; wave barrier
	ds_read_b32 v56, v42 offset:16
	v_and_b32_e32 v57, v57, v58
	v_and_b32_e32 v4, v44, v4
	v_and_b32_e32 v5, v57, v5
	v_mbcnt_lo_u32_b32 v44, v4, 0
	v_mbcnt_hi_u32_b32 v58, v5, v44
	v_cmp_ne_u64_e64 s[24:25], 0, v[4:5]
	v_cmp_eq_u32_e64 s[26:27], 0, v58
	s_and_b64 s[26:27], s[24:25], s[26:27]
	; wave barrier
	s_and_saveexec_b64 s[24:25], s[26:27]
	s_cbranch_execz .LBB198_47
; %bb.46:
	v_bcnt_u32_b32 v4, v4, 0
	v_bcnt_u32_b32 v4, v5, v4
	s_waitcnt lgkmcnt(0)
	v_add_u32_e32 v4, v56, v4
	ds_write_b32 v42, v4 offset:16
.LBB198_47:
	s_or_b64 exec, exec, s[24:25]
	v_cmp_lt_i16_e64 s[24:25], -1, v6
	v_cndmask_b32_e64 v4, -1, v43, s[24:25]
	v_xor_b32_e32 v57, v4, v6
	v_cmp_ne_u16_e64 s[24:25], s28, v57
	v_cndmask_b32_e64 v4, v43, v57, s[24:25]
	v_lshrrev_b32_sdwa v4, s68, v4 dst_sel:DWORD dst_unused:UNUSED_PAD src0_sel:DWORD src1_sel:WORD_0
	v_and_b32_e32 v5, s74, v4
	v_and_b32_e32 v4, 1, v5
	v_add_co_u32_e64 v6, s[24:25], -1, v4
	v_addc_co_u32_e64 v44, s[24:25], 0, -1, s[24:25]
	v_cmp_ne_u32_e64 s[24:25], 0, v4
	v_xor_b32_e32 v4, s25, v44
	v_and_b32_e32 v44, exec_hi, v4
	v_lshlrev_b32_e32 v4, 30, v5
	v_xor_b32_e32 v6, s24, v6
	v_cmp_gt_i64_e64 s[24:25], 0, v[3:4]
	v_not_b32_e32 v4, v4
	v_ashrrev_i32_e32 v4, 31, v4
	v_and_b32_e32 v6, exec_lo, v6
	v_xor_b32_e32 v59, s25, v4
	v_xor_b32_e32 v4, s24, v4
	v_and_b32_e32 v6, v6, v4
	v_lshlrev_b32_e32 v4, 29, v5
	v_cmp_gt_i64_e64 s[24:25], 0, v[3:4]
	v_not_b32_e32 v4, v4
	v_ashrrev_i32_e32 v4, 31, v4
	v_and_b32_e32 v44, v44, v59
	v_xor_b32_e32 v59, s25, v4
	v_xor_b32_e32 v4, s24, v4
	v_and_b32_e32 v6, v6, v4
	v_lshlrev_b32_e32 v4, 28, v5
	v_cmp_gt_i64_e64 s[24:25], 0, v[3:4]
	v_not_b32_e32 v4, v4
	v_ashrrev_i32_e32 v4, 31, v4
	v_and_b32_e32 v44, v44, v59
	;; [unrolled: 8-line block ×5, first 2 shown]
	v_xor_b32_e32 v59, s25, v4
	v_xor_b32_e32 v4, s24, v4
	v_and_b32_e32 v6, v6, v4
	v_lshlrev_b32_e32 v4, 24, v5
	v_cmp_gt_i64_e64 s[24:25], 0, v[3:4]
	v_not_b32_e32 v3, v4
	v_ashrrev_i32_e32 v3, 31, v3
	v_mad_u32_u24 v43, v5, 20, v24
	v_xor_b32_e32 v4, s25, v3
	v_xor_b32_e32 v3, s24, v3
	; wave barrier
	ds_read_b32 v24, v43 offset:16
	v_and_b32_e32 v44, v44, v59
	v_and_b32_e32 v3, v6, v3
	;; [unrolled: 1-line block ×3, first 2 shown]
	v_mbcnt_lo_u32_b32 v5, v3, 0
	v_mbcnt_hi_u32_b32 v59, v4, v5
	v_cmp_ne_u64_e64 s[24:25], 0, v[3:4]
	v_cmp_eq_u32_e64 s[26:27], 0, v59
	s_and_b64 s[26:27], s[24:25], s[26:27]
	; wave barrier
	s_and_saveexec_b64 s[24:25], s[26:27]
	s_cbranch_execz .LBB198_49
; %bb.48:
	v_bcnt_u32_b32 v3, v3, 0
	v_bcnt_u32_b32 v3, v4, v3
	s_waitcnt lgkmcnt(0)
	v_add_u32_e32 v3, v24, v3
	ds_write_b32 v43, v3 offset:16
.LBB198_49:
	s_or_b64 exec, exec, s[24:25]
	; wave barrier
	s_waitcnt lgkmcnt(0)
	s_barrier
	ds_read2_b32 v[5:6], v11 offset0:4 offset1:5
	ds_read2_b32 v[3:4], v11 offset0:6 offset1:7
	ds_read_b32 v44, v11 offset:32
	v_min_u32_e32 v7, 0xc0, v7
	v_or_b32_e32 v7, 63, v7
	s_waitcnt lgkmcnt(1)
	v_add3_u32 v60, v6, v5, v3
	s_waitcnt lgkmcnt(0)
	v_add3_u32 v44, v60, v4, v44
	v_and_b32_e32 v60, 15, v9
	v_cmp_ne_u32_e64 s[24:25], 0, v60
	v_mov_b32_dpp v61, v44 row_shr:1 row_mask:0xf bank_mask:0xf
	v_cndmask_b32_e64 v61, 0, v61, s[24:25]
	v_add_u32_e32 v44, v61, v44
	v_cmp_lt_u32_e64 s[24:25], 1, v60
	s_nop 0
	v_mov_b32_dpp v61, v44 row_shr:2 row_mask:0xf bank_mask:0xf
	v_cndmask_b32_e64 v61, 0, v61, s[24:25]
	v_add_u32_e32 v44, v44, v61
	v_cmp_lt_u32_e64 s[24:25], 3, v60
	s_nop 0
	;; [unrolled: 5-line block ×3, first 2 shown]
	v_mov_b32_dpp v61, v44 row_shr:8 row_mask:0xf bank_mask:0xf
	v_cndmask_b32_e64 v60, 0, v61, s[24:25]
	v_add_u32_e32 v44, v44, v60
	v_bfe_i32 v61, v9, 4, 1
	v_cmp_lt_u32_e64 s[24:25], 31, v9
	v_mov_b32_dpp v60, v44 row_bcast:15 row_mask:0xf bank_mask:0xf
	v_and_b32_e32 v60, v61, v60
	v_add_u32_e32 v44, v44, v60
	s_nop 1
	v_mov_b32_dpp v60, v44 row_bcast:31 row_mask:0xf bank_mask:0xf
	v_cndmask_b32_e64 v60, 0, v60, s[24:25]
	v_add_u32_e32 v44, v44, v60
	v_lshrrev_b32_e32 v60, 6, v0
	v_cmp_eq_u32_e64 s[24:25], v0, v7
	s_and_saveexec_b64 s[26:27], s[24:25]
; %bb.50:
	v_lshlrev_b32_e32 v7, 2, v60
	ds_write_b32 v7, v44
; %bb.51:
	s_or_b64 exec, exec, s[26:27]
	v_cmp_gt_u32_e64 s[24:25], 4, v0
	s_waitcnt lgkmcnt(0)
	s_barrier
	s_and_saveexec_b64 s[26:27], s[24:25]
	s_cbranch_execz .LBB198_53
; %bb.52:
	v_lshlrev_b32_e32 v7, 2, v0
	ds_read_b32 v61, v7
	v_and_b32_e32 v62, 3, v9
	v_cmp_ne_u32_e64 s[24:25], 0, v62
	s_waitcnt lgkmcnt(0)
	v_mov_b32_dpp v63, v61 row_shr:1 row_mask:0xf bank_mask:0xf
	v_cndmask_b32_e64 v63, 0, v63, s[24:25]
	v_add_u32_e32 v61, v63, v61
	v_cmp_lt_u32_e64 s[24:25], 1, v62
	s_nop 0
	v_mov_b32_dpp v63, v61 row_shr:2 row_mask:0xf bank_mask:0xf
	v_cndmask_b32_e64 v62, 0, v63, s[24:25]
	v_add_u32_e32 v61, v61, v62
	ds_write_b32 v7, v61
.LBB198_53:
	s_or_b64 exec, exec, s[26:27]
	v_cmp_lt_u32_e64 s[24:25], 63, v0
	v_mov_b32_e32 v7, 0
	s_waitcnt lgkmcnt(0)
	s_barrier
	s_and_saveexec_b64 s[26:27], s[24:25]
; %bb.54:
	v_lshl_add_u32 v7, v60, 2, -4
	ds_read_b32 v7, v7
; %bb.55:
	s_or_b64 exec, exec, s[26:27]
	v_add_u32_e32 v60, -1, v9
	v_and_b32_e32 v61, 64, v9
	v_cmp_lt_i32_e64 s[24:25], v60, v61
	v_cndmask_b32_e64 v60, v60, v9, s[24:25]
	s_waitcnt lgkmcnt(0)
	v_add_u32_e32 v44, v7, v44
	v_lshlrev_b32_e32 v60, 2, v60
	ds_bpermute_b32 v44, v60, v44
	v_cmp_eq_u32_e64 s[24:25], 0, v9
	s_waitcnt lgkmcnt(0)
	v_cndmask_b32_e64 v7, v44, v7, s[24:25]
	v_cmp_ne_u32_e64 s[24:25], 0, v0
	v_cndmask_b32_e64 v7, 0, v7, s[24:25]
	v_add_u32_e32 v5, v7, v5
	v_add_u32_e32 v6, v5, v6
	;; [unrolled: 1-line block ×4, first 2 shown]
	ds_write2_b32 v11, v7, v5 offset0:4 offset1:5
	ds_write2_b32 v11, v6, v3 offset0:6 offset1:7
	ds_write_b32 v11, v4 offset:32
	s_waitcnt lgkmcnt(0)
	s_barrier
	ds_read_b32 v4, v40 offset:16
	ds_read_b32 v5, v30 offset:16
	ds_read_b32 v6, v41 offset:16
	ds_read_b32 v7, v42 offset:16
	ds_read_b32 v60, v43 offset:16
	ds_read_b32 v14, v14 offset:16
	ds_read_b32 v16, v16 offset:16
	ds_read_b32 v20, v20 offset:16
	ds_read_b32 v27, v27 offset:16
	ds_read_b32 v33, v33 offset:16
	ds_read_b32 v37, v37 offset:16
	ds_read_b32 v61, v39 offset:16
	ds_read_b32 v30, v11 offset:16
	v_add_u32_e32 v11, 1, v0
	s_movk_i32 s24, 0x100
	v_cmp_ne_u32_e64 s[24:25], s24, v11
	v_mov_b32_e32 v3, 0xc00
	s_and_saveexec_b64 s[26:27], s[24:25]
; %bb.56:
	v_mul_u32_u24_e32 v3, 20, v11
	ds_read_b32 v3, v3 offset:16
; %bb.57:
	s_or_b64 exec, exec, s[26:27]
	s_waitcnt lgkmcnt(7)
	v_add_u32_e32 v44, v14, v12
	s_waitcnt lgkmcnt(6)
	v_add3_u32 v43, v17, v15, v16
	s_waitcnt lgkmcnt(2)
	v_add3_u32 v39, v38, v36, v37
	v_add3_u32 v37, v51, v35, v4
	v_lshlrev_b32_e32 v4, 1, v44
	v_add3_u32 v42, v23, v19, v20
	s_waitcnt lgkmcnt(0)
	s_barrier
	ds_write_b16 v4, v8 offset:2048
	v_lshlrev_b32_e32 v4, 1, v43
	v_add3_u32 v41, v28, v25, v27
	ds_write_b16 v4, v13 offset:2048
	v_lshlrev_b32_e32 v4, 1, v42
	v_add3_u32 v40, v34, v32, v33
	ds_write_b16 v4, v18 offset:2048
	v_lshlrev_b32_e32 v4, 1, v41
	ds_write_b16 v4, v22 offset:2048
	v_lshlrev_b32_e32 v4, 1, v40
	v_add3_u32 v38, v49, v47, v61
	ds_write_b16 v4, v31 offset:2048
	v_lshlrev_b32_e32 v4, 1, v39
	;; [unrolled: 5-line block ×3, first 2 shown]
	v_add3_u32 v35, v55, v54, v6
	ds_write_b16 v4, v48 offset:2048
	v_lshlrev_b32_e32 v4, 1, v36
	v_add3_u32 v34, v58, v56, v7
	ds_write_b16 v4, v50 offset:2048
	v_lshlrev_b32_e32 v4, 1, v35
	;; [unrolled: 3-line block ×3, first 2 shown]
	ds_write_b16 v4, v21 offset:2048
	v_lshlrev_b32_e32 v4, 1, v33
	ds_write_b16 v4, v57 offset:2048
	v_sub_u32_e32 v31, v3, v30
	v_lshl_or_b32 v3, s6, 8, v0
	v_mov_b32_e32 v4, 0
	v_lshlrev_b64 v[5:6], 2, v[3:4]
	v_mov_b32_e32 v11, s73
	v_add_co_u32_e64 v5, s[24:25], s72, v5
	v_addc_co_u32_e64 v6, s[24:25], v11, v6, s[24:25]
	v_or_b32_e32 v3, 2.0, v31
	s_mov_b64 s[26:27], 0
	s_brev_b32 s34, -4
	s_mov_b32 s35, s7
	v_mov_b32_e32 v12, 0
	s_waitcnt lgkmcnt(0)
	s_barrier
	global_store_dword v[5:6], v3, off
                                        ; implicit-def: $sgpr24_sgpr25
	s_branch .LBB198_60
.LBB198_58:                             ;   in Loop: Header=BB198_60 Depth=1
	s_or_b64 exec, exec, s[30:31]
.LBB198_59:                             ;   in Loop: Header=BB198_60 Depth=1
	s_or_b64 exec, exec, s[28:29]
	v_and_b32_e32 v7, 0x3fffffff, v3
	v_add_u32_e32 v12, v7, v12
	v_cmp_gt_i32_e64 s[24:25], -2.0, v3
	s_and_b64 s[28:29], exec, s[24:25]
	s_or_b64 s[26:27], s[28:29], s[26:27]
	s_andn2_b64 exec, exec, s[26:27]
	s_cbranch_execz .LBB198_65
.LBB198_60:                             ; =>This Loop Header: Depth=1
                                        ;     Child Loop BB198_63 Depth 2
	s_or_b64 s[24:25], s[24:25], exec
	s_cmp_eq_u32 s35, 0
	s_cbranch_scc1 .LBB198_64
; %bb.61:                               ;   in Loop: Header=BB198_60 Depth=1
	s_add_i32 s35, s35, -1
	v_lshl_or_b32 v3, s35, 8, v0
	v_lshlrev_b64 v[7:8], 2, v[3:4]
	v_add_co_u32_e64 v7, s[24:25], s72, v7
	v_addc_co_u32_e64 v8, s[24:25], v11, v8, s[24:25]
	global_load_dword v3, v[7:8], off glc
	s_waitcnt vmcnt(0)
	v_cmp_gt_u32_e64 s[24:25], 2.0, v3
	s_and_saveexec_b64 s[28:29], s[24:25]
	s_cbranch_execz .LBB198_59
; %bb.62:                               ;   in Loop: Header=BB198_60 Depth=1
	s_mov_b64 s[30:31], 0
.LBB198_63:                             ;   Parent Loop BB198_60 Depth=1
                                        ; =>  This Inner Loop Header: Depth=2
	global_load_dword v3, v[7:8], off glc
	s_waitcnt vmcnt(0)
	v_cmp_lt_u32_e64 s[24:25], s34, v3
	s_or_b64 s[30:31], s[24:25], s[30:31]
	s_andn2_b64 exec, exec, s[30:31]
	s_cbranch_execnz .LBB198_63
	s_branch .LBB198_58
.LBB198_64:                             ;   in Loop: Header=BB198_60 Depth=1
                                        ; implicit-def: $sgpr35
	s_and_b64 s[28:29], exec, s[24:25]
	s_or_b64 s[26:27], s[28:29], s[26:27]
	s_andn2_b64 exec, exec, s[26:27]
	s_cbranch_execnz .LBB198_60
.LBB198_65:
	s_or_b64 exec, exec, s[26:27]
	v_add_u32_e32 v3, v12, v31
	v_or_b32_e32 v3, 0x80000000, v3
	v_lshlrev_b32_e32 v32, 3, v0
	global_store_dword v[5:6], v3, off
	global_load_dwordx2 v[3:4], v32, s[64:65]
	v_sub_co_u32_e64 v5, s[24:25], v12, v30
	v_subb_co_u32_e64 v6, s[24:25], 0, 0, s[24:25]
	s_waitcnt vmcnt(0)
	v_add_co_u32_e64 v3, s[24:25], v5, v3
	v_addc_co_u32_e64 v4, s[24:25], v6, v4, s[24:25]
	v_cmp_gt_u32_e64 s[24:25], s70, v0
	ds_write_b64 v32, v[3:4]
	s_waitcnt lgkmcnt(0)
	s_barrier
	s_and_saveexec_b64 s[28:29], s[24:25]
	s_cbranch_execz .LBB198_67
; %bb.66:
	v_mad_i32_i24 v3, v0, -6, v32
	ds_read_u16 v5, v3 offset:2048
	s_movk_i32 s26, 0x7fff
	v_mov_b32_e32 v6, 0xffff8000
	v_mov_b32_e32 v7, s59
	s_waitcnt lgkmcnt(0)
	v_cmp_ne_u16_e64 s[26:27], s26, v5
	v_cndmask_b32_e64 v3, v6, v5, s[26:27]
	v_lshrrev_b32_sdwa v3, s68, v3 dst_sel:DWORD dst_unused:UNUSED_PAD src0_sel:DWORD src1_sel:WORD_0
	v_and_b32_e32 v3, s74, v3
	v_lshlrev_b32_e32 v3, 3, v3
	ds_read_b64 v[3:4], v3
	v_cmp_lt_i16_e64 s[26:27], -1, v5
	v_cndmask_b32_e64 v6, v6, -1, s[26:27]
	v_xor_b32_e32 v5, v6, v5
	v_lshlrev_b32_e32 v6, 1, v0
	s_waitcnt lgkmcnt(0)
	v_lshlrev_b64 v[3:4], 1, v[3:4]
	v_add_co_u32_e64 v3, s[26:27], s58, v3
	v_addc_co_u32_e64 v4, s[26:27], v7, v4, s[26:27]
	v_add_co_u32_e64 v3, s[26:27], v3, v6
	v_addc_co_u32_e64 v4, s[26:27], 0, v4, s[26:27]
	global_store_short v[3:4], v5, off
.LBB198_67:
	s_or_b64 exec, exec, s[28:29]
	v_or_b32_e32 v3, 0x100, v0
	v_cmp_gt_u32_e64 s[26:27], s70, v3
	s_and_saveexec_b64 s[30:31], s[26:27]
	s_cbranch_execz .LBB198_69
; %bb.68:
	v_mad_i32_i24 v3, v0, -6, v32
	ds_read_u16 v5, v3 offset:2560
	s_movk_i32 s28, 0x7fff
	v_mov_b32_e32 v6, 0xffff8000
	v_mov_b32_e32 v7, s59
	s_waitcnt lgkmcnt(0)
	v_cmp_ne_u16_e64 s[28:29], s28, v5
	v_cndmask_b32_e64 v3, v6, v5, s[28:29]
	v_lshrrev_b32_sdwa v3, s68, v3 dst_sel:DWORD dst_unused:UNUSED_PAD src0_sel:DWORD src1_sel:WORD_0
	v_and_b32_e32 v3, s74, v3
	v_lshlrev_b32_e32 v3, 3, v3
	ds_read_b64 v[3:4], v3
	v_cmp_lt_i16_e64 s[28:29], -1, v5
	v_cndmask_b32_e64 v6, v6, -1, s[28:29]
	v_xor_b32_e32 v5, v6, v5
	v_lshlrev_b32_e32 v6, 1, v0
	s_waitcnt lgkmcnt(0)
	v_lshlrev_b64 v[3:4], 1, v[3:4]
	v_add_co_u32_e64 v3, s[28:29], s58, v3
	v_addc_co_u32_e64 v4, s[28:29], v7, v4, s[28:29]
	v_add_co_u32_e64 v3, s[28:29], v3, v6
	v_addc_co_u32_e64 v4, s[28:29], 0, v4, s[28:29]
	global_store_short v[3:4], v5, off offset:512
.LBB198_69:
	s_or_b64 exec, exec, s[30:31]
	v_or_b32_e32 v45, 0x200, v0
	v_cmp_gt_u32_e64 s[28:29], s70, v45
	s_and_saveexec_b64 s[34:35], s[28:29]
	s_cbranch_execz .LBB198_71
; %bb.70:
	v_mad_i32_i24 v3, v0, -6, v32
	ds_read_u16 v5, v3 offset:3072
	s_movk_i32 s30, 0x7fff
	v_mov_b32_e32 v6, 0xffff8000
	v_mov_b32_e32 v7, s59
	s_waitcnt lgkmcnt(0)
	v_cmp_ne_u16_e64 s[30:31], s30, v5
	v_cndmask_b32_e64 v3, v6, v5, s[30:31]
	v_lshrrev_b32_sdwa v3, s68, v3 dst_sel:DWORD dst_unused:UNUSED_PAD src0_sel:DWORD src1_sel:WORD_0
	v_and_b32_e32 v3, s74, v3
	v_lshlrev_b32_e32 v3, 3, v3
	ds_read_b64 v[3:4], v3
	v_cmp_lt_i16_e64 s[30:31], -1, v5
	v_cndmask_b32_e64 v6, v6, -1, s[30:31]
	v_xor_b32_e32 v5, v6, v5
	v_lshlrev_b32_e32 v6, 1, v0
	s_waitcnt lgkmcnt(0)
	v_lshlrev_b64 v[3:4], 1, v[3:4]
	v_add_co_u32_e64 v3, s[30:31], s58, v3
	v_addc_co_u32_e64 v4, s[30:31], v7, v4, s[30:31]
	v_add_co_u32_e64 v3, s[30:31], v3, v6
	v_addc_co_u32_e64 v4, s[30:31], 0, v4, s[30:31]
	global_store_short v[3:4], v5, off offset:1024
.LBB198_71:
	;; [unrolled: 30-line block ×6, first 2 shown]
	s_or_b64 exec, exec, s[42:43]
	v_or_b32_e32 v50, 0x700, v0
	v_cmp_gt_u32_e64 s[40:41], s70, v50
	s_and_saveexec_b64 s[44:45], s[40:41]
	s_cbranch_execz .LBB198_81
; %bb.80:
	v_lshlrev_b32_e32 v5, 1, v0
	ds_read_u16 v6, v5 offset:5632
	s_movk_i32 s42, 0x7fff
	v_mov_b32_e32 v7, 0xffff8000
	v_mov_b32_e32 v8, s59
	s_waitcnt lgkmcnt(0)
	v_cmp_ne_u16_e64 s[42:43], s42, v6
	v_cndmask_b32_e64 v3, v7, v6, s[42:43]
	v_lshrrev_b32_sdwa v3, s68, v3 dst_sel:DWORD dst_unused:UNUSED_PAD src0_sel:DWORD src1_sel:WORD_0
	v_and_b32_e32 v3, s74, v3
	v_lshlrev_b32_e32 v3, 3, v3
	ds_read_b64 v[3:4], v3
	v_cmp_lt_i16_e64 s[42:43], -1, v6
	v_cndmask_b32_e64 v7, v7, -1, s[42:43]
	v_xor_b32_e32 v6, v7, v6
	s_waitcnt lgkmcnt(0)
	v_lshlrev_b64 v[3:4], 1, v[3:4]
	v_add_co_u32_e64 v3, s[42:43], s58, v3
	v_addc_co_u32_e64 v4, s[42:43], v8, v4, s[42:43]
	v_add_co_u32_e64 v3, s[42:43], v3, v5
	v_addc_co_u32_e64 v4, s[42:43], 0, v4, s[42:43]
	global_store_short v[3:4], v6, off offset:3584
.LBB198_81:
	s_or_b64 exec, exec, s[44:45]
	v_or_b32_e32 v51, 0x800, v0
	v_cmp_gt_u32_e64 s[42:43], s70, v51
	s_and_saveexec_b64 s[46:47], s[42:43]
	s_cbranch_execz .LBB198_83
; %bb.82:
	v_lshlrev_b32_e32 v3, 1, v0
	ds_read_u16 v5, v3 offset:6144
	s_movk_i32 s44, 0x7fff
	v_mov_b32_e32 v6, 0xffff8000
	v_mov_b32_e32 v7, s59
	s_waitcnt lgkmcnt(0)
	v_cmp_ne_u16_e64 s[44:45], s44, v5
	v_cndmask_b32_e64 v3, v6, v5, s[44:45]
	v_lshrrev_b32_sdwa v3, s68, v3 dst_sel:DWORD dst_unused:UNUSED_PAD src0_sel:DWORD src1_sel:WORD_0
	v_and_b32_e32 v3, s74, v3
	v_lshlrev_b32_e32 v3, 3, v3
	ds_read_b64 v[3:4], v3
	v_cmp_lt_i16_e64 s[44:45], -1, v5
	v_cndmask_b32_e64 v6, v6, -1, s[44:45]
	v_xor_b32_e32 v5, v6, v5
	v_lshlrev_b32_e32 v6, 1, v51
	s_waitcnt lgkmcnt(0)
	v_lshlrev_b64 v[3:4], 1, v[3:4]
	v_add_co_u32_e64 v3, s[44:45], s58, v3
	v_addc_co_u32_e64 v4, s[44:45], v7, v4, s[44:45]
	v_add_co_u32_e64 v3, s[44:45], v3, v6
	v_addc_co_u32_e64 v4, s[44:45], 0, v4, s[44:45]
	global_store_short v[3:4], v5, off
.LBB198_83:
	s_or_b64 exec, exec, s[46:47]
	v_or_b32_e32 v52, 0x900, v0
	v_cmp_gt_u32_e64 s[44:45], s70, v52
	s_and_saveexec_b64 s[48:49], s[44:45]
	s_cbranch_execz .LBB198_85
; %bb.84:
	v_lshlrev_b32_e32 v3, 1, v0
	ds_read_u16 v5, v3 offset:6656
	s_movk_i32 s46, 0x7fff
	v_mov_b32_e32 v6, 0xffff8000
	v_mov_b32_e32 v7, s59
	s_waitcnt lgkmcnt(0)
	v_cmp_ne_u16_e64 s[46:47], s46, v5
	v_cndmask_b32_e64 v3, v6, v5, s[46:47]
	v_lshrrev_b32_sdwa v3, s68, v3 dst_sel:DWORD dst_unused:UNUSED_PAD src0_sel:DWORD src1_sel:WORD_0
	v_and_b32_e32 v3, s74, v3
	v_lshlrev_b32_e32 v3, 3, v3
	ds_read_b64 v[3:4], v3
	v_cmp_lt_i16_e64 s[46:47], -1, v5
	v_cndmask_b32_e64 v6, v6, -1, s[46:47]
	v_xor_b32_e32 v5, v6, v5
	v_lshlrev_b32_e32 v6, 1, v52
	s_waitcnt lgkmcnt(0)
	v_lshlrev_b64 v[3:4], 1, v[3:4]
	v_add_co_u32_e64 v3, s[46:47], s58, v3
	v_addc_co_u32_e64 v4, s[46:47], v7, v4, s[46:47]
	v_add_co_u32_e64 v3, s[46:47], v3, v6
	v_addc_co_u32_e64 v4, s[46:47], 0, v4, s[46:47]
	global_store_short v[3:4], v5, off
.LBB198_85:
	;; [unrolled: 30-line block ×4, first 2 shown]
	s_or_b64 exec, exec, s[70:71]
	s_lshl_b64 s[52:53], s[54:55], 3
	s_add_u32 s52, s60, s52
	s_addc_u32 s53, s61, s53
	v_lshlrev_b32_e32 v3, 3, v9
	v_mov_b32_e32 v4, s53
	v_add_co_u32_e64 v3, s[52:53], s52, v3
	v_addc_co_u32_e64 v4, s[52:53], 0, v4, s[52:53]
	v_lshlrev_b32_e32 v5, 3, v10
	v_add_co_u32_e64 v27, s[52:53], v3, v5
	v_addc_co_u32_e64 v28, s[52:53], 0, v4, s[52:53]
                                        ; implicit-def: $vgpr3_vgpr4
	s_and_saveexec_b64 s[52:53], vcc
	s_xor_b64 s[52:53], exec, s[52:53]
	s_cbranch_execz .LBB198_101
; %bb.90:
	global_load_dwordx2 v[3:4], v[27:28], off
	s_or_b64 exec, exec, s[52:53]
                                        ; implicit-def: $vgpr5_vgpr6
	s_and_saveexec_b64 s[52:53], s[0:1]
	s_cbranch_execnz .LBB198_102
.LBB198_91:
	s_or_b64 exec, exec, s[52:53]
                                        ; implicit-def: $vgpr7_vgpr8
	s_and_saveexec_b64 s[0:1], s[2:3]
	s_cbranch_execz .LBB198_103
.LBB198_92:
	global_load_dwordx2 v[7:8], v[27:28], off offset:1024
	s_or_b64 exec, exec, s[0:1]
                                        ; implicit-def: $vgpr9_vgpr10
	s_and_saveexec_b64 s[0:1], s[50:51]
	s_cbranch_execnz .LBB198_104
.LBB198_93:
	s_or_b64 exec, exec, s[0:1]
                                        ; implicit-def: $vgpr11_vgpr12
	s_and_saveexec_b64 s[0:1], s[8:9]
	s_cbranch_execz .LBB198_105
.LBB198_94:
	global_load_dwordx2 v[11:12], v[27:28], off offset:2048
	s_or_b64 exec, exec, s[0:1]
                                        ; implicit-def: $vgpr13_vgpr14
	s_and_saveexec_b64 s[0:1], s[12:13]
	s_cbranch_execnz .LBB198_106
.LBB198_95:
	s_or_b64 exec, exec, s[0:1]
                                        ; implicit-def: $vgpr15_vgpr16
	s_and_saveexec_b64 s[0:1], s[16:17]
	s_cbranch_execz .LBB198_107
.LBB198_96:
	global_load_dwordx2 v[15:16], v[27:28], off offset:3072
	s_or_b64 exec, exec, s[0:1]
                                        ; implicit-def: $vgpr17_vgpr18
	s_and_saveexec_b64 s[0:1], s[20:21]
	s_cbranch_execnz .LBB198_108
.LBB198_97:
	s_or_b64 exec, exec, s[0:1]
                                        ; implicit-def: $vgpr19_vgpr20
	s_and_saveexec_b64 s[0:1], s[22:23]
	s_cbranch_execz .LBB198_109
.LBB198_98:
	v_add_co_u32_e32 v19, vcc, 0x1000, v27
	v_addc_co_u32_e32 v20, vcc, 0, v28, vcc
	global_load_dwordx2 v[19:20], v[19:20], off
	s_or_b64 exec, exec, s[0:1]
                                        ; implicit-def: $vgpr21_vgpr22
	s_and_saveexec_b64 s[0:1], s[18:19]
	s_cbranch_execnz .LBB198_110
.LBB198_99:
	s_or_b64 exec, exec, s[0:1]
                                        ; implicit-def: $vgpr23_vgpr24
	s_and_saveexec_b64 s[0:1], s[14:15]
	s_cbranch_execz .LBB198_111
.LBB198_100:
	v_add_co_u32_e32 v23, vcc, 0x1000, v27
	v_addc_co_u32_e32 v24, vcc, 0, v28, vcc
	global_load_dwordx2 v[23:24], v[23:24], off offset:1024
	s_or_b64 exec, exec, s[0:1]
                                        ; implicit-def: $vgpr25_vgpr26
	s_and_saveexec_b64 s[0:1], s[10:11]
	s_cbranch_execnz .LBB198_112
	s_branch .LBB198_113
.LBB198_101:
	s_or_b64 exec, exec, s[52:53]
                                        ; implicit-def: $vgpr5_vgpr6
	s_and_saveexec_b64 s[52:53], s[0:1]
	s_cbranch_execz .LBB198_91
.LBB198_102:
	global_load_dwordx2 v[5:6], v[27:28], off offset:512
	s_or_b64 exec, exec, s[52:53]
                                        ; implicit-def: $vgpr7_vgpr8
	s_and_saveexec_b64 s[0:1], s[2:3]
	s_cbranch_execnz .LBB198_92
.LBB198_103:
	s_or_b64 exec, exec, s[0:1]
                                        ; implicit-def: $vgpr9_vgpr10
	s_and_saveexec_b64 s[0:1], s[50:51]
	s_cbranch_execz .LBB198_93
.LBB198_104:
	global_load_dwordx2 v[9:10], v[27:28], off offset:1536
	s_or_b64 exec, exec, s[0:1]
                                        ; implicit-def: $vgpr11_vgpr12
	s_and_saveexec_b64 s[0:1], s[8:9]
	s_cbranch_execnz .LBB198_94
.LBB198_105:
	s_or_b64 exec, exec, s[0:1]
                                        ; implicit-def: $vgpr13_vgpr14
	s_and_saveexec_b64 s[0:1], s[12:13]
	s_cbranch_execz .LBB198_95
.LBB198_106:
	global_load_dwordx2 v[13:14], v[27:28], off offset:2560
	s_or_b64 exec, exec, s[0:1]
                                        ; implicit-def: $vgpr15_vgpr16
	s_and_saveexec_b64 s[0:1], s[16:17]
	s_cbranch_execnz .LBB198_96
.LBB198_107:
	s_or_b64 exec, exec, s[0:1]
                                        ; implicit-def: $vgpr17_vgpr18
	s_and_saveexec_b64 s[0:1], s[20:21]
	s_cbranch_execz .LBB198_97
.LBB198_108:
	global_load_dwordx2 v[17:18], v[27:28], off offset:3584
	s_or_b64 exec, exec, s[0:1]
                                        ; implicit-def: $vgpr19_vgpr20
	s_and_saveexec_b64 s[0:1], s[22:23]
	s_cbranch_execnz .LBB198_98
.LBB198_109:
	s_or_b64 exec, exec, s[0:1]
                                        ; implicit-def: $vgpr21_vgpr22
	s_and_saveexec_b64 s[0:1], s[18:19]
	s_cbranch_execz .LBB198_99
.LBB198_110:
	v_add_co_u32_e32 v21, vcc, 0x1000, v27
	v_addc_co_u32_e32 v22, vcc, 0, v28, vcc
	global_load_dwordx2 v[21:22], v[21:22], off offset:512
	s_or_b64 exec, exec, s[0:1]
                                        ; implicit-def: $vgpr23_vgpr24
	s_and_saveexec_b64 s[0:1], s[14:15]
	s_cbranch_execnz .LBB198_100
.LBB198_111:
	s_or_b64 exec, exec, s[0:1]
                                        ; implicit-def: $vgpr25_vgpr26
	s_and_saveexec_b64 s[0:1], s[10:11]
	s_cbranch_execz .LBB198_113
.LBB198_112:
	v_add_co_u32_e32 v25, vcc, 0x1000, v27
	v_addc_co_u32_e32 v26, vcc, 0, v28, vcc
	global_load_dwordx2 v[25:26], v[25:26], off offset:1536
.LBB198_113:
	s_or_b64 exec, exec, s[0:1]
	v_mov_b32_e32 v60, 0
	v_mov_b32_e32 v64, 0
	s_and_saveexec_b64 s[0:1], s[24:25]
	s_cbranch_execz .LBB198_115
; %bb.114:
	v_lshlrev_b32_e32 v27, 1, v0
	ds_read_u16 v27, v27 offset:2048
	s_movk_i32 s2, 0x7fff
	v_mov_b32_e32 v28, 0xffff8000
	s_waitcnt lgkmcnt(0)
	v_cmp_ne_u16_e32 vcc, s2, v27
	v_cndmask_b32_e32 v27, v28, v27, vcc
	v_lshrrev_b32_sdwa v27, s68, v27 dst_sel:DWORD dst_unused:UNUSED_PAD src0_sel:DWORD src1_sel:WORD_0
	v_and_b32_e32 v64, s74, v27
.LBB198_115:
	s_or_b64 exec, exec, s[0:1]
	s_and_saveexec_b64 s[0:1], s[26:27]
	s_cbranch_execz .LBB198_117
; %bb.116:
	v_lshlrev_b32_e32 v27, 1, v0
	ds_read_u16 v27, v27 offset:2560
	s_movk_i32 s2, 0x7fff
	v_mov_b32_e32 v28, 0xffff8000
	s_waitcnt lgkmcnt(0)
	v_cmp_ne_u16_e32 vcc, s2, v27
	v_cndmask_b32_e32 v27, v28, v27, vcc
	v_lshrrev_b32_sdwa v27, s68, v27 dst_sel:DWORD dst_unused:UNUSED_PAD src0_sel:DWORD src1_sel:WORD_0
	v_and_b32_e32 v60, s74, v27
.LBB198_117:
	s_or_b64 exec, exec, s[0:1]
	v_mov_b32_e32 v58, 0
	v_mov_b32_e32 v63, 0
	s_and_saveexec_b64 s[0:1], s[28:29]
	s_cbranch_execz .LBB198_119
; %bb.118:
	v_lshlrev_b32_e32 v27, 1, v0
	ds_read_u16 v27, v27 offset:3072
	s_movk_i32 s2, 0x7fff
	v_mov_b32_e32 v28, 0xffff8000
	s_waitcnt lgkmcnt(0)
	v_cmp_ne_u16_e32 vcc, s2, v27
	v_cndmask_b32_e32 v27, v28, v27, vcc
	v_lshrrev_b32_sdwa v27, s68, v27 dst_sel:DWORD dst_unused:UNUSED_PAD src0_sel:DWORD src1_sel:WORD_0
	v_and_b32_e32 v63, s74, v27
.LBB198_119:
	s_or_b64 exec, exec, s[0:1]
	s_and_saveexec_b64 s[0:1], s[30:31]
	s_cbranch_execz .LBB198_121
; %bb.120:
	v_lshlrev_b32_e32 v27, 1, v0
	ds_read_u16 v27, v27 offset:3584
	s_movk_i32 s2, 0x7fff
	v_mov_b32_e32 v28, 0xffff8000
	s_waitcnt lgkmcnt(0)
	v_cmp_ne_u16_e32 vcc, s2, v27
	v_cndmask_b32_e32 v27, v28, v27, vcc
	v_lshrrev_b32_sdwa v27, s68, v27 dst_sel:DWORD dst_unused:UNUSED_PAD src0_sel:DWORD src1_sel:WORD_0
	v_and_b32_e32 v58, s74, v27
.LBB198_121:
	;; [unrolled: 30-line block ×6, first 2 shown]
	s_or_b64 exec, exec, s[0:1]
	v_lshlrev_b32_e32 v44, 3, v44
	s_waitcnt vmcnt(0)
	s_barrier
	ds_write_b64 v44, v[3:4] offset:2048
	v_lshlrev_b32_e32 v3, 3, v43
	ds_write_b64 v3, v[5:6] offset:2048
	v_lshlrev_b32_e32 v3, 3, v42
	;; [unrolled: 2-line block ×11, first 2 shown]
	ds_write_b64 v3, v[25:26] offset:2048
	s_waitcnt lgkmcnt(0)
	s_barrier
	s_and_saveexec_b64 s[0:1], s[24:25]
	s_cbranch_execz .LBB198_196
; %bb.138:
	v_lshlrev_b32_e32 v3, 3, v64
	ds_read_b64 v[3:4], v3
	ds_read_b64 v[5:6], v32 offset:2048
	v_mov_b32_e32 v7, s63
	s_waitcnt lgkmcnt(1)
	v_lshlrev_b64 v[3:4], 3, v[3:4]
	v_add_co_u32_e32 v3, vcc, s62, v3
	v_addc_co_u32_e32 v4, vcc, v7, v4, vcc
	v_add_co_u32_e32 v3, vcc, v3, v32
	v_addc_co_u32_e32 v4, vcc, 0, v4, vcc
	s_waitcnt lgkmcnt(0)
	global_store_dwordx2 v[3:4], v[5:6], off
	s_or_b64 exec, exec, s[0:1]
	s_and_saveexec_b64 s[0:1], s[26:27]
	s_cbranch_execnz .LBB198_197
.LBB198_139:
	s_or_b64 exec, exec, s[0:1]
	s_and_saveexec_b64 s[0:1], s[28:29]
	s_cbranch_execz .LBB198_198
.LBB198_140:
	v_lshlrev_b32_e32 v3, 3, v63
	ds_read_b64 v[3:4], v3
	ds_read_b64 v[5:6], v32 offset:6144
	v_mov_b32_e32 v7, s63
	s_waitcnt lgkmcnt(1)
	v_lshlrev_b64 v[3:4], 3, v[3:4]
	v_add_co_u32_e32 v3, vcc, s62, v3
	v_addc_co_u32_e32 v4, vcc, v7, v4, vcc
	v_lshlrev_b32_e32 v7, 3, v45
	v_add_co_u32_e32 v3, vcc, v3, v7
	v_addc_co_u32_e32 v4, vcc, 0, v4, vcc
	s_waitcnt lgkmcnt(0)
	global_store_dwordx2 v[3:4], v[5:6], off
	s_or_b64 exec, exec, s[0:1]
	s_and_saveexec_b64 s[0:1], s[30:31]
	s_cbranch_execnz .LBB198_199
.LBB198_141:
	s_or_b64 exec, exec, s[0:1]
	s_and_saveexec_b64 s[0:1], s[34:35]
	s_cbranch_execz .LBB198_200
.LBB198_142:
	v_lshlrev_b32_e32 v3, 3, v62
	ds_read_b64 v[3:4], v3
	ds_read_b64 v[5:6], v32 offset:10240
	v_mov_b32_e32 v7, s63
	s_waitcnt lgkmcnt(1)
	v_lshlrev_b64 v[3:4], 3, v[3:4]
	v_add_co_u32_e32 v3, vcc, s62, v3
	v_addc_co_u32_e32 v4, vcc, v7, v4, vcc
	v_lshlrev_b32_e32 v7, 3, v47
	v_add_co_u32_e32 v3, vcc, v3, v7
	v_addc_co_u32_e32 v4, vcc, 0, v4, vcc
	s_waitcnt lgkmcnt(0)
	global_store_dwordx2 v[3:4], v[5:6], off
	s_or_b64 exec, exec, s[0:1]
	s_and_saveexec_b64 s[0:1], s[36:37]
	s_cbranch_execnz .LBB198_201
.LBB198_143:
	s_or_b64 exec, exec, s[0:1]
	s_and_saveexec_b64 s[0:1], s[38:39]
	s_cbranch_execz .LBB198_202
.LBB198_144:
	v_lshlrev_b32_e32 v3, 3, v61
	ds_read_b64 v[3:4], v3
	ds_read_b64 v[5:6], v32 offset:14336
	v_mov_b32_e32 v7, s63
	s_waitcnt lgkmcnt(1)
	v_lshlrev_b64 v[3:4], 3, v[3:4]
	v_add_co_u32_e32 v3, vcc, s62, v3
	v_addc_co_u32_e32 v4, vcc, v7, v4, vcc
	v_lshlrev_b32_e32 v7, 3, v49
	v_add_co_u32_e32 v3, vcc, v3, v7
	v_addc_co_u32_e32 v4, vcc, 0, v4, vcc
	s_waitcnt lgkmcnt(0)
	global_store_dwordx2 v[3:4], v[5:6], off
	s_or_b64 exec, exec, s[0:1]
	s_and_saveexec_b64 s[0:1], s[40:41]
	s_cbranch_execnz .LBB198_203
.LBB198_145:
	s_or_b64 exec, exec, s[0:1]
	s_and_saveexec_b64 s[0:1], s[42:43]
	s_cbranch_execz .LBB198_204
.LBB198_146:
	v_lshlrev_b32_e32 v3, 3, v59
	ds_read_b64 v[3:4], v3
	ds_read_b64 v[5:6], v32 offset:18432
	v_mov_b32_e32 v7, s63
	s_waitcnt lgkmcnt(1)
	v_lshlrev_b64 v[3:4], 3, v[3:4]
	v_add_co_u32_e32 v3, vcc, s62, v3
	v_addc_co_u32_e32 v4, vcc, v7, v4, vcc
	v_lshlrev_b32_e32 v7, 3, v51
	v_add_co_u32_e32 v3, vcc, v3, v7
	v_addc_co_u32_e32 v4, vcc, 0, v4, vcc
	s_waitcnt lgkmcnt(0)
	global_store_dwordx2 v[3:4], v[5:6], off
	s_or_b64 exec, exec, s[0:1]
	s_and_saveexec_b64 s[0:1], s[44:45]
	s_cbranch_execnz .LBB198_205
.LBB198_147:
	s_or_b64 exec, exec, s[0:1]
	s_and_saveexec_b64 s[0:1], s[46:47]
	s_cbranch_execz .LBB198_206
.LBB198_148:
	v_lshlrev_b32_e32 v3, 3, v57
	ds_read_b64 v[3:4], v3
	ds_read_b64 v[5:6], v32 offset:22528
	v_mov_b32_e32 v7, s63
	s_waitcnt lgkmcnt(1)
	v_lshlrev_b64 v[3:4], 3, v[3:4]
	v_add_co_u32_e32 v3, vcc, s62, v3
	v_addc_co_u32_e32 v4, vcc, v7, v4, vcc
	v_lshlrev_b32_e32 v7, 3, v53
	v_add_co_u32_e32 v3, vcc, v3, v7
	v_addc_co_u32_e32 v4, vcc, 0, v4, vcc
	s_waitcnt lgkmcnt(0)
	global_store_dwordx2 v[3:4], v[5:6], off
	s_or_b64 exec, exec, s[0:1]
	s_and_saveexec_b64 s[0:1], s[48:49]
	s_cbranch_execnz .LBB198_207
.LBB198_149:
	s_or_b64 exec, exec, s[0:1]
	s_add_i32 s33, s33, -1
	s_cmp_eq_u32 s6, s33
	s_cbranch_scc0 .LBB198_151
.LBB198_150:
	ds_read_b64 v[3:4], v32
	v_add_co_u32_e32 v5, vcc, v31, v30
	v_addc_co_u32_e64 v6, s[0:1], 0, 0, vcc
	s_waitcnt lgkmcnt(0)
	v_add_co_u32_e32 v3, vcc, v5, v3
	v_addc_co_u32_e32 v4, vcc, v6, v4, vcc
	global_store_dwordx2 v32, v[3:4], s[66:67]
.LBB198_151:
	s_mov_b64 s[0:1], 0
.LBB198_152:
	s_and_b64 vcc, exec, s[0:1]
	s_cbranch_vccz .LBB198_195
; %bb.153:
	s_mov_b32 s55, 0
	s_lshl_b64 s[0:1], s[54:55], 1
	v_mbcnt_hi_u32_b32 v8, -1, v29
	s_add_u32 s0, s56, s0
	v_lshlrev_b32_e32 v4, 1, v8
	v_add_co_u32_e32 v4, vcc, s0, v4
	s_load_dword s8, s[4:5], 0x50
	s_load_dword s0, s[4:5], 0x5c
	s_addc_u32 s1, s57, s1
	v_and_b32_e32 v9, 0xc0, v0
	v_mul_u32_u24_e32 v7, 12, v9
	v_mov_b32_e32 v5, s1
	v_addc_co_u32_e32 v5, vcc, 0, v5, vcc
	v_lshlrev_b32_e32 v6, 1, v7
	v_add_co_u32_e32 v4, vcc, v4, v6
	s_add_u32 s1, s4, 0x50
	v_addc_co_u32_e32 v5, vcc, 0, v5, vcc
	s_addc_u32 s2, s5, 0
	s_waitcnt lgkmcnt(0)
	s_lshr_b32 s3, s0, 16
	global_load_ushort v10, v[4:5], off
	s_cmp_lt_u32 s6, s8
	s_cselect_b32 s0, 12, 18
	s_add_u32 s0, s1, s0
	v_mov_b32_e32 v3, 0
	s_addc_u32 s1, s2, 0
	global_load_ushort v11, v3, s[0:1]
	v_mul_u32_u24_e32 v6, 20, v0
	ds_write2_b32 v6, v3, v3 offset0:4 offset1:5
	ds_write2_b32 v6, v3, v3 offset0:6 offset1:7
	ds_write_b32 v6, v3 offset:32
	global_load_ushort v12, v[4:5], off offset:128
	global_load_ushort v16, v[4:5], off offset:256
	global_load_ushort v21, v[4:5], off offset:384
	global_load_ushort v27, v[4:5], off offset:512
	global_load_ushort v31, v[4:5], off offset:640
	global_load_ushort v36, v[4:5], off offset:768
	global_load_ushort v38, v[4:5], off offset:896
	global_load_ushort v34, v[4:5], off offset:1024
	global_load_ushort v28, v[4:5], off offset:1152
	global_load_ushort v24, v[4:5], off offset:1280
	global_load_ushort v17, v[4:5], off offset:1408
	v_mov_b32_e32 v13, 0xffff8000
	v_mad_u32_u24 v1, v2, s3, v1
	s_movk_i32 s2, 0x7fff
	s_lshl_b32 s0, -1, s69
	s_not_b32 s9, s0
	s_waitcnt vmcnt(0) lgkmcnt(0)
	s_barrier
	; wave barrier
	v_cmp_lt_i16_e32 vcc, -1, v10
	v_cndmask_b32_e32 v2, -1, v13, vcc
	v_xor_b32_e32 v5, v2, v10
	v_cmp_ne_u16_e32 vcc, s2, v5
	v_cndmask_b32_e32 v4, v13, v5, vcc
	v_mad_u64_u32 v[1:2], s[0:1], v1, v11, v[0:1]
	v_lshrrev_b32_sdwa v2, s68, v4 dst_sel:DWORD dst_unused:UNUSED_PAD src0_sel:DWORD src1_sel:WORD_0
	v_and_b32_e32 v2, s9, v2
	v_and_b32_e32 v10, 1, v2
	v_add_co_u32_e32 v11, vcc, -1, v10
	v_lshlrev_b32_e32 v4, 30, v2
	v_addc_co_u32_e64 v14, s[0:1], 0, -1, vcc
	v_cmp_ne_u32_e32 vcc, 0, v10
	v_cmp_gt_i64_e64 s[0:1], 0, v[3:4]
	v_not_b32_e32 v10, v4
	v_lshlrev_b32_e32 v4, 29, v2
	v_lshrrev_b32_e32 v1, 6, v1
	v_xor_b32_e32 v14, vcc_hi, v14
	v_xor_b32_e32 v11, vcc_lo, v11
	v_ashrrev_i32_e32 v10, 31, v10
	v_cmp_gt_i64_e32 vcc, 0, v[3:4]
	v_not_b32_e32 v15, v4
	v_lshlrev_b32_e32 v4, 28, v2
	v_lshlrev_b32_e32 v20, 2, v1
	v_and_b32_e32 v1, exec_hi, v14
	v_and_b32_e32 v11, exec_lo, v11
	v_xor_b32_e32 v14, s1, v10
	v_xor_b32_e32 v18, s0, v10
	v_ashrrev_i32_e32 v15, 31, v15
	v_cmp_gt_i64_e64 s[0:1], 0, v[3:4]
	v_not_b32_e32 v4, v4
	v_and_b32_e32 v1, v1, v14
	v_and_b32_e32 v11, v11, v18
	v_xor_b32_e32 v14, vcc_hi, v15
	v_xor_b32_e32 v15, vcc_lo, v15
	v_ashrrev_i32_e32 v4, 31, v4
	v_and_b32_e32 v1, v1, v14
	v_and_b32_e32 v11, v11, v15
	v_xor_b32_e32 v14, s1, v4
	v_xor_b32_e32 v4, s0, v4
	v_and_b32_e32 v11, v11, v4
	v_lshlrev_b32_e32 v4, 27, v2
	v_cmp_gt_i64_e32 vcc, 0, v[3:4]
	v_not_b32_e32 v4, v4
	v_ashrrev_i32_e32 v4, 31, v4
	v_and_b32_e32 v1, v1, v14
	v_xor_b32_e32 v14, vcc_hi, v4
	v_xor_b32_e32 v4, vcc_lo, v4
	v_and_b32_e32 v11, v11, v4
	v_lshlrev_b32_e32 v4, 26, v2
	v_cmp_gt_i64_e32 vcc, 0, v[3:4]
	v_not_b32_e32 v4, v4
	v_ashrrev_i32_e32 v4, 31, v4
	v_and_b32_e32 v1, v1, v14
	v_xor_b32_e32 v14, vcc_hi, v4
	v_xor_b32_e32 v4, vcc_lo, v4
	;; [unrolled: 8-line block ×3, first 2 shown]
	v_and_b32_e32 v11, v11, v4
	v_lshlrev_b32_e32 v4, 24, v2
	v_mad_u32_u24 v10, v2, 20, v20
	v_cmp_gt_i64_e32 vcc, 0, v[3:4]
	v_not_b32_e32 v2, v4
	v_ashrrev_i32_e32 v2, 31, v2
	v_and_b32_e32 v1, v1, v14
	v_xor_b32_e32 v4, vcc_hi, v2
	v_xor_b32_e32 v14, vcc_lo, v2
	v_and_b32_e32 v2, v1, v4
	v_and_b32_e32 v1, v11, v14
	v_mbcnt_lo_u32_b32 v4, v1, 0
	v_mbcnt_hi_u32_b32 v11, v2, v4
	v_cmp_ne_u64_e32 vcc, 0, v[1:2]
	v_cmp_eq_u32_e64 s[0:1], 0, v11
	s_and_b64 s[4:5], vcc, s[0:1]
	s_and_saveexec_b64 s[0:1], s[4:5]
; %bb.154:
	v_bcnt_u32_b32 v1, v1, 0
	v_bcnt_u32_b32 v1, v2, v1
	ds_write_b32 v10, v1 offset:16
; %bb.155:
	s_or_b64 exec, exec, s[0:1]
	v_cmp_lt_i16_e32 vcc, -1, v12
	v_cndmask_b32_e32 v1, -1, v13, vcc
	v_xor_b32_e32 v12, v1, v12
	v_cmp_ne_u16_e32 vcc, s2, v12
	v_cndmask_b32_e32 v1, v13, v12, vcc
	v_lshrrev_b32_sdwa v1, s68, v1 dst_sel:DWORD dst_unused:UNUSED_PAD src0_sel:DWORD src1_sel:WORD_0
	v_and_b32_e32 v1, s9, v1
	v_and_b32_e32 v2, 1, v1
	v_add_co_u32_e32 v4, vcc, -1, v2
	v_addc_co_u32_e64 v15, s[0:1], 0, -1, vcc
	v_cmp_ne_u32_e32 vcc, 0, v2
	v_xor_b32_e32 v4, vcc_lo, v4
	v_xor_b32_e32 v2, vcc_hi, v15
	v_and_b32_e32 v15, exec_lo, v4
	v_lshlrev_b32_e32 v4, 30, v1
	v_cmp_gt_i64_e32 vcc, 0, v[3:4]
	v_not_b32_e32 v4, v4
	v_ashrrev_i32_e32 v4, 31, v4
	v_xor_b32_e32 v18, vcc_hi, v4
	v_xor_b32_e32 v4, vcc_lo, v4
	v_and_b32_e32 v15, v15, v4
	v_lshlrev_b32_e32 v4, 29, v1
	v_cmp_gt_i64_e32 vcc, 0, v[3:4]
	v_not_b32_e32 v4, v4
	v_and_b32_e32 v2, exec_hi, v2
	v_ashrrev_i32_e32 v4, 31, v4
	v_and_b32_e32 v2, v2, v18
	v_xor_b32_e32 v18, vcc_hi, v4
	v_xor_b32_e32 v4, vcc_lo, v4
	v_and_b32_e32 v15, v15, v4
	v_lshlrev_b32_e32 v4, 28, v1
	v_cmp_gt_i64_e32 vcc, 0, v[3:4]
	v_not_b32_e32 v4, v4
	v_ashrrev_i32_e32 v4, 31, v4
	v_and_b32_e32 v2, v2, v18
	v_xor_b32_e32 v18, vcc_hi, v4
	v_xor_b32_e32 v4, vcc_lo, v4
	v_and_b32_e32 v15, v15, v4
	v_lshlrev_b32_e32 v4, 27, v1
	v_cmp_gt_i64_e32 vcc, 0, v[3:4]
	v_not_b32_e32 v4, v4
	;; [unrolled: 8-line block ×4, first 2 shown]
	v_ashrrev_i32_e32 v4, 31, v4
	v_and_b32_e32 v2, v2, v18
	v_xor_b32_e32 v18, vcc_hi, v4
	v_xor_b32_e32 v4, vcc_lo, v4
	v_and_b32_e32 v15, v15, v4
	v_lshlrev_b32_e32 v4, 24, v1
	v_mad_u32_u24 v14, v1, 20, v20
	v_cmp_gt_i64_e32 vcc, 0, v[3:4]
	v_not_b32_e32 v1, v4
	v_ashrrev_i32_e32 v1, 31, v1
	v_xor_b32_e32 v3, vcc_hi, v1
	v_xor_b32_e32 v1, vcc_lo, v1
	; wave barrier
	ds_read_b32 v13, v14 offset:16
	v_and_b32_e32 v2, v2, v18
	v_and_b32_e32 v1, v15, v1
	;; [unrolled: 1-line block ×3, first 2 shown]
	v_mbcnt_lo_u32_b32 v3, v1, 0
	v_mbcnt_hi_u32_b32 v15, v2, v3
	v_cmp_ne_u64_e32 vcc, 0, v[1:2]
	v_cmp_eq_u32_e64 s[0:1], 0, v15
	s_and_b64 s[2:3], vcc, s[0:1]
	; wave barrier
	s_and_saveexec_b64 s[0:1], s[2:3]
	s_cbranch_execz .LBB198_157
; %bb.156:
	v_bcnt_u32_b32 v1, v1, 0
	v_bcnt_u32_b32 v1, v2, v1
	s_waitcnt lgkmcnt(0)
	v_add_u32_e32 v1, v13, v1
	ds_write_b32 v14, v1 offset:16
.LBB198_157:
	s_or_b64 exec, exec, s[0:1]
	v_mov_b32_e32 v4, 0xffff8000
	v_cmp_lt_i16_e32 vcc, -1, v16
	v_cndmask_b32_e32 v1, -1, v4, vcc
	v_xor_b32_e32 v16, v1, v16
	s_movk_i32 s2, 0x7fff
	v_cmp_ne_u16_e32 vcc, s2, v16
	v_cndmask_b32_e32 v1, v4, v16, vcc
	v_lshrrev_b32_sdwa v1, s68, v1 dst_sel:DWORD dst_unused:UNUSED_PAD src0_sel:DWORD src1_sel:WORD_0
	v_and_b32_e32 v3, s9, v1
	v_and_b32_e32 v2, 1, v3
	v_add_co_u32_e32 v22, vcc, -1, v2
	v_addc_co_u32_e64 v23, s[0:1], 0, -1, vcc
	v_cmp_ne_u32_e32 vcc, 0, v2
	v_xor_b32_e32 v2, vcc_hi, v23
	v_mov_b32_e32 v1, 0
	v_and_b32_e32 v23, exec_hi, v2
	v_lshlrev_b32_e32 v2, 30, v3
	v_xor_b32_e32 v22, vcc_lo, v22
	v_cmp_gt_i64_e32 vcc, 0, v[1:2]
	v_not_b32_e32 v2, v2
	v_ashrrev_i32_e32 v2, 31, v2
	v_and_b32_e32 v22, exec_lo, v22
	v_xor_b32_e32 v25, vcc_hi, v2
	v_xor_b32_e32 v2, vcc_lo, v2
	v_and_b32_e32 v22, v22, v2
	v_lshlrev_b32_e32 v2, 29, v3
	v_cmp_gt_i64_e32 vcc, 0, v[1:2]
	v_not_b32_e32 v2, v2
	v_ashrrev_i32_e32 v2, 31, v2
	v_and_b32_e32 v23, v23, v25
	v_xor_b32_e32 v25, vcc_hi, v2
	v_xor_b32_e32 v2, vcc_lo, v2
	v_and_b32_e32 v22, v22, v2
	v_lshlrev_b32_e32 v2, 28, v3
	v_cmp_gt_i64_e32 vcc, 0, v[1:2]
	v_not_b32_e32 v2, v2
	v_ashrrev_i32_e32 v2, 31, v2
	v_and_b32_e32 v23, v23, v25
	;; [unrolled: 8-line block ×5, first 2 shown]
	v_xor_b32_e32 v25, vcc_hi, v2
	v_xor_b32_e32 v2, vcc_lo, v2
	v_and_b32_e32 v22, v22, v2
	v_lshlrev_b32_e32 v2, 24, v3
	v_cmp_gt_i64_e32 vcc, 0, v[1:2]
	v_not_b32_e32 v2, v2
	v_ashrrev_i32_e32 v2, 31, v2
	v_mad_u32_u24 v19, v3, 20, v20
	v_xor_b32_e32 v3, vcc_hi, v2
	v_xor_b32_e32 v2, vcc_lo, v2
	; wave barrier
	ds_read_b32 v18, v19 offset:16
	v_and_b32_e32 v23, v23, v25
	v_and_b32_e32 v2, v22, v2
	;; [unrolled: 1-line block ×3, first 2 shown]
	v_mbcnt_lo_u32_b32 v22, v2, 0
	v_mbcnt_hi_u32_b32 v22, v3, v22
	v_cmp_ne_u64_e32 vcc, 0, v[2:3]
	v_cmp_eq_u32_e64 s[0:1], 0, v22
	s_and_b64 s[4:5], vcc, s[0:1]
	; wave barrier
	s_and_saveexec_b64 s[0:1], s[4:5]
	s_cbranch_execz .LBB198_159
; %bb.158:
	v_bcnt_u32_b32 v2, v2, 0
	v_bcnt_u32_b32 v2, v3, v2
	s_waitcnt lgkmcnt(0)
	v_add_u32_e32 v2, v18, v2
	ds_write_b32 v19, v2 offset:16
.LBB198_159:
	s_or_b64 exec, exec, s[0:1]
	v_cmp_lt_i16_e32 vcc, -1, v21
	v_cndmask_b32_e32 v2, -1, v4, vcc
	v_xor_b32_e32 v21, v2, v21
	v_cmp_ne_u16_e32 vcc, s2, v21
	v_cndmask_b32_e32 v2, v4, v21, vcc
	v_lshrrev_b32_sdwa v2, s68, v2 dst_sel:DWORD dst_unused:UNUSED_PAD src0_sel:DWORD src1_sel:WORD_0
	v_and_b32_e32 v3, s9, v2
	v_and_b32_e32 v2, 1, v3
	v_add_co_u32_e32 v4, vcc, -1, v2
	v_addc_co_u32_e64 v26, s[0:1], 0, -1, vcc
	v_cmp_ne_u32_e32 vcc, 0, v2
	v_xor_b32_e32 v2, vcc_hi, v26
	v_and_b32_e32 v26, exec_hi, v2
	v_lshlrev_b32_e32 v2, 30, v3
	v_xor_b32_e32 v4, vcc_lo, v4
	v_cmp_gt_i64_e32 vcc, 0, v[1:2]
	v_not_b32_e32 v2, v2
	v_ashrrev_i32_e32 v2, 31, v2
	v_and_b32_e32 v4, exec_lo, v4
	v_xor_b32_e32 v29, vcc_hi, v2
	v_xor_b32_e32 v2, vcc_lo, v2
	v_and_b32_e32 v4, v4, v2
	v_lshlrev_b32_e32 v2, 29, v3
	v_cmp_gt_i64_e32 vcc, 0, v[1:2]
	v_not_b32_e32 v2, v2
	v_ashrrev_i32_e32 v2, 31, v2
	v_and_b32_e32 v26, v26, v29
	v_xor_b32_e32 v29, vcc_hi, v2
	v_xor_b32_e32 v2, vcc_lo, v2
	v_and_b32_e32 v4, v4, v2
	v_lshlrev_b32_e32 v2, 28, v3
	v_cmp_gt_i64_e32 vcc, 0, v[1:2]
	v_not_b32_e32 v2, v2
	v_ashrrev_i32_e32 v2, 31, v2
	v_and_b32_e32 v26, v26, v29
	;; [unrolled: 8-line block ×5, first 2 shown]
	v_xor_b32_e32 v29, vcc_hi, v2
	v_xor_b32_e32 v2, vcc_lo, v2
	v_and_b32_e32 v4, v4, v2
	v_lshlrev_b32_e32 v2, 24, v3
	v_cmp_gt_i64_e32 vcc, 0, v[1:2]
	v_not_b32_e32 v1, v2
	v_ashrrev_i32_e32 v1, 31, v1
	v_mad_u32_u24 v25, v3, 20, v20
	v_xor_b32_e32 v2, vcc_hi, v1
	v_xor_b32_e32 v1, vcc_lo, v1
	; wave barrier
	ds_read_b32 v23, v25 offset:16
	v_and_b32_e32 v26, v26, v29
	v_and_b32_e32 v1, v4, v1
	;; [unrolled: 1-line block ×3, first 2 shown]
	v_mbcnt_lo_u32_b32 v3, v1, 0
	v_mbcnt_hi_u32_b32 v26, v2, v3
	v_cmp_ne_u64_e32 vcc, 0, v[1:2]
	v_cmp_eq_u32_e64 s[0:1], 0, v26
	s_and_b64 s[2:3], vcc, s[0:1]
	; wave barrier
	s_and_saveexec_b64 s[0:1], s[2:3]
	s_cbranch_execz .LBB198_161
; %bb.160:
	v_bcnt_u32_b32 v1, v1, 0
	v_bcnt_u32_b32 v1, v2, v1
	s_waitcnt lgkmcnt(0)
	v_add_u32_e32 v1, v23, v1
	ds_write_b32 v25, v1 offset:16
.LBB198_161:
	s_or_b64 exec, exec, s[0:1]
	v_mov_b32_e32 v4, 0xffff8000
	v_cmp_lt_i16_e32 vcc, -1, v27
	v_cndmask_b32_e32 v1, -1, v4, vcc
	v_xor_b32_e32 v27, v1, v27
	s_movk_i32 s2, 0x7fff
	v_cmp_ne_u16_e32 vcc, s2, v27
	v_cndmask_b32_e32 v1, v4, v27, vcc
	v_lshrrev_b32_sdwa v1, s68, v1 dst_sel:DWORD dst_unused:UNUSED_PAD src0_sel:DWORD src1_sel:WORD_0
	v_and_b32_e32 v3, s9, v1
	v_and_b32_e32 v2, 1, v3
	v_add_co_u32_e32 v32, vcc, -1, v2
	v_addc_co_u32_e64 v33, s[0:1], 0, -1, vcc
	v_cmp_ne_u32_e32 vcc, 0, v2
	v_xor_b32_e32 v2, vcc_hi, v33
	v_mov_b32_e32 v1, 0
	v_and_b32_e32 v33, exec_hi, v2
	v_lshlrev_b32_e32 v2, 30, v3
	v_xor_b32_e32 v32, vcc_lo, v32
	v_cmp_gt_i64_e32 vcc, 0, v[1:2]
	v_not_b32_e32 v2, v2
	v_ashrrev_i32_e32 v2, 31, v2
	v_and_b32_e32 v32, exec_lo, v32
	v_xor_b32_e32 v35, vcc_hi, v2
	v_xor_b32_e32 v2, vcc_lo, v2
	v_and_b32_e32 v32, v32, v2
	v_lshlrev_b32_e32 v2, 29, v3
	v_cmp_gt_i64_e32 vcc, 0, v[1:2]
	v_not_b32_e32 v2, v2
	v_ashrrev_i32_e32 v2, 31, v2
	v_and_b32_e32 v33, v33, v35
	v_xor_b32_e32 v35, vcc_hi, v2
	v_xor_b32_e32 v2, vcc_lo, v2
	v_and_b32_e32 v32, v32, v2
	v_lshlrev_b32_e32 v2, 28, v3
	v_cmp_gt_i64_e32 vcc, 0, v[1:2]
	v_not_b32_e32 v2, v2
	v_ashrrev_i32_e32 v2, 31, v2
	v_and_b32_e32 v33, v33, v35
	;; [unrolled: 8-line block ×5, first 2 shown]
	v_xor_b32_e32 v35, vcc_hi, v2
	v_xor_b32_e32 v2, vcc_lo, v2
	v_and_b32_e32 v32, v32, v2
	v_lshlrev_b32_e32 v2, 24, v3
	v_cmp_gt_i64_e32 vcc, 0, v[1:2]
	v_not_b32_e32 v2, v2
	v_ashrrev_i32_e32 v2, 31, v2
	v_mad_u32_u24 v30, v3, 20, v20
	v_xor_b32_e32 v3, vcc_hi, v2
	v_xor_b32_e32 v2, vcc_lo, v2
	; wave barrier
	ds_read_b32 v29, v30 offset:16
	v_and_b32_e32 v33, v33, v35
	v_and_b32_e32 v2, v32, v2
	;; [unrolled: 1-line block ×3, first 2 shown]
	v_mbcnt_lo_u32_b32 v32, v2, 0
	v_mbcnt_hi_u32_b32 v32, v3, v32
	v_cmp_ne_u64_e32 vcc, 0, v[2:3]
	v_cmp_eq_u32_e64 s[0:1], 0, v32
	s_and_b64 s[4:5], vcc, s[0:1]
	; wave barrier
	s_and_saveexec_b64 s[0:1], s[4:5]
	s_cbranch_execz .LBB198_163
; %bb.162:
	v_bcnt_u32_b32 v2, v2, 0
	v_bcnt_u32_b32 v2, v3, v2
	s_waitcnt lgkmcnt(0)
	v_add_u32_e32 v2, v29, v2
	ds_write_b32 v30, v2 offset:16
.LBB198_163:
	s_or_b64 exec, exec, s[0:1]
	v_cmp_lt_i16_e32 vcc, -1, v31
	v_cndmask_b32_e32 v2, -1, v4, vcc
	v_xor_b32_e32 v31, v2, v31
	v_cmp_ne_u16_e32 vcc, s2, v31
	v_cndmask_b32_e32 v2, v4, v31, vcc
	v_lshrrev_b32_sdwa v2, s68, v2 dst_sel:DWORD dst_unused:UNUSED_PAD src0_sel:DWORD src1_sel:WORD_0
	v_and_b32_e32 v3, s9, v2
	v_and_b32_e32 v2, 1, v3
	v_add_co_u32_e32 v4, vcc, -1, v2
	v_addc_co_u32_e64 v37, s[0:1], 0, -1, vcc
	v_cmp_ne_u32_e32 vcc, 0, v2
	v_xor_b32_e32 v2, vcc_hi, v37
	v_and_b32_e32 v37, exec_hi, v2
	v_lshlrev_b32_e32 v2, 30, v3
	v_xor_b32_e32 v4, vcc_lo, v4
	v_cmp_gt_i64_e32 vcc, 0, v[1:2]
	v_not_b32_e32 v2, v2
	v_ashrrev_i32_e32 v2, 31, v2
	v_and_b32_e32 v4, exec_lo, v4
	v_xor_b32_e32 v39, vcc_hi, v2
	v_xor_b32_e32 v2, vcc_lo, v2
	v_and_b32_e32 v4, v4, v2
	v_lshlrev_b32_e32 v2, 29, v3
	v_cmp_gt_i64_e32 vcc, 0, v[1:2]
	v_not_b32_e32 v2, v2
	v_ashrrev_i32_e32 v2, 31, v2
	v_and_b32_e32 v37, v37, v39
	v_xor_b32_e32 v39, vcc_hi, v2
	v_xor_b32_e32 v2, vcc_lo, v2
	v_and_b32_e32 v4, v4, v2
	v_lshlrev_b32_e32 v2, 28, v3
	v_cmp_gt_i64_e32 vcc, 0, v[1:2]
	v_not_b32_e32 v2, v2
	v_ashrrev_i32_e32 v2, 31, v2
	v_and_b32_e32 v37, v37, v39
	;; [unrolled: 8-line block ×5, first 2 shown]
	v_xor_b32_e32 v39, vcc_hi, v2
	v_xor_b32_e32 v2, vcc_lo, v2
	v_and_b32_e32 v4, v4, v2
	v_lshlrev_b32_e32 v2, 24, v3
	v_cmp_gt_i64_e32 vcc, 0, v[1:2]
	v_not_b32_e32 v1, v2
	v_ashrrev_i32_e32 v1, 31, v1
	v_mad_u32_u24 v35, v3, 20, v20
	v_xor_b32_e32 v2, vcc_hi, v1
	v_xor_b32_e32 v1, vcc_lo, v1
	; wave barrier
	ds_read_b32 v33, v35 offset:16
	v_and_b32_e32 v37, v37, v39
	v_and_b32_e32 v1, v4, v1
	;; [unrolled: 1-line block ×3, first 2 shown]
	v_mbcnt_lo_u32_b32 v3, v1, 0
	v_mbcnt_hi_u32_b32 v37, v2, v3
	v_cmp_ne_u64_e32 vcc, 0, v[1:2]
	v_cmp_eq_u32_e64 s[0:1], 0, v37
	s_and_b64 s[2:3], vcc, s[0:1]
	; wave barrier
	s_and_saveexec_b64 s[0:1], s[2:3]
	s_cbranch_execz .LBB198_165
; %bb.164:
	v_bcnt_u32_b32 v1, v1, 0
	v_bcnt_u32_b32 v1, v2, v1
	s_waitcnt lgkmcnt(0)
	v_add_u32_e32 v1, v33, v1
	ds_write_b32 v35, v1 offset:16
.LBB198_165:
	s_or_b64 exec, exec, s[0:1]
	v_mov_b32_e32 v4, 0xffff8000
	v_cmp_lt_i16_e32 vcc, -1, v36
	v_cndmask_b32_e32 v1, -1, v4, vcc
	v_xor_b32_e32 v36, v1, v36
	s_movk_i32 s2, 0x7fff
	v_cmp_ne_u16_e32 vcc, s2, v36
	v_cndmask_b32_e32 v1, v4, v36, vcc
	v_lshrrev_b32_sdwa v1, s68, v1 dst_sel:DWORD dst_unused:UNUSED_PAD src0_sel:DWORD src1_sel:WORD_0
	v_and_b32_e32 v3, s9, v1
	v_and_b32_e32 v2, 1, v3
	v_add_co_u32_e32 v41, vcc, -1, v2
	v_addc_co_u32_e64 v42, s[0:1], 0, -1, vcc
	v_cmp_ne_u32_e32 vcc, 0, v2
	v_xor_b32_e32 v2, vcc_hi, v42
	v_mov_b32_e32 v1, 0
	v_and_b32_e32 v42, exec_hi, v2
	v_lshlrev_b32_e32 v2, 30, v3
	v_xor_b32_e32 v41, vcc_lo, v41
	v_cmp_gt_i64_e32 vcc, 0, v[1:2]
	v_not_b32_e32 v2, v2
	v_ashrrev_i32_e32 v2, 31, v2
	v_and_b32_e32 v41, exec_lo, v41
	v_xor_b32_e32 v43, vcc_hi, v2
	v_xor_b32_e32 v2, vcc_lo, v2
	v_and_b32_e32 v41, v41, v2
	v_lshlrev_b32_e32 v2, 29, v3
	v_cmp_gt_i64_e32 vcc, 0, v[1:2]
	v_not_b32_e32 v2, v2
	v_ashrrev_i32_e32 v2, 31, v2
	v_and_b32_e32 v42, v42, v43
	v_xor_b32_e32 v43, vcc_hi, v2
	v_xor_b32_e32 v2, vcc_lo, v2
	v_and_b32_e32 v41, v41, v2
	v_lshlrev_b32_e32 v2, 28, v3
	v_cmp_gt_i64_e32 vcc, 0, v[1:2]
	v_not_b32_e32 v2, v2
	v_ashrrev_i32_e32 v2, 31, v2
	v_and_b32_e32 v42, v42, v43
	;; [unrolled: 8-line block ×5, first 2 shown]
	v_xor_b32_e32 v43, vcc_hi, v2
	v_xor_b32_e32 v2, vcc_lo, v2
	v_and_b32_e32 v41, v41, v2
	v_lshlrev_b32_e32 v2, 24, v3
	v_cmp_gt_i64_e32 vcc, 0, v[1:2]
	v_not_b32_e32 v2, v2
	v_ashrrev_i32_e32 v2, 31, v2
	v_mad_u32_u24 v40, v3, 20, v20
	v_xor_b32_e32 v3, vcc_hi, v2
	v_xor_b32_e32 v2, vcc_lo, v2
	; wave barrier
	ds_read_b32 v39, v40 offset:16
	v_and_b32_e32 v42, v42, v43
	v_and_b32_e32 v2, v41, v2
	;; [unrolled: 1-line block ×3, first 2 shown]
	v_mbcnt_lo_u32_b32 v41, v2, 0
	v_mbcnt_hi_u32_b32 v41, v3, v41
	v_cmp_ne_u64_e32 vcc, 0, v[2:3]
	v_cmp_eq_u32_e64 s[0:1], 0, v41
	s_and_b64 s[4:5], vcc, s[0:1]
	; wave barrier
	s_and_saveexec_b64 s[0:1], s[4:5]
	s_cbranch_execz .LBB198_167
; %bb.166:
	v_bcnt_u32_b32 v2, v2, 0
	v_bcnt_u32_b32 v2, v3, v2
	s_waitcnt lgkmcnt(0)
	v_add_u32_e32 v2, v39, v2
	ds_write_b32 v40, v2 offset:16
.LBB198_167:
	s_or_b64 exec, exec, s[0:1]
	v_cmp_lt_i16_e32 vcc, -1, v38
	v_cndmask_b32_e32 v2, -1, v4, vcc
	v_xor_b32_e32 v38, v2, v38
	v_cmp_ne_u16_e32 vcc, s2, v38
	v_cndmask_b32_e32 v2, v4, v38, vcc
	v_lshrrev_b32_sdwa v2, s68, v2 dst_sel:DWORD dst_unused:UNUSED_PAD src0_sel:DWORD src1_sel:WORD_0
	v_and_b32_e32 v3, s9, v2
	v_and_b32_e32 v2, 1, v3
	v_add_co_u32_e32 v4, vcc, -1, v2
	v_addc_co_u32_e64 v44, s[0:1], 0, -1, vcc
	v_cmp_ne_u32_e32 vcc, 0, v2
	v_xor_b32_e32 v2, vcc_hi, v44
	v_and_b32_e32 v44, exec_hi, v2
	v_lshlrev_b32_e32 v2, 30, v3
	v_xor_b32_e32 v4, vcc_lo, v4
	v_cmp_gt_i64_e32 vcc, 0, v[1:2]
	v_not_b32_e32 v2, v2
	v_ashrrev_i32_e32 v2, 31, v2
	v_and_b32_e32 v4, exec_lo, v4
	v_xor_b32_e32 v45, vcc_hi, v2
	v_xor_b32_e32 v2, vcc_lo, v2
	v_and_b32_e32 v4, v4, v2
	v_lshlrev_b32_e32 v2, 29, v3
	v_cmp_gt_i64_e32 vcc, 0, v[1:2]
	v_not_b32_e32 v2, v2
	v_ashrrev_i32_e32 v2, 31, v2
	v_and_b32_e32 v44, v44, v45
	v_xor_b32_e32 v45, vcc_hi, v2
	v_xor_b32_e32 v2, vcc_lo, v2
	v_and_b32_e32 v4, v4, v2
	v_lshlrev_b32_e32 v2, 28, v3
	v_cmp_gt_i64_e32 vcc, 0, v[1:2]
	v_not_b32_e32 v2, v2
	v_ashrrev_i32_e32 v2, 31, v2
	v_and_b32_e32 v44, v44, v45
	;; [unrolled: 8-line block ×5, first 2 shown]
	v_xor_b32_e32 v45, vcc_hi, v2
	v_xor_b32_e32 v2, vcc_lo, v2
	v_and_b32_e32 v4, v4, v2
	v_lshlrev_b32_e32 v2, 24, v3
	v_cmp_gt_i64_e32 vcc, 0, v[1:2]
	v_not_b32_e32 v1, v2
	v_ashrrev_i32_e32 v1, 31, v1
	v_mad_u32_u24 v43, v3, 20, v20
	v_xor_b32_e32 v2, vcc_hi, v1
	v_xor_b32_e32 v1, vcc_lo, v1
	; wave barrier
	ds_read_b32 v42, v43 offset:16
	v_and_b32_e32 v44, v44, v45
	v_and_b32_e32 v1, v4, v1
	;; [unrolled: 1-line block ×3, first 2 shown]
	v_mbcnt_lo_u32_b32 v3, v1, 0
	v_mbcnt_hi_u32_b32 v44, v2, v3
	v_cmp_ne_u64_e32 vcc, 0, v[1:2]
	v_cmp_eq_u32_e64 s[0:1], 0, v44
	s_and_b64 s[2:3], vcc, s[0:1]
	; wave barrier
	s_and_saveexec_b64 s[0:1], s[2:3]
	s_cbranch_execz .LBB198_169
; %bb.168:
	v_bcnt_u32_b32 v1, v1, 0
	v_bcnt_u32_b32 v1, v2, v1
	s_waitcnt lgkmcnt(0)
	v_add_u32_e32 v1, v42, v1
	ds_write_b32 v43, v1 offset:16
.LBB198_169:
	s_or_b64 exec, exec, s[0:1]
	v_mov_b32_e32 v4, 0xffff8000
	v_cmp_lt_i16_e32 vcc, -1, v34
	v_cndmask_b32_e32 v1, -1, v4, vcc
	v_xor_b32_e32 v34, v1, v34
	s_movk_i32 s2, 0x7fff
	v_cmp_ne_u16_e32 vcc, s2, v34
	v_cndmask_b32_e32 v1, v4, v34, vcc
	v_lshrrev_b32_sdwa v1, s68, v1 dst_sel:DWORD dst_unused:UNUSED_PAD src0_sel:DWORD src1_sel:WORD_0
	v_and_b32_e32 v3, s9, v1
	v_and_b32_e32 v2, 1, v3
	v_add_co_u32_e32 v47, vcc, -1, v2
	v_addc_co_u32_e64 v48, s[0:1], 0, -1, vcc
	v_cmp_ne_u32_e32 vcc, 0, v2
	v_xor_b32_e32 v2, vcc_hi, v48
	v_mov_b32_e32 v1, 0
	v_and_b32_e32 v48, exec_hi, v2
	v_lshlrev_b32_e32 v2, 30, v3
	v_xor_b32_e32 v47, vcc_lo, v47
	v_cmp_gt_i64_e32 vcc, 0, v[1:2]
	v_not_b32_e32 v2, v2
	v_ashrrev_i32_e32 v2, 31, v2
	v_and_b32_e32 v47, exec_lo, v47
	v_xor_b32_e32 v49, vcc_hi, v2
	v_xor_b32_e32 v2, vcc_lo, v2
	v_and_b32_e32 v47, v47, v2
	v_lshlrev_b32_e32 v2, 29, v3
	v_cmp_gt_i64_e32 vcc, 0, v[1:2]
	v_not_b32_e32 v2, v2
	v_ashrrev_i32_e32 v2, 31, v2
	v_and_b32_e32 v48, v48, v49
	v_xor_b32_e32 v49, vcc_hi, v2
	v_xor_b32_e32 v2, vcc_lo, v2
	v_and_b32_e32 v47, v47, v2
	v_lshlrev_b32_e32 v2, 28, v3
	v_cmp_gt_i64_e32 vcc, 0, v[1:2]
	v_not_b32_e32 v2, v2
	v_ashrrev_i32_e32 v2, 31, v2
	v_and_b32_e32 v48, v48, v49
	;; [unrolled: 8-line block ×5, first 2 shown]
	v_xor_b32_e32 v49, vcc_hi, v2
	v_xor_b32_e32 v2, vcc_lo, v2
	v_and_b32_e32 v47, v47, v2
	v_lshlrev_b32_e32 v2, 24, v3
	v_cmp_gt_i64_e32 vcc, 0, v[1:2]
	v_not_b32_e32 v2, v2
	v_ashrrev_i32_e32 v2, 31, v2
	v_mad_u32_u24 v46, v3, 20, v20
	v_xor_b32_e32 v3, vcc_hi, v2
	v_xor_b32_e32 v2, vcc_lo, v2
	; wave barrier
	ds_read_b32 v45, v46 offset:16
	v_and_b32_e32 v48, v48, v49
	v_and_b32_e32 v2, v47, v2
	;; [unrolled: 1-line block ×3, first 2 shown]
	v_mbcnt_lo_u32_b32 v47, v2, 0
	v_mbcnt_hi_u32_b32 v48, v3, v47
	v_cmp_ne_u64_e32 vcc, 0, v[2:3]
	v_cmp_eq_u32_e64 s[0:1], 0, v48
	s_and_b64 s[4:5], vcc, s[0:1]
	; wave barrier
	s_and_saveexec_b64 s[0:1], s[4:5]
	s_cbranch_execz .LBB198_171
; %bb.170:
	v_bcnt_u32_b32 v2, v2, 0
	v_bcnt_u32_b32 v2, v3, v2
	s_waitcnt lgkmcnt(0)
	v_add_u32_e32 v2, v45, v2
	ds_write_b32 v46, v2 offset:16
.LBB198_171:
	s_or_b64 exec, exec, s[0:1]
	v_cmp_lt_i16_e32 vcc, -1, v28
	v_cndmask_b32_e32 v2, -1, v4, vcc
	v_xor_b32_e32 v47, v2, v28
	v_cmp_ne_u16_e32 vcc, s2, v47
	v_cndmask_b32_e32 v2, v4, v47, vcc
	v_lshrrev_b32_sdwa v2, s68, v2 dst_sel:DWORD dst_unused:UNUSED_PAD src0_sel:DWORD src1_sel:WORD_0
	v_and_b32_e32 v3, s9, v2
	v_and_b32_e32 v2, 1, v3
	v_add_co_u32_e32 v4, vcc, -1, v2
	v_addc_co_u32_e64 v50, s[0:1], 0, -1, vcc
	v_cmp_ne_u32_e32 vcc, 0, v2
	v_xor_b32_e32 v2, vcc_hi, v50
	v_and_b32_e32 v50, exec_hi, v2
	v_lshlrev_b32_e32 v2, 30, v3
	v_xor_b32_e32 v4, vcc_lo, v4
	v_cmp_gt_i64_e32 vcc, 0, v[1:2]
	v_not_b32_e32 v2, v2
	v_ashrrev_i32_e32 v2, 31, v2
	v_and_b32_e32 v4, exec_lo, v4
	v_xor_b32_e32 v51, vcc_hi, v2
	v_xor_b32_e32 v2, vcc_lo, v2
	v_and_b32_e32 v4, v4, v2
	v_lshlrev_b32_e32 v2, 29, v3
	v_cmp_gt_i64_e32 vcc, 0, v[1:2]
	v_not_b32_e32 v2, v2
	v_ashrrev_i32_e32 v2, 31, v2
	v_and_b32_e32 v50, v50, v51
	v_xor_b32_e32 v51, vcc_hi, v2
	v_xor_b32_e32 v2, vcc_lo, v2
	v_and_b32_e32 v4, v4, v2
	v_lshlrev_b32_e32 v2, 28, v3
	v_cmp_gt_i64_e32 vcc, 0, v[1:2]
	v_not_b32_e32 v2, v2
	v_ashrrev_i32_e32 v2, 31, v2
	v_and_b32_e32 v50, v50, v51
	;; [unrolled: 8-line block ×5, first 2 shown]
	v_xor_b32_e32 v51, vcc_hi, v2
	v_xor_b32_e32 v2, vcc_lo, v2
	v_and_b32_e32 v4, v4, v2
	v_lshlrev_b32_e32 v2, 24, v3
	v_cmp_gt_i64_e32 vcc, 0, v[1:2]
	v_not_b32_e32 v1, v2
	v_ashrrev_i32_e32 v1, 31, v1
	v_mad_u32_u24 v28, v3, 20, v20
	v_xor_b32_e32 v2, vcc_hi, v1
	v_xor_b32_e32 v1, vcc_lo, v1
	; wave barrier
	ds_read_b32 v49, v28 offset:16
	v_and_b32_e32 v50, v50, v51
	v_and_b32_e32 v1, v4, v1
	;; [unrolled: 1-line block ×3, first 2 shown]
	v_mbcnt_lo_u32_b32 v3, v1, 0
	v_mbcnt_hi_u32_b32 v51, v2, v3
	v_cmp_ne_u64_e32 vcc, 0, v[1:2]
	v_cmp_eq_u32_e64 s[0:1], 0, v51
	s_and_b64 s[2:3], vcc, s[0:1]
	; wave barrier
	s_and_saveexec_b64 s[0:1], s[2:3]
	s_cbranch_execz .LBB198_173
; %bb.172:
	v_bcnt_u32_b32 v1, v1, 0
	v_bcnt_u32_b32 v1, v2, v1
	s_waitcnt lgkmcnt(0)
	v_add_u32_e32 v1, v49, v1
	ds_write_b32 v28, v1 offset:16
.LBB198_173:
	s_or_b64 exec, exec, s[0:1]
	v_mov_b32_e32 v4, 0xffff8000
	v_cmp_lt_i16_e32 vcc, -1, v24
	v_cndmask_b32_e32 v1, -1, v4, vcc
	v_xor_b32_e32 v50, v1, v24
	s_movk_i32 s2, 0x7fff
	v_cmp_ne_u16_e32 vcc, s2, v50
	v_cndmask_b32_e32 v1, v4, v50, vcc
	v_lshrrev_b32_sdwa v1, s68, v1 dst_sel:DWORD dst_unused:UNUSED_PAD src0_sel:DWORD src1_sel:WORD_0
	v_and_b32_e32 v3, s9, v1
	v_and_b32_e32 v2, 1, v3
	v_add_co_u32_e32 v53, vcc, -1, v2
	v_addc_co_u32_e64 v54, s[0:1], 0, -1, vcc
	v_cmp_ne_u32_e32 vcc, 0, v2
	v_xor_b32_e32 v2, vcc_hi, v54
	v_mov_b32_e32 v1, 0
	v_and_b32_e32 v54, exec_hi, v2
	v_lshlrev_b32_e32 v2, 30, v3
	v_xor_b32_e32 v53, vcc_lo, v53
	v_cmp_gt_i64_e32 vcc, 0, v[1:2]
	v_not_b32_e32 v2, v2
	v_ashrrev_i32_e32 v2, 31, v2
	v_and_b32_e32 v53, exec_lo, v53
	v_xor_b32_e32 v55, vcc_hi, v2
	v_xor_b32_e32 v2, vcc_lo, v2
	v_and_b32_e32 v53, v53, v2
	v_lshlrev_b32_e32 v2, 29, v3
	v_cmp_gt_i64_e32 vcc, 0, v[1:2]
	v_not_b32_e32 v2, v2
	v_ashrrev_i32_e32 v2, 31, v2
	v_and_b32_e32 v54, v54, v55
	v_xor_b32_e32 v55, vcc_hi, v2
	v_xor_b32_e32 v2, vcc_lo, v2
	v_and_b32_e32 v53, v53, v2
	v_lshlrev_b32_e32 v2, 28, v3
	v_cmp_gt_i64_e32 vcc, 0, v[1:2]
	v_not_b32_e32 v2, v2
	v_ashrrev_i32_e32 v2, 31, v2
	v_and_b32_e32 v54, v54, v55
	;; [unrolled: 8-line block ×5, first 2 shown]
	v_xor_b32_e32 v55, vcc_hi, v2
	v_xor_b32_e32 v2, vcc_lo, v2
	v_and_b32_e32 v53, v53, v2
	v_lshlrev_b32_e32 v2, 24, v3
	v_cmp_gt_i64_e32 vcc, 0, v[1:2]
	v_not_b32_e32 v2, v2
	v_ashrrev_i32_e32 v2, 31, v2
	v_mad_u32_u24 v24, v3, 20, v20
	v_xor_b32_e32 v3, vcc_hi, v2
	v_xor_b32_e32 v2, vcc_lo, v2
	; wave barrier
	ds_read_b32 v52, v24 offset:16
	v_and_b32_e32 v54, v54, v55
	v_and_b32_e32 v2, v53, v2
	;; [unrolled: 1-line block ×3, first 2 shown]
	v_mbcnt_lo_u32_b32 v53, v2, 0
	v_mbcnt_hi_u32_b32 v54, v3, v53
	v_cmp_ne_u64_e32 vcc, 0, v[2:3]
	v_cmp_eq_u32_e64 s[0:1], 0, v54
	s_and_b64 s[4:5], vcc, s[0:1]
	; wave barrier
	s_and_saveexec_b64 s[0:1], s[4:5]
	s_cbranch_execz .LBB198_175
; %bb.174:
	v_bcnt_u32_b32 v2, v2, 0
	v_bcnt_u32_b32 v2, v3, v2
	s_waitcnt lgkmcnt(0)
	v_add_u32_e32 v2, v52, v2
	ds_write_b32 v24, v2 offset:16
.LBB198_175:
	s_or_b64 exec, exec, s[0:1]
	v_cmp_lt_i16_e32 vcc, -1, v17
	v_cndmask_b32_e32 v2, -1, v4, vcc
	v_xor_b32_e32 v53, v2, v17
	v_cmp_ne_u16_e32 vcc, s2, v53
	v_cndmask_b32_e32 v2, v4, v53, vcc
	v_lshrrev_b32_sdwa v2, s68, v2 dst_sel:DWORD dst_unused:UNUSED_PAD src0_sel:DWORD src1_sel:WORD_0
	v_and_b32_e32 v3, s9, v2
	v_and_b32_e32 v2, 1, v3
	v_add_co_u32_e32 v4, vcc, -1, v2
	v_mad_u32_u24 v17, v3, 20, v20
	v_addc_co_u32_e64 v20, s[0:1], 0, -1, vcc
	v_cmp_ne_u32_e32 vcc, 0, v2
	v_xor_b32_e32 v2, vcc_hi, v20
	v_and_b32_e32 v20, exec_hi, v2
	v_lshlrev_b32_e32 v2, 30, v3
	v_xor_b32_e32 v4, vcc_lo, v4
	v_cmp_gt_i64_e32 vcc, 0, v[1:2]
	v_not_b32_e32 v2, v2
	v_ashrrev_i32_e32 v2, 31, v2
	v_and_b32_e32 v4, exec_lo, v4
	v_xor_b32_e32 v56, vcc_hi, v2
	v_xor_b32_e32 v2, vcc_lo, v2
	v_and_b32_e32 v4, v4, v2
	v_lshlrev_b32_e32 v2, 29, v3
	v_cmp_gt_i64_e32 vcc, 0, v[1:2]
	v_not_b32_e32 v2, v2
	v_ashrrev_i32_e32 v2, 31, v2
	v_and_b32_e32 v20, v20, v56
	v_xor_b32_e32 v56, vcc_hi, v2
	v_xor_b32_e32 v2, vcc_lo, v2
	v_and_b32_e32 v4, v4, v2
	v_lshlrev_b32_e32 v2, 28, v3
	v_cmp_gt_i64_e32 vcc, 0, v[1:2]
	v_not_b32_e32 v2, v2
	v_ashrrev_i32_e32 v2, 31, v2
	v_and_b32_e32 v20, v20, v56
	v_xor_b32_e32 v56, vcc_hi, v2
	v_xor_b32_e32 v2, vcc_lo, v2
	v_and_b32_e32 v4, v4, v2
	v_lshlrev_b32_e32 v2, 27, v3
	v_cmp_gt_i64_e32 vcc, 0, v[1:2]
	v_not_b32_e32 v2, v2
	v_ashrrev_i32_e32 v2, 31, v2
	v_and_b32_e32 v20, v20, v56
	v_xor_b32_e32 v56, vcc_hi, v2
	v_xor_b32_e32 v2, vcc_lo, v2
	v_and_b32_e32 v4, v4, v2
	v_lshlrev_b32_e32 v2, 26, v3
	v_cmp_gt_i64_e32 vcc, 0, v[1:2]
	v_not_b32_e32 v2, v2
	v_ashrrev_i32_e32 v2, 31, v2
	v_and_b32_e32 v20, v20, v56
	v_xor_b32_e32 v56, vcc_hi, v2
	v_xor_b32_e32 v2, vcc_lo, v2
	v_and_b32_e32 v4, v4, v2
	v_lshlrev_b32_e32 v2, 25, v3
	v_cmp_gt_i64_e32 vcc, 0, v[1:2]
	v_not_b32_e32 v2, v2
	v_ashrrev_i32_e32 v2, 31, v2
	v_and_b32_e32 v20, v20, v56
	v_xor_b32_e32 v56, vcc_hi, v2
	v_xor_b32_e32 v2, vcc_lo, v2
	v_and_b32_e32 v4, v4, v2
	v_lshlrev_b32_e32 v2, 24, v3
	v_cmp_gt_i64_e32 vcc, 0, v[1:2]
	v_not_b32_e32 v1, v2
	v_ashrrev_i32_e32 v1, 31, v1
	v_xor_b32_e32 v2, vcc_hi, v1
	v_xor_b32_e32 v1, vcc_lo, v1
	; wave barrier
	ds_read_b32 v55, v17 offset:16
	v_and_b32_e32 v20, v20, v56
	v_and_b32_e32 v1, v4, v1
	v_and_b32_e32 v2, v20, v2
	v_mbcnt_lo_u32_b32 v3, v1, 0
	v_mbcnt_hi_u32_b32 v56, v2, v3
	v_cmp_ne_u64_e32 vcc, 0, v[1:2]
	v_cmp_eq_u32_e64 s[0:1], 0, v56
	s_and_b64 s[2:3], vcc, s[0:1]
	; wave barrier
	s_and_saveexec_b64 s[0:1], s[2:3]
	s_cbranch_execz .LBB198_177
; %bb.176:
	v_bcnt_u32_b32 v1, v1, 0
	v_bcnt_u32_b32 v1, v2, v1
	s_waitcnt lgkmcnt(0)
	v_add_u32_e32 v1, v55, v1
	ds_write_b32 v17, v1 offset:16
.LBB198_177:
	s_or_b64 exec, exec, s[0:1]
	; wave barrier
	s_waitcnt lgkmcnt(0)
	s_barrier
	ds_read2_b32 v[3:4], v6 offset0:4 offset1:5
	ds_read2_b32 v[1:2], v6 offset0:6 offset1:7
	ds_read_b32 v20, v6 offset:32
	v_min_u32_e32 v9, 0xc0, v9
	v_or_b32_e32 v9, 63, v9
	s_waitcnt lgkmcnt(1)
	v_add3_u32 v57, v4, v3, v1
	s_waitcnt lgkmcnt(0)
	v_add3_u32 v20, v57, v2, v20
	v_and_b32_e32 v57, 15, v8
	v_cmp_ne_u32_e32 vcc, 0, v57
	v_mov_b32_dpp v58, v20 row_shr:1 row_mask:0xf bank_mask:0xf
	v_cndmask_b32_e32 v58, 0, v58, vcc
	v_add_u32_e32 v20, v58, v20
	v_cmp_lt_u32_e32 vcc, 1, v57
	s_nop 0
	v_mov_b32_dpp v58, v20 row_shr:2 row_mask:0xf bank_mask:0xf
	v_cndmask_b32_e32 v58, 0, v58, vcc
	v_add_u32_e32 v20, v20, v58
	v_cmp_lt_u32_e32 vcc, 3, v57
	s_nop 0
	;; [unrolled: 5-line block ×3, first 2 shown]
	v_mov_b32_dpp v58, v20 row_shr:8 row_mask:0xf bank_mask:0xf
	v_cndmask_b32_e32 v57, 0, v58, vcc
	v_add_u32_e32 v20, v20, v57
	v_bfe_i32 v58, v8, 4, 1
	v_cmp_lt_u32_e32 vcc, 31, v8
	v_mov_b32_dpp v57, v20 row_bcast:15 row_mask:0xf bank_mask:0xf
	v_and_b32_e32 v57, v58, v57
	v_add_u32_e32 v20, v20, v57
	s_nop 1
	v_mov_b32_dpp v57, v20 row_bcast:31 row_mask:0xf bank_mask:0xf
	v_cndmask_b32_e32 v57, 0, v57, vcc
	v_add_u32_e32 v20, v20, v57
	v_lshrrev_b32_e32 v57, 6, v0
	v_cmp_eq_u32_e32 vcc, v0, v9
	s_and_saveexec_b64 s[0:1], vcc
; %bb.178:
	v_lshlrev_b32_e32 v9, 2, v57
	ds_write_b32 v9, v20
; %bb.179:
	s_or_b64 exec, exec, s[0:1]
	v_cmp_gt_u32_e32 vcc, 4, v0
	s_waitcnt lgkmcnt(0)
	s_barrier
	s_and_saveexec_b64 s[0:1], vcc
	s_cbranch_execz .LBB198_181
; %bb.180:
	v_lshlrev_b32_e32 v9, 2, v0
	ds_read_b32 v58, v9
	v_and_b32_e32 v59, 3, v8
	v_cmp_ne_u32_e32 vcc, 0, v59
	s_waitcnt lgkmcnt(0)
	v_mov_b32_dpp v60, v58 row_shr:1 row_mask:0xf bank_mask:0xf
	v_cndmask_b32_e32 v60, 0, v60, vcc
	v_add_u32_e32 v58, v60, v58
	v_cmp_lt_u32_e32 vcc, 1, v59
	s_nop 0
	v_mov_b32_dpp v60, v58 row_shr:2 row_mask:0xf bank_mask:0xf
	v_cndmask_b32_e32 v59, 0, v60, vcc
	v_add_u32_e32 v58, v58, v59
	ds_write_b32 v9, v58
.LBB198_181:
	s_or_b64 exec, exec, s[0:1]
	v_cmp_lt_u32_e32 vcc, 63, v0
	v_mov_b32_e32 v9, 0
	s_waitcnt lgkmcnt(0)
	s_barrier
	s_and_saveexec_b64 s[0:1], vcc
; %bb.182:
	v_lshl_add_u32 v9, v57, 2, -4
	ds_read_b32 v9, v9
; %bb.183:
	s_or_b64 exec, exec, s[0:1]
	v_add_u32_e32 v57, -1, v8
	v_and_b32_e32 v58, 64, v8
	v_cmp_lt_i32_e32 vcc, v57, v58
	v_cndmask_b32_e32 v57, v57, v8, vcc
	s_waitcnt lgkmcnt(0)
	v_add_u32_e32 v20, v9, v20
	v_lshlrev_b32_e32 v57, 2, v57
	ds_bpermute_b32 v20, v57, v20
	v_cmp_eq_u32_e32 vcc, 0, v8
	s_movk_i32 s0, 0x100
	s_waitcnt lgkmcnt(0)
	v_cndmask_b32_e32 v9, v20, v9, vcc
	v_cmp_ne_u32_e32 vcc, 0, v0
	v_cndmask_b32_e32 v9, 0, v9, vcc
	v_add_u32_e32 v3, v9, v3
	v_add_u32_e32 v4, v3, v4
	;; [unrolled: 1-line block ×4, first 2 shown]
	ds_write2_b32 v6, v9, v3 offset0:4 offset1:5
	ds_write2_b32 v6, v4, v1 offset0:6 offset1:7
	ds_write_b32 v6, v2 offset:32
	s_waitcnt lgkmcnt(0)
	s_barrier
	ds_read_b32 v2, v43 offset:16
	ds_read_b32 v3, v46 offset:16
	;; [unrolled: 1-line block ×13, first 2 shown]
	v_add_u32_e32 v6, 1, v0
	v_cmp_ne_u32_e32 vcc, s0, v6
	v_mov_b32_e32 v1, 0xc00
	s_and_saveexec_b64 s[0:1], vcc
; %bb.184:
	v_mul_u32_u24_e32 v1, 20, v6
	ds_read_b32 v1, v1 offset:16
; %bb.185:
	s_or_b64 exec, exec, s[0:1]
	s_waitcnt lgkmcnt(7)
	v_add_u32_e32 v28, v10, v11
	s_waitcnt lgkmcnt(6)
	v_add3_u32 v25, v15, v13, v14
	s_waitcnt lgkmcnt(5)
	v_add3_u32 v24, v22, v18, v17
	v_add3_u32 v17, v44, v42, v2
	v_lshlrev_b32_e32 v2, 1, v28
	s_waitcnt lgkmcnt(0)
	s_barrier
	ds_write_b16 v2, v5 offset:2048
	v_lshlrev_b32_e32 v2, 1, v25
	v_add3_u32 v22, v26, v23, v19
	ds_write_b16 v2, v12 offset:2048
	v_lshlrev_b32_e32 v2, 1, v24
	v_add3_u32 v20, v32, v29, v20
	;; [unrolled: 3-line block ×4, first 2 shown]
	ds_write_b16 v2, v27 offset:2048
	v_lshlrev_b32_e32 v2, 1, v19
	ds_write_b16 v2, v31 offset:2048
	v_lshlrev_b32_e32 v2, 1, v18
	v_add3_u32 v15, v48, v45, v3
	ds_write_b16 v2, v36 offset:2048
	v_lshlrev_b32_e32 v2, 1, v17
	v_add3_u32 v14, v51, v49, v4
	;; [unrolled: 3-line block ×4, first 2 shown]
	ds_write_b16 v2, v47 offset:2048
	v_lshlrev_b32_e32 v2, 1, v13
	ds_write_b16 v2, v50 offset:2048
	v_lshlrev_b32_e32 v2, 1, v11
	ds_write_b16 v2, v53 offset:2048
	v_sub_u32_e32 v10, v1, v9
	v_lshl_or_b32 v1, s6, 8, v0
	v_mov_b32_e32 v2, 0
	v_lshlrev_b64 v[3:4], 2, v[1:2]
	v_mov_b32_e32 v12, s73
	v_add_co_u32_e32 v3, vcc, s72, v3
	v_addc_co_u32_e32 v4, vcc, v12, v4, vcc
	v_or_b32_e32 v1, 2.0, v10
	s_mov_b64 s[0:1], 0
	s_brev_b32 s10, -4
	v_mov_b32_e32 v16, 0
	s_waitcnt lgkmcnt(0)
	s_barrier
	global_store_dword v[3:4], v1, off
                                        ; implicit-def: $sgpr2_sgpr3
	s_branch .LBB198_188
.LBB198_186:                            ;   in Loop: Header=BB198_188 Depth=1
	s_or_b64 exec, exec, s[4:5]
.LBB198_187:                            ;   in Loop: Header=BB198_188 Depth=1
	s_or_b64 exec, exec, s[2:3]
	v_and_b32_e32 v5, 0x3fffffff, v1
	v_add_u32_e32 v16, v5, v16
	v_cmp_gt_i32_e64 s[2:3], -2.0, v1
	s_and_b64 s[4:5], exec, s[2:3]
	s_or_b64 s[0:1], s[4:5], s[0:1]
	s_andn2_b64 exec, exec, s[0:1]
	s_cbranch_execz .LBB198_193
.LBB198_188:                            ; =>This Loop Header: Depth=1
                                        ;     Child Loop BB198_191 Depth 2
	s_or_b64 s[2:3], s[2:3], exec
	s_cmp_eq_u32 s7, 0
	s_cbranch_scc1 .LBB198_192
; %bb.189:                              ;   in Loop: Header=BB198_188 Depth=1
	s_add_i32 s7, s7, -1
	v_lshl_or_b32 v1, s7, 8, v0
	v_lshlrev_b64 v[5:6], 2, v[1:2]
	v_add_co_u32_e32 v5, vcc, s72, v5
	v_addc_co_u32_e32 v6, vcc, v12, v6, vcc
	global_load_dword v1, v[5:6], off glc
	s_waitcnt vmcnt(0)
	v_cmp_gt_u32_e32 vcc, 2.0, v1
	s_and_saveexec_b64 s[2:3], vcc
	s_cbranch_execz .LBB198_187
; %bb.190:                              ;   in Loop: Header=BB198_188 Depth=1
	s_mov_b64 s[4:5], 0
.LBB198_191:                            ;   Parent Loop BB198_188 Depth=1
                                        ; =>  This Inner Loop Header: Depth=2
	global_load_dword v1, v[5:6], off glc
	s_waitcnt vmcnt(0)
	v_cmp_lt_u32_e32 vcc, s10, v1
	s_or_b64 s[4:5], vcc, s[4:5]
	s_andn2_b64 exec, exec, s[4:5]
	s_cbranch_execnz .LBB198_191
	s_branch .LBB198_186
.LBB198_192:                            ;   in Loop: Header=BB198_188 Depth=1
                                        ; implicit-def: $sgpr7
	s_and_b64 s[4:5], exec, s[2:3]
	s_or_b64 s[0:1], s[4:5], s[0:1]
	s_andn2_b64 exec, exec, s[0:1]
	s_cbranch_execnz .LBB198_188
.LBB198_193:
	s_or_b64 exec, exec, s[0:1]
	v_add_u32_e32 v2, v16, v10
	v_or_b32_e32 v2, 0x80000000, v2
	v_lshlrev_b32_e32 v1, 3, v0
	global_store_dword v[3:4], v2, off
	global_load_dwordx2 v[2:3], v1, s[64:65]
	v_sub_co_u32_e32 v4, vcc, v16, v9
	v_subb_co_u32_e64 v5, s[0:1], 0, 0, vcc
	s_movk_i32 s0, 0x7fff
	v_mad_i32_i24 v47, v0, -6, v1
	v_mov_b32_e32 v6, 0xffff8000
	v_mov_b32_e32 v12, s59
	;; [unrolled: 1-line block ×4, first 2 shown]
	v_lshlrev_b32_e32 v16, 1, v0
	v_or_b32_e32 v55, 0x800, v0
	v_or_b32_e32 v56, 0x900, v0
	;; [unrolled: 1-line block ×4, first 2 shown]
	v_mad_u32_u24 v0, v0, 6, v47
	s_waitcnt vmcnt(0)
	v_add_co_u32_e32 v2, vcc, v4, v2
	v_addc_co_u32_e32 v3, vcc, v5, v3, vcc
	ds_write_b64 v1, v[2:3]
	s_waitcnt lgkmcnt(0)
	s_barrier
	ds_read_u16 v2, v47 offset:2048
	ds_read_u16 v3, v47 offset:2560
	;; [unrolled: 1-line block ×8, first 2 shown]
	s_waitcnt lgkmcnt(7)
	v_cmp_ne_u16_e32 vcc, s0, v2
	v_cndmask_b32_e32 v5, v6, v2, vcc
	v_cmp_lt_i16_e32 vcc, -1, v2
	v_cndmask_b32_e64 v26, v6, -1, vcc
	s_waitcnt lgkmcnt(6)
	v_cmp_ne_u16_e32 vcc, s0, v3
	v_cndmask_b32_e32 v27, v6, v3, vcc
	v_cmp_lt_i16_e32 vcc, -1, v3
	v_cndmask_b32_e64 v29, v6, -1, vcc
	;; [unrolled: 5-line block ×3, first 2 shown]
	s_waitcnt lgkmcnt(4)
	v_cmp_ne_u16_e32 vcc, s0, v33
	v_cndmask_b32_e32 v32, v6, v33, vcc
	s_waitcnt lgkmcnt(3)
	v_cmp_ne_u16_e32 vcc, s0, v34
	v_cndmask_b32_e32 v38, v6, v34, vcc
	v_xor_b32_e32 v39, v26, v2
	v_lshrrev_b32_sdwa v2, s68, v27 dst_sel:DWORD dst_unused:UNUSED_PAD src0_sel:DWORD src1_sel:WORD_0
	v_lshrrev_b32_sdwa v5, s68, v5 dst_sel:DWORD dst_unused:UNUSED_PAD src0_sel:DWORD src1_sel:WORD_0
	v_xor_b32_e32 v40, v29, v3
	v_lshrrev_b32_sdwa v3, s68, v30 dst_sel:DWORD dst_unused:UNUSED_PAD src0_sel:DWORD src1_sel:WORD_0
	v_xor_b32_e32 v41, v31, v4
	v_lshrrev_b32_sdwa v4, s68, v32 dst_sel:DWORD dst_unused:UNUSED_PAD src0_sel:DWORD src1_sel:WORD_0
	v_lshrrev_b32_sdwa v26, s68, v38 dst_sel:DWORD dst_unused:UNUSED_PAD src0_sel:DWORD src1_sel:WORD_0
	v_and_b32_e32 v2, s9, v2
	v_and_b32_e32 v5, s9, v5
	;; [unrolled: 1-line block ×5, first 2 shown]
	v_lshlrev_b32_e32 v49, 3, v2
	v_lshlrev_b32_e32 v48, 3, v5
	;; [unrolled: 1-line block ×5, first 2 shown]
	ds_read_b64 v[2:3], v49
	ds_read_b64 v[4:5], v50
	;; [unrolled: 1-line block ×5, first 2 shown]
	ds_read_u16 v38, v47 offset:6144
	ds_read_u16 v42, v47 offset:6656
	;; [unrolled: 1-line block ×4, first 2 shown]
	s_waitcnt lgkmcnt(4)
	v_lshlrev_b64 v[31:32], 1, v[31:32]
	v_lshlrev_b64 v[2:3], 1, v[2:3]
	v_add_co_u32_e32 v31, vcc, s58, v31
	v_addc_co_u32_e32 v12, vcc, v12, v32, vcc
	v_lshlrev_b64 v[4:5], 1, v[4:5]
	v_add_co_u32_e32 v32, vcc, s58, v2
	v_addc_co_u32_e32 v21, vcc, v21, v3, vcc
	v_add_co_u32_e32 v45, vcc, s58, v4
	v_addc_co_u32_e32 v23, vcc, v23, v5, vcc
	;; [unrolled: 2-line block ×4, first 2 shown]
	global_store_short v[2:3], v39, off
	global_store_short v[4:5], v40, off offset:512
	v_add_co_u32_e32 v2, vcc, v45, v16
	v_addc_co_u32_e32 v3, vcc, 0, v23, vcc
	v_cmp_lt_i16_e32 vcc, -1, v33
	global_store_short v[2:3], v41, off offset:1024
	v_cndmask_b32_e64 v2, v6, -1, vcc
	v_xor_b32_e32 v4, v2, v33
	v_lshlrev_b64 v[2:3], 1, v[26:27]
	v_mov_b32_e32 v5, s59
	v_add_co_u32_e32 v2, vcc, s58, v2
	v_addc_co_u32_e32 v3, vcc, v5, v3, vcc
	v_add_co_u32_e32 v2, vcc, v2, v16
	v_addc_co_u32_e32 v3, vcc, 0, v3, vcc
	v_cmp_lt_i16_e32 vcc, -1, v34
	global_store_short v[2:3], v4, off offset:1536
	v_cndmask_b32_e64 v2, v6, -1, vcc
	v_xor_b32_e32 v4, v2, v34
	v_lshlrev_b64 v[2:3], 1, v[29:30]
	v_mov_b32_e32 v31, s59
	v_add_co_u32_e32 v2, vcc, s58, v2
	v_addc_co_u32_e32 v3, vcc, v5, v3, vcc
	v_add_co_u32_e32 v2, vcc, v2, v16
	v_addc_co_u32_e32 v3, vcc, 0, v3, vcc
	v_cmp_ne_u16_e32 vcc, s0, v35
	global_store_short v[2:3], v4, off offset:2048
	v_cndmask_b32_e32 v2, v6, v35, vcc
	v_lshrrev_b32_sdwa v2, s68, v2 dst_sel:DWORD dst_unused:UNUSED_PAD src0_sel:DWORD src1_sel:WORD_0
	v_and_b32_e32 v2, s9, v2
	v_cmp_lt_i16_e32 vcc, -1, v35
	v_cndmask_b32_e64 v3, v6, -1, vcc
	v_lshlrev_b32_e32 v21, 3, v2
	v_xor_b32_e32 v12, v3, v35
	ds_read_b64 v[2:3], v21
	v_cmp_ne_u16_e32 vcc, s0, v36
	v_cndmask_b32_e32 v4, v6, v36, vcc
	v_lshrrev_b32_sdwa v4, s68, v4 dst_sel:DWORD dst_unused:UNUSED_PAD src0_sel:DWORD src1_sel:WORD_0
	v_and_b32_e32 v4, s9, v4
	v_cmp_ne_u16_e32 vcc, s0, v37
	v_lshlrev_b32_e32 v23, 3, v4
	v_cndmask_b32_e32 v4, v6, v37, vcc
	v_lshrrev_b32_sdwa v4, s68, v4 dst_sel:DWORD dst_unused:UNUSED_PAD src0_sel:DWORD src1_sel:WORD_0
	s_waitcnt lgkmcnt(0)
	v_lshlrev_b64 v[2:3], 1, v[2:3]
	v_and_b32_e32 v4, s9, v4
	v_cmp_ne_u16_e32 vcc, s0, v38
	v_lshlrev_b32_e32 v53, 3, v4
	v_cndmask_b32_e32 v4, v6, v38, vcc
	v_add_co_u32_e32 v2, vcc, s58, v2
	v_lshrrev_b32_sdwa v4, s68, v4 dst_sel:DWORD dst_unused:UNUSED_PAD src0_sel:DWORD src1_sel:WORD_0
	v_addc_co_u32_e32 v3, vcc, v31, v3, vcc
	v_and_b32_e32 v4, s9, v4
	v_add_co_u32_e32 v2, vcc, v2, v16
	v_lshlrev_b32_e32 v54, 3, v4
	ds_read_b64 v[4:5], v23
	ds_read_b64 v[26:27], v53
	;; [unrolled: 1-line block ×3, first 2 shown]
	v_addc_co_u32_e32 v3, vcc, 0, v3, vcc
	v_cmp_lt_i16_e32 vcc, -1, v36
	global_store_short v[2:3], v12, off offset:2560
	v_cndmask_b32_e64 v2, v6, -1, vcc
	v_xor_b32_e32 v12, v2, v36
	s_waitcnt lgkmcnt(2)
	v_lshlrev_b64 v[2:3], 1, v[4:5]
	v_mov_b32_e32 v4, s59
	v_add_co_u32_e32 v2, vcc, s58, v2
	v_addc_co_u32_e32 v3, vcc, v4, v3, vcc
	v_add_co_u32_e32 v2, vcc, v2, v16
	v_addc_co_u32_e32 v3, vcc, 0, v3, vcc
	v_cmp_lt_i16_e32 vcc, -1, v37
	global_store_short v[2:3], v12, off offset:3072
	v_cndmask_b32_e64 v2, v6, -1, vcc
	v_xor_b32_e32 v4, v2, v37
	s_waitcnt lgkmcnt(1)
	v_lshlrev_b64 v[2:3], 1, v[26:27]
	v_mov_b32_e32 v5, s59
	v_add_co_u32_e32 v2, vcc, s58, v2
	v_addc_co_u32_e32 v3, vcc, v5, v3, vcc
	v_add_co_u32_e32 v2, vcc, v2, v16
	v_addc_co_u32_e32 v3, vcc, 0, v3, vcc
	v_cmp_lt_i16_e32 vcc, -1, v38
	global_store_short v[2:3], v4, off offset:3584
	v_cndmask_b32_e64 v2, v6, -1, vcc
	v_xor_b32_e32 v4, v2, v38
	s_waitcnt lgkmcnt(0)
	v_lshlrev_b64 v[2:3], 1, v[29:30]
	v_mov_b32_e32 v16, s59
	v_add_co_u32_e32 v2, vcc, s58, v2
	v_addc_co_u32_e32 v3, vcc, v5, v3, vcc
	v_lshlrev_b32_e32 v5, 1, v55
	v_add_co_u32_e32 v2, vcc, v2, v5
	v_addc_co_u32_e32 v3, vcc, 0, v3, vcc
	v_cmp_ne_u16_e32 vcc, s0, v42
	global_store_short v[2:3], v4, off
	v_cndmask_b32_e32 v2, v6, v42, vcc
	v_lshrrev_b32_sdwa v2, s68, v2 dst_sel:DWORD dst_unused:UNUSED_PAD src0_sel:DWORD src1_sel:WORD_0
	v_and_b32_e32 v2, s9, v2
	v_cmp_lt_i16_e32 vcc, -1, v42
	v_cndmask_b32_e64 v3, v6, -1, vcc
	v_lshlrev_b32_e32 v57, 3, v2
	v_xor_b32_e32 v12, v3, v42
	ds_read_b64 v[2:3], v57
	v_cmp_ne_u16_e32 vcc, s0, v43
	v_cndmask_b32_e32 v4, v6, v43, vcc
	v_lshrrev_b32_sdwa v4, s68, v4 dst_sel:DWORD dst_unused:UNUSED_PAD src0_sel:DWORD src1_sel:WORD_0
	v_and_b32_e32 v4, s9, v4
	v_cmp_ne_u16_e32 vcc, s0, v44
	s_waitcnt lgkmcnt(0)
	v_lshlrev_b64 v[2:3], 1, v[2:3]
	v_lshlrev_b32_e32 v58, 3, v4
	v_cndmask_b32_e32 v4, v6, v44, vcc
	v_lshrrev_b32_sdwa v4, s68, v4 dst_sel:DWORD dst_unused:UNUSED_PAD src0_sel:DWORD src1_sel:WORD_0
	v_add_co_u32_e32 v2, vcc, s58, v2
	v_and_b32_e32 v4, s9, v4
	v_addc_co_u32_e32 v3, vcc, v16, v3, vcc
	v_lshlrev_b32_e32 v16, 1, v56
	v_lshlrev_b32_e32 v59, 3, v4
	ds_read_b64 v[4:5], v58
	ds_read_b64 v[26:27], v59
	v_add_co_u32_e32 v2, vcc, v2, v16
	v_addc_co_u32_e32 v3, vcc, 0, v3, vcc
	v_cmp_lt_i16_e32 vcc, -1, v43
	global_store_short v[2:3], v12, off
	v_cndmask_b32_e64 v2, v6, -1, vcc
	v_xor_b32_e32 v12, v2, v43
	s_waitcnt lgkmcnt(1)
	v_lshlrev_b64 v[2:3], 1, v[4:5]
	v_mov_b32_e32 v4, s59
	v_add_co_u32_e32 v2, vcc, s58, v2
	v_addc_co_u32_e32 v3, vcc, v4, v3, vcc
	v_lshlrev_b32_e32 v4, 1, v60
	v_add_co_u32_e32 v2, vcc, v2, v4
	v_addc_co_u32_e32 v3, vcc, 0, v3, vcc
	v_cmp_lt_i16_e32 vcc, -1, v44
	global_store_short v[2:3], v12, off
	v_cndmask_b32_e64 v2, v6, -1, vcc
	v_xor_b32_e32 v4, v2, v44
	s_waitcnt lgkmcnt(0)
	v_lshlrev_b64 v[2:3], 1, v[26:27]
	v_mov_b32_e32 v5, s59
	v_add_co_u32_e32 v2, vcc, s58, v2
	v_addc_co_u32_e32 v3, vcc, v5, v3, vcc
	v_lshlrev_b32_e32 v5, 1, v61
	v_add_co_u32_e32 v2, vcc, v2, v5
	s_lshl_b64 s[0:1], s[54:55], 3
	v_addc_co_u32_e32 v3, vcc, 0, v3, vcc
	s_add_u32 s0, s60, s0
	global_store_short v[2:3], v4, off
	s_addc_u32 s1, s61, s1
	v_lshlrev_b32_e32 v2, 3, v8
	v_mov_b32_e32 v3, s1
	v_add_co_u32_e32 v2, vcc, s0, v2
	v_addc_co_u32_e32 v3, vcc, 0, v3, vcc
	v_lshlrev_b32_e32 v4, 3, v7
	v_add_co_u32_e32 v2, vcc, v2, v4
	v_addc_co_u32_e32 v3, vcc, 0, v3, vcc
	global_load_dwordx2 v[4:5], v[2:3], off
	global_load_dwordx2 v[6:7], v[2:3], off offset:512
	global_load_dwordx2 v[26:27], v[2:3], off offset:1024
	;; [unrolled: 1-line block ×7, first 2 shown]
	s_movk_i32 s0, 0x1000
	v_add_co_u32_e32 v2, vcc, s0, v2
	v_addc_co_u32_e32 v3, vcc, 0, v3, vcc
	global_load_dwordx2 v[39:40], v[2:3], off
	global_load_dwordx2 v[41:42], v[2:3], off offset:512
	global_load_dwordx2 v[43:44], v[2:3], off offset:1024
	;; [unrolled: 1-line block ×3, first 2 shown]
	v_lshlrev_b32_e32 v2, 3, v28
	s_waitcnt vmcnt(0)
	s_barrier
	v_mov_b32_e32 v8, s63
	s_add_i32 s8, s8, -1
	s_cmp_lg_u32 s6, s8
	ds_write_b64 v2, v[4:5] offset:2048
	v_lshlrev_b32_e32 v2, 3, v25
	ds_write_b64 v2, v[6:7] offset:2048
	v_lshlrev_b32_e32 v2, 3, v24
	ds_write_b64 v2, v[26:27] offset:2048
	v_lshlrev_b32_e32 v2, 3, v22
	ds_write_b64 v2, v[29:30] offset:2048
	v_lshlrev_b32_e32 v2, 3, v20
	ds_write_b64 v2, v[31:32] offset:2048
	v_lshlrev_b32_e32 v2, 3, v19
	ds_write_b64 v2, v[33:34] offset:2048
	v_lshlrev_b32_e32 v2, 3, v18
	ds_write_b64 v2, v[35:36] offset:2048
	v_lshlrev_b32_e32 v2, 3, v17
	ds_write_b64 v2, v[37:38] offset:2048
	v_lshlrev_b32_e32 v2, 3, v15
	ds_write_b64 v2, v[39:40] offset:2048
	v_lshlrev_b32_e32 v2, 3, v14
	ds_write_b64 v2, v[41:42] offset:2048
	v_lshlrev_b32_e32 v2, 3, v13
	ds_write_b64 v2, v[43:44] offset:2048
	v_lshlrev_b32_e32 v2, 3, v11
	ds_write_b64 v2, v[45:46] offset:2048
	s_waitcnt lgkmcnt(0)
	s_barrier
	ds_read_b64 v[6:7], v48
	ds_read2st64_b64 v[2:5], v0 offset0:4 offset1:8
	ds_read_b64 v[11:12], v49
	ds_read_b64 v[13:14], v50
	;; [unrolled: 1-line block ×3, first 2 shown]
	s_waitcnt lgkmcnt(4)
	v_lshlrev_b64 v[6:7], 3, v[6:7]
	v_add_co_u32_e32 v6, vcc, s62, v6
	v_addc_co_u32_e32 v7, vcc, v8, v7, vcc
	v_add_co_u32_e32 v6, vcc, v6, v1
	v_addc_co_u32_e32 v7, vcc, 0, v7, vcc
	s_waitcnt lgkmcnt(3)
	global_store_dwordx2 v[6:7], v[2:3], off
	s_waitcnt lgkmcnt(2)
	v_lshlrev_b64 v[2:3], 3, v[11:12]
	v_mov_b32_e32 v6, s63
	v_add_co_u32_e32 v2, vcc, s62, v2
	v_addc_co_u32_e32 v3, vcc, v6, v3, vcc
	v_add_co_u32_e32 v2, vcc, v2, v1
	v_addc_co_u32_e32 v3, vcc, 0, v3, vcc
	s_waitcnt lgkmcnt(1)
	v_lshlrev_b64 v[6:7], 3, v[13:14]
	global_store_dwordx2 v[2:3], v[4:5], off offset:2048
	ds_read2st64_b64 v[2:5], v0 offset0:12 offset1:16
	v_add_co_u32_e32 v6, vcc, s62, v6
	v_addc_co_u32_e32 v7, vcc, v8, v7, vcc
	v_or_b32_e32 v8, 0x1000, v1
	v_add_co_u32_e32 v6, vcc, v6, v8
	v_addc_co_u32_e32 v7, vcc, 0, v7, vcc
	s_waitcnt lgkmcnt(0)
	global_store_dwordx2 v[6:7], v[2:3], off
	v_lshlrev_b64 v[2:3], 3, v[15:16]
	v_mov_b32_e32 v6, s63
	v_add_co_u32_e32 v2, vcc, s62, v2
	v_addc_co_u32_e32 v3, vcc, v6, v3, vcc
	v_or_b32_e32 v6, 0x1800, v1
	v_add_co_u32_e32 v2, vcc, v2, v6
	v_addc_co_u32_e32 v3, vcc, 0, v3, vcc
	global_store_dwordx2 v[2:3], v[4:5], off
	ds_read_b64 v[6:7], v52
	ds_read2st64_b64 v[2:5], v0 offset0:20 offset1:24
	ds_read_b64 v[11:12], v21
	ds_read_b64 v[13:14], v23
	ds_read_b64 v[15:16], v53
	s_waitcnt lgkmcnt(4)
	v_lshlrev_b64 v[6:7], 3, v[6:7]
	v_mov_b32_e32 v8, s63
	v_add_co_u32_e32 v6, vcc, s62, v6
	v_addc_co_u32_e32 v7, vcc, v8, v7, vcc
	v_or_b32_e32 v8, 0x2000, v1
	v_add_co_u32_e32 v6, vcc, v6, v8
	v_addc_co_u32_e32 v7, vcc, 0, v7, vcc
	s_waitcnt lgkmcnt(3)
	global_store_dwordx2 v[6:7], v[2:3], off
	s_waitcnt lgkmcnt(2)
	v_lshlrev_b64 v[2:3], 3, v[11:12]
	v_mov_b32_e32 v6, s63
	v_add_co_u32_e32 v2, vcc, s62, v2
	v_addc_co_u32_e32 v3, vcc, v6, v3, vcc
	v_or_b32_e32 v6, 0x2800, v1
	v_add_co_u32_e32 v2, vcc, v2, v6
	v_addc_co_u32_e32 v3, vcc, 0, v3, vcc
	s_waitcnt lgkmcnt(1)
	v_lshlrev_b64 v[6:7], 3, v[13:14]
	global_store_dwordx2 v[2:3], v[4:5], off
	ds_read2st64_b64 v[2:5], v0 offset0:28 offset1:32
	v_mov_b32_e32 v8, s63
	v_add_co_u32_e32 v6, vcc, s62, v6
	v_addc_co_u32_e32 v7, vcc, v8, v7, vcc
	v_or_b32_e32 v8, 0x3000, v1
	v_add_co_u32_e32 v6, vcc, v6, v8
	v_addc_co_u32_e32 v7, vcc, 0, v7, vcc
	s_waitcnt lgkmcnt(0)
	global_store_dwordx2 v[6:7], v[2:3], off
	v_lshlrev_b64 v[2:3], 3, v[15:16]
	v_mov_b32_e32 v6, s63
	v_add_co_u32_e32 v2, vcc, s62, v2
	v_addc_co_u32_e32 v3, vcc, v6, v3, vcc
	v_or_b32_e32 v6, 0x3800, v1
	v_add_co_u32_e32 v2, vcc, v2, v6
	v_addc_co_u32_e32 v3, vcc, 0, v3, vcc
	global_store_dwordx2 v[2:3], v[4:5], off
	ds_read_b64 v[6:7], v54
	ds_read2st64_b64 v[2:5], v0 offset0:36 offset1:40
	ds_read_b64 v[11:12], v57
	ds_read_b64 v[13:14], v58
	;; [unrolled: 1-line block ×3, first 2 shown]
	s_waitcnt lgkmcnt(4)
	v_lshlrev_b64 v[6:7], 3, v[6:7]
	v_mov_b32_e32 v8, s63
	v_add_co_u32_e32 v6, vcc, s62, v6
	v_addc_co_u32_e32 v7, vcc, v8, v7, vcc
	v_lshlrev_b32_e32 v8, 3, v55
	v_add_co_u32_e32 v6, vcc, v6, v8
	v_addc_co_u32_e32 v7, vcc, 0, v7, vcc
	s_waitcnt lgkmcnt(3)
	global_store_dwordx2 v[6:7], v[2:3], off
	s_waitcnt lgkmcnt(2)
	v_lshlrev_b64 v[2:3], 3, v[11:12]
	v_mov_b32_e32 v6, s63
	v_add_co_u32_e32 v2, vcc, s62, v2
	v_addc_co_u32_e32 v3, vcc, v6, v3, vcc
	v_lshlrev_b32_e32 v6, 3, v56
	v_add_co_u32_e32 v2, vcc, v2, v6
	v_addc_co_u32_e32 v3, vcc, 0, v3, vcc
	s_waitcnt lgkmcnt(1)
	v_lshlrev_b64 v[6:7], 3, v[13:14]
	global_store_dwordx2 v[2:3], v[4:5], off
	ds_read2st64_b64 v[2:5], v0 offset0:44 offset1:48
	v_mov_b32_e32 v0, s63
	v_add_co_u32_e32 v6, vcc, s62, v6
	v_addc_co_u32_e32 v0, vcc, v0, v7, vcc
	v_lshlrev_b32_e32 v7, 3, v60
	v_add_co_u32_e32 v6, vcc, v6, v7
	v_addc_co_u32_e32 v7, vcc, 0, v0, vcc
	s_waitcnt lgkmcnt(0)
	global_store_dwordx2 v[6:7], v[2:3], off
	v_lshlrev_b64 v[2:3], 3, v[15:16]
	v_mov_b32_e32 v0, s63
	v_add_co_u32_e32 v2, vcc, s62, v2
	v_addc_co_u32_e32 v0, vcc, v0, v3, vcc
	v_lshlrev_b32_e32 v3, 3, v61
	v_add_co_u32_e32 v2, vcc, v2, v3
	v_addc_co_u32_e32 v3, vcc, 0, v0, vcc
	global_store_dwordx2 v[2:3], v[4:5], off
	s_cbranch_scc1 .LBB198_195
; %bb.194:
	ds_read_b64 v[2:3], v1
	v_add_co_u32_e32 v0, vcc, v10, v9
	v_addc_co_u32_e64 v4, s[0:1], 0, 0, vcc
	s_waitcnt lgkmcnt(0)
	v_add_co_u32_e32 v2, vcc, v0, v2
	v_addc_co_u32_e32 v3, vcc, v4, v3, vcc
	global_store_dwordx2 v1, v[2:3], s[66:67]
.LBB198_195:
	s_endpgm
.LBB198_196:
	s_or_b64 exec, exec, s[0:1]
	s_and_saveexec_b64 s[0:1], s[26:27]
	s_cbranch_execz .LBB198_139
.LBB198_197:
	v_lshlrev_b32_e32 v3, 3, v60
	ds_read_b64 v[3:4], v3
	ds_read_b64 v[5:6], v32 offset:4096
	v_mov_b32_e32 v7, s63
	s_waitcnt lgkmcnt(1)
	v_lshlrev_b64 v[3:4], 3, v[3:4]
	v_add_co_u32_e32 v3, vcc, s62, v3
	v_addc_co_u32_e32 v4, vcc, v7, v4, vcc
	v_add_co_u32_e32 v3, vcc, v3, v32
	v_addc_co_u32_e32 v4, vcc, 0, v4, vcc
	s_waitcnt lgkmcnt(0)
	global_store_dwordx2 v[3:4], v[5:6], off offset:2048
	s_or_b64 exec, exec, s[0:1]
	s_and_saveexec_b64 s[0:1], s[28:29]
	s_cbranch_execnz .LBB198_140
.LBB198_198:
	s_or_b64 exec, exec, s[0:1]
	s_and_saveexec_b64 s[0:1], s[30:31]
	s_cbranch_execz .LBB198_141
.LBB198_199:
	v_lshlrev_b32_e32 v3, 3, v58
	ds_read_b64 v[3:4], v3
	ds_read_b64 v[5:6], v32 offset:8192
	v_mov_b32_e32 v7, s63
	s_waitcnt lgkmcnt(1)
	v_lshlrev_b64 v[3:4], 3, v[3:4]
	v_add_co_u32_e32 v3, vcc, s62, v3
	v_addc_co_u32_e32 v4, vcc, v7, v4, vcc
	v_lshlrev_b32_e32 v7, 3, v46
	v_add_co_u32_e32 v3, vcc, v3, v7
	v_addc_co_u32_e32 v4, vcc, 0, v4, vcc
	s_waitcnt lgkmcnt(0)
	global_store_dwordx2 v[3:4], v[5:6], off
	s_or_b64 exec, exec, s[0:1]
	s_and_saveexec_b64 s[0:1], s[34:35]
	s_cbranch_execnz .LBB198_142
.LBB198_200:
	s_or_b64 exec, exec, s[0:1]
	s_and_saveexec_b64 s[0:1], s[36:37]
	s_cbranch_execz .LBB198_143
.LBB198_201:
	v_lshlrev_b32_e32 v3, 3, v56
	ds_read_b64 v[3:4], v3
	ds_read_b64 v[5:6], v32 offset:12288
	v_mov_b32_e32 v7, s63
	s_waitcnt lgkmcnt(1)
	v_lshlrev_b64 v[3:4], 3, v[3:4]
	v_add_co_u32_e32 v3, vcc, s62, v3
	v_addc_co_u32_e32 v4, vcc, v7, v4, vcc
	v_lshlrev_b32_e32 v7, 3, v48
	v_add_co_u32_e32 v3, vcc, v3, v7
	v_addc_co_u32_e32 v4, vcc, 0, v4, vcc
	s_waitcnt lgkmcnt(0)
	global_store_dwordx2 v[3:4], v[5:6], off
	s_or_b64 exec, exec, s[0:1]
	s_and_saveexec_b64 s[0:1], s[38:39]
	s_cbranch_execnz .LBB198_144
.LBB198_202:
	s_or_b64 exec, exec, s[0:1]
	s_and_saveexec_b64 s[0:1], s[40:41]
	s_cbranch_execz .LBB198_145
.LBB198_203:
	v_lshlrev_b32_e32 v3, 3, v55
	ds_read_b64 v[3:4], v3
	ds_read_b64 v[5:6], v32 offset:16384
	v_mov_b32_e32 v7, s63
	s_waitcnt lgkmcnt(1)
	v_lshlrev_b64 v[3:4], 3, v[3:4]
	v_add_co_u32_e32 v3, vcc, s62, v3
	v_addc_co_u32_e32 v4, vcc, v7, v4, vcc
	v_lshlrev_b32_e32 v7, 3, v50
	v_add_co_u32_e32 v3, vcc, v3, v7
	v_addc_co_u32_e32 v4, vcc, 0, v4, vcc
	s_waitcnt lgkmcnt(0)
	global_store_dwordx2 v[3:4], v[5:6], off
	s_or_b64 exec, exec, s[0:1]
	s_and_saveexec_b64 s[0:1], s[42:43]
	s_cbranch_execnz .LBB198_146
.LBB198_204:
	s_or_b64 exec, exec, s[0:1]
	s_and_saveexec_b64 s[0:1], s[44:45]
	s_cbranch_execz .LBB198_147
.LBB198_205:
	v_lshlrev_b32_e32 v3, 3, v28
	ds_read_b64 v[3:4], v3
	ds_read_b64 v[5:6], v32 offset:20480
	v_mov_b32_e32 v7, s63
	s_waitcnt lgkmcnt(1)
	v_lshlrev_b64 v[3:4], 3, v[3:4]
	v_add_co_u32_e32 v3, vcc, s62, v3
	v_addc_co_u32_e32 v4, vcc, v7, v4, vcc
	v_lshlrev_b32_e32 v7, 3, v52
	v_add_co_u32_e32 v3, vcc, v3, v7
	v_addc_co_u32_e32 v4, vcc, 0, v4, vcc
	s_waitcnt lgkmcnt(0)
	global_store_dwordx2 v[3:4], v[5:6], off
	s_or_b64 exec, exec, s[0:1]
	s_and_saveexec_b64 s[0:1], s[46:47]
	s_cbranch_execnz .LBB198_148
.LBB198_206:
	s_or_b64 exec, exec, s[0:1]
	s_and_saveexec_b64 s[0:1], s[48:49]
	s_cbranch_execz .LBB198_149
.LBB198_207:
	v_lshlrev_b32_e32 v3, 3, v27
	ds_read_b64 v[3:4], v3
	ds_read_b64 v[5:6], v32 offset:24576
	v_mov_b32_e32 v7, s63
	s_waitcnt lgkmcnt(1)
	v_lshlrev_b64 v[3:4], 3, v[3:4]
	v_add_co_u32_e32 v3, vcc, s62, v3
	v_addc_co_u32_e32 v4, vcc, v7, v4, vcc
	v_lshlrev_b32_e32 v7, 3, v54
	v_add_co_u32_e32 v3, vcc, v3, v7
	v_addc_co_u32_e32 v4, vcc, 0, v4, vcc
	s_waitcnt lgkmcnt(0)
	global_store_dwordx2 v[3:4], v[5:6], off
	s_or_b64 exec, exec, s[0:1]
	s_add_i32 s33, s33, -1
	s_cmp_eq_u32 s6, s33
	s_cbranch_scc1 .LBB198_150
	s_branch .LBB198_151
	.section	.rodata,"a",@progbits
	.p2align	6, 0x0
	.amdhsa_kernel _ZN7rocprim17ROCPRIM_304000_NS6detail25onesweep_iteration_kernelINS1_34wrapped_radix_sort_onesweep_configINS0_14default_configE6__halfN2at4cuda3cub6detail10OpaqueTypeILi8EEEEELb0EPKS5_PS5_PKSB_PSB_mNS0_19identity_decomposerEEEvT1_T2_T3_T4_jPT5_SP_PNS1_23onesweep_lookback_stateET6_jjj
		.amdhsa_group_segment_fixed_size 26624
		.amdhsa_private_segment_fixed_size 0
		.amdhsa_kernarg_size 336
		.amdhsa_user_sgpr_count 6
		.amdhsa_user_sgpr_private_segment_buffer 1
		.amdhsa_user_sgpr_dispatch_ptr 0
		.amdhsa_user_sgpr_queue_ptr 0
		.amdhsa_user_sgpr_kernarg_segment_ptr 1
		.amdhsa_user_sgpr_dispatch_id 0
		.amdhsa_user_sgpr_flat_scratch_init 0
		.amdhsa_user_sgpr_private_segment_size 0
		.amdhsa_uses_dynamic_stack 0
		.amdhsa_system_sgpr_private_segment_wavefront_offset 0
		.amdhsa_system_sgpr_workgroup_id_x 1
		.amdhsa_system_sgpr_workgroup_id_y 0
		.amdhsa_system_sgpr_workgroup_id_z 0
		.amdhsa_system_sgpr_workgroup_info 0
		.amdhsa_system_vgpr_workitem_id 2
		.amdhsa_next_free_vgpr 85
		.amdhsa_next_free_sgpr 98
		.amdhsa_reserve_vcc 1
		.amdhsa_reserve_flat_scratch 0
		.amdhsa_float_round_mode_32 0
		.amdhsa_float_round_mode_16_64 0
		.amdhsa_float_denorm_mode_32 3
		.amdhsa_float_denorm_mode_16_64 3
		.amdhsa_dx10_clamp 1
		.amdhsa_ieee_mode 1
		.amdhsa_fp16_overflow 0
		.amdhsa_exception_fp_ieee_invalid_op 0
		.amdhsa_exception_fp_denorm_src 0
		.amdhsa_exception_fp_ieee_div_zero 0
		.amdhsa_exception_fp_ieee_overflow 0
		.amdhsa_exception_fp_ieee_underflow 0
		.amdhsa_exception_fp_ieee_inexact 0
		.amdhsa_exception_int_div_zero 0
	.end_amdhsa_kernel
	.section	.text._ZN7rocprim17ROCPRIM_304000_NS6detail25onesweep_iteration_kernelINS1_34wrapped_radix_sort_onesweep_configINS0_14default_configE6__halfN2at4cuda3cub6detail10OpaqueTypeILi8EEEEELb0EPKS5_PS5_PKSB_PSB_mNS0_19identity_decomposerEEEvT1_T2_T3_T4_jPT5_SP_PNS1_23onesweep_lookback_stateET6_jjj,"axG",@progbits,_ZN7rocprim17ROCPRIM_304000_NS6detail25onesweep_iteration_kernelINS1_34wrapped_radix_sort_onesweep_configINS0_14default_configE6__halfN2at4cuda3cub6detail10OpaqueTypeILi8EEEEELb0EPKS5_PS5_PKSB_PSB_mNS0_19identity_decomposerEEEvT1_T2_T3_T4_jPT5_SP_PNS1_23onesweep_lookback_stateET6_jjj,comdat
.Lfunc_end198:
	.size	_ZN7rocprim17ROCPRIM_304000_NS6detail25onesweep_iteration_kernelINS1_34wrapped_radix_sort_onesweep_configINS0_14default_configE6__halfN2at4cuda3cub6detail10OpaqueTypeILi8EEEEELb0EPKS5_PS5_PKSB_PSB_mNS0_19identity_decomposerEEEvT1_T2_T3_T4_jPT5_SP_PNS1_23onesweep_lookback_stateET6_jjj, .Lfunc_end198-_ZN7rocprim17ROCPRIM_304000_NS6detail25onesweep_iteration_kernelINS1_34wrapped_radix_sort_onesweep_configINS0_14default_configE6__halfN2at4cuda3cub6detail10OpaqueTypeILi8EEEEELb0EPKS5_PS5_PKSB_PSB_mNS0_19identity_decomposerEEEvT1_T2_T3_T4_jPT5_SP_PNS1_23onesweep_lookback_stateET6_jjj
                                        ; -- End function
	.set _ZN7rocprim17ROCPRIM_304000_NS6detail25onesweep_iteration_kernelINS1_34wrapped_radix_sort_onesweep_configINS0_14default_configE6__halfN2at4cuda3cub6detail10OpaqueTypeILi8EEEEELb0EPKS5_PS5_PKSB_PSB_mNS0_19identity_decomposerEEEvT1_T2_T3_T4_jPT5_SP_PNS1_23onesweep_lookback_stateET6_jjj.num_vgpr, 66
	.set _ZN7rocprim17ROCPRIM_304000_NS6detail25onesweep_iteration_kernelINS1_34wrapped_radix_sort_onesweep_configINS0_14default_configE6__halfN2at4cuda3cub6detail10OpaqueTypeILi8EEEEELb0EPKS5_PS5_PKSB_PSB_mNS0_19identity_decomposerEEEvT1_T2_T3_T4_jPT5_SP_PNS1_23onesweep_lookback_stateET6_jjj.num_agpr, 0
	.set _ZN7rocprim17ROCPRIM_304000_NS6detail25onesweep_iteration_kernelINS1_34wrapped_radix_sort_onesweep_configINS0_14default_configE6__halfN2at4cuda3cub6detail10OpaqueTypeILi8EEEEELb0EPKS5_PS5_PKSB_PSB_mNS0_19identity_decomposerEEEvT1_T2_T3_T4_jPT5_SP_PNS1_23onesweep_lookback_stateET6_jjj.numbered_sgpr, 75
	.set _ZN7rocprim17ROCPRIM_304000_NS6detail25onesweep_iteration_kernelINS1_34wrapped_radix_sort_onesweep_configINS0_14default_configE6__halfN2at4cuda3cub6detail10OpaqueTypeILi8EEEEELb0EPKS5_PS5_PKSB_PSB_mNS0_19identity_decomposerEEEvT1_T2_T3_T4_jPT5_SP_PNS1_23onesweep_lookback_stateET6_jjj.num_named_barrier, 0
	.set _ZN7rocprim17ROCPRIM_304000_NS6detail25onesweep_iteration_kernelINS1_34wrapped_radix_sort_onesweep_configINS0_14default_configE6__halfN2at4cuda3cub6detail10OpaqueTypeILi8EEEEELb0EPKS5_PS5_PKSB_PSB_mNS0_19identity_decomposerEEEvT1_T2_T3_T4_jPT5_SP_PNS1_23onesweep_lookback_stateET6_jjj.private_seg_size, 0
	.set _ZN7rocprim17ROCPRIM_304000_NS6detail25onesweep_iteration_kernelINS1_34wrapped_radix_sort_onesweep_configINS0_14default_configE6__halfN2at4cuda3cub6detail10OpaqueTypeILi8EEEEELb0EPKS5_PS5_PKSB_PSB_mNS0_19identity_decomposerEEEvT1_T2_T3_T4_jPT5_SP_PNS1_23onesweep_lookback_stateET6_jjj.uses_vcc, 1
	.set _ZN7rocprim17ROCPRIM_304000_NS6detail25onesweep_iteration_kernelINS1_34wrapped_radix_sort_onesweep_configINS0_14default_configE6__halfN2at4cuda3cub6detail10OpaqueTypeILi8EEEEELb0EPKS5_PS5_PKSB_PSB_mNS0_19identity_decomposerEEEvT1_T2_T3_T4_jPT5_SP_PNS1_23onesweep_lookback_stateET6_jjj.uses_flat_scratch, 0
	.set _ZN7rocprim17ROCPRIM_304000_NS6detail25onesweep_iteration_kernelINS1_34wrapped_radix_sort_onesweep_configINS0_14default_configE6__halfN2at4cuda3cub6detail10OpaqueTypeILi8EEEEELb0EPKS5_PS5_PKSB_PSB_mNS0_19identity_decomposerEEEvT1_T2_T3_T4_jPT5_SP_PNS1_23onesweep_lookback_stateET6_jjj.has_dyn_sized_stack, 0
	.set _ZN7rocprim17ROCPRIM_304000_NS6detail25onesweep_iteration_kernelINS1_34wrapped_radix_sort_onesweep_configINS0_14default_configE6__halfN2at4cuda3cub6detail10OpaqueTypeILi8EEEEELb0EPKS5_PS5_PKSB_PSB_mNS0_19identity_decomposerEEEvT1_T2_T3_T4_jPT5_SP_PNS1_23onesweep_lookback_stateET6_jjj.has_recursion, 0
	.set _ZN7rocprim17ROCPRIM_304000_NS6detail25onesweep_iteration_kernelINS1_34wrapped_radix_sort_onesweep_configINS0_14default_configE6__halfN2at4cuda3cub6detail10OpaqueTypeILi8EEEEELb0EPKS5_PS5_PKSB_PSB_mNS0_19identity_decomposerEEEvT1_T2_T3_T4_jPT5_SP_PNS1_23onesweep_lookback_stateET6_jjj.has_indirect_call, 0
	.section	.AMDGPU.csdata,"",@progbits
; Kernel info:
; codeLenInByte = 20624
; TotalNumSgprs: 79
; NumVgprs: 66
; ScratchSize: 0
; MemoryBound: 0
; FloatMode: 240
; IeeeMode: 1
; LDSByteSize: 26624 bytes/workgroup (compile time only)
; SGPRBlocks: 12
; VGPRBlocks: 21
; NumSGPRsForWavesPerEU: 102
; NumVGPRsForWavesPerEU: 85
; Occupancy: 2
; WaveLimiterHint : 1
; COMPUTE_PGM_RSRC2:SCRATCH_EN: 0
; COMPUTE_PGM_RSRC2:USER_SGPR: 6
; COMPUTE_PGM_RSRC2:TRAP_HANDLER: 0
; COMPUTE_PGM_RSRC2:TGID_X_EN: 1
; COMPUTE_PGM_RSRC2:TGID_Y_EN: 0
; COMPUTE_PGM_RSRC2:TGID_Z_EN: 0
; COMPUTE_PGM_RSRC2:TIDIG_COMP_CNT: 2
	.section	.text._ZN7rocprim17ROCPRIM_304000_NS6detail25onesweep_iteration_kernelINS1_34wrapped_radix_sort_onesweep_configINS0_14default_configE6__halfN2at4cuda3cub6detail10OpaqueTypeILi8EEEEELb0EPS5_SD_PSB_SE_mNS0_19identity_decomposerEEEvT1_T2_T3_T4_jPT5_SL_PNS1_23onesweep_lookback_stateET6_jjj,"axG",@progbits,_ZN7rocprim17ROCPRIM_304000_NS6detail25onesweep_iteration_kernelINS1_34wrapped_radix_sort_onesweep_configINS0_14default_configE6__halfN2at4cuda3cub6detail10OpaqueTypeILi8EEEEELb0EPS5_SD_PSB_SE_mNS0_19identity_decomposerEEEvT1_T2_T3_T4_jPT5_SL_PNS1_23onesweep_lookback_stateET6_jjj,comdat
	.protected	_ZN7rocprim17ROCPRIM_304000_NS6detail25onesweep_iteration_kernelINS1_34wrapped_radix_sort_onesweep_configINS0_14default_configE6__halfN2at4cuda3cub6detail10OpaqueTypeILi8EEEEELb0EPS5_SD_PSB_SE_mNS0_19identity_decomposerEEEvT1_T2_T3_T4_jPT5_SL_PNS1_23onesweep_lookback_stateET6_jjj ; -- Begin function _ZN7rocprim17ROCPRIM_304000_NS6detail25onesweep_iteration_kernelINS1_34wrapped_radix_sort_onesweep_configINS0_14default_configE6__halfN2at4cuda3cub6detail10OpaqueTypeILi8EEEEELb0EPS5_SD_PSB_SE_mNS0_19identity_decomposerEEEvT1_T2_T3_T4_jPT5_SL_PNS1_23onesweep_lookback_stateET6_jjj
	.globl	_ZN7rocprim17ROCPRIM_304000_NS6detail25onesweep_iteration_kernelINS1_34wrapped_radix_sort_onesweep_configINS0_14default_configE6__halfN2at4cuda3cub6detail10OpaqueTypeILi8EEEEELb0EPS5_SD_PSB_SE_mNS0_19identity_decomposerEEEvT1_T2_T3_T4_jPT5_SL_PNS1_23onesweep_lookback_stateET6_jjj
	.p2align	8
	.type	_ZN7rocprim17ROCPRIM_304000_NS6detail25onesweep_iteration_kernelINS1_34wrapped_radix_sort_onesweep_configINS0_14default_configE6__halfN2at4cuda3cub6detail10OpaqueTypeILi8EEEEELb0EPS5_SD_PSB_SE_mNS0_19identity_decomposerEEEvT1_T2_T3_T4_jPT5_SL_PNS1_23onesweep_lookback_stateET6_jjj,@function
_ZN7rocprim17ROCPRIM_304000_NS6detail25onesweep_iteration_kernelINS1_34wrapped_radix_sort_onesweep_configINS0_14default_configE6__halfN2at4cuda3cub6detail10OpaqueTypeILi8EEEEELb0EPS5_SD_PSB_SE_mNS0_19identity_decomposerEEEvT1_T2_T3_T4_jPT5_SL_PNS1_23onesweep_lookback_stateET6_jjj: ; @_ZN7rocprim17ROCPRIM_304000_NS6detail25onesweep_iteration_kernelINS1_34wrapped_radix_sort_onesweep_configINS0_14default_configE6__halfN2at4cuda3cub6detail10OpaqueTypeILi8EEEEELb0EPS5_SD_PSB_SE_mNS0_19identity_decomposerEEEvT1_T2_T3_T4_jPT5_SL_PNS1_23onesweep_lookback_stateET6_jjj
; %bb.0:
	s_load_dwordx8 s[56:63], s[4:5], 0x0
	s_load_dwordx4 s[68:71], s[4:5], 0x44
	s_load_dwordx4 s[64:67], s[4:5], 0x28
	s_load_dwordx2 s[72:73], s[4:5], 0x38
	s_mov_b32 s7, s6
	s_mov_b64 s[0:1], -1
	s_waitcnt lgkmcnt(0)
	s_cmp_ge_u32 s6, s70
	s_mul_i32 s54, s6, 0xc00
	v_mbcnt_lo_u32_b32 v29, -1, 0
	s_cbranch_scc0 .LBB199_152
; %bb.1:
	s_load_dword s2, s[4:5], 0x20
	s_mulk_i32 s70, 0xf400
	s_mov_b32 s55, 0
	s_lshl_b64 s[0:1], s[54:55], 1
	v_mbcnt_hi_u32_b32 v9, -1, v29
	s_waitcnt lgkmcnt(0)
	s_add_i32 s70, s70, s2
	s_add_u32 s0, s56, s0
	s_addc_u32 s1, s57, s1
	v_and_b32_e32 v7, 0xc0, v0
	v_lshlrev_b32_e32 v3, 1, v9
	v_mul_u32_u24_e32 v10, 12, v7
	v_mov_b32_e32 v4, s1
	v_add_co_u32_e32 v3, vcc, s0, v3
	v_addc_co_u32_e32 v4, vcc, 0, v4, vcc
	v_lshlrev_b32_e32 v5, 1, v10
	v_add_co_u32_e32 v3, vcc, v3, v5
	v_addc_co_u32_e32 v4, vcc, 0, v4, vcc
	v_or_b32_e32 v8, v9, v10
	v_cmp_gt_u32_e32 vcc, s70, v8
	v_mov_b32_e32 v13, 0x7fff
	v_mov_b32_e32 v5, 0x7fff
	s_and_saveexec_b64 s[0:1], vcc
	s_cbranch_execz .LBB199_3
; %bb.2:
	global_load_ushort v5, v[3:4], off
.LBB199_3:
	s_or_b64 exec, exec, s[0:1]
	v_add_u32_e32 v6, 64, v8
	v_cmp_gt_u32_e64 s[0:1], s70, v6
	s_and_saveexec_b64 s[2:3], s[0:1]
	s_cbranch_execz .LBB199_5
; %bb.4:
	global_load_ushort v13, v[3:4], off offset:128
.LBB199_5:
	s_or_b64 exec, exec, s[2:3]
	v_add_u32_e32 v6, 0x80, v8
	v_cmp_gt_u32_e64 s[2:3], s70, v6
	v_mov_b32_e32 v22, 0x7fff
	v_mov_b32_e32 v18, 0x7fff
	s_and_saveexec_b64 s[8:9], s[2:3]
	s_cbranch_execz .LBB199_7
; %bb.6:
	global_load_ushort v18, v[3:4], off offset:256
.LBB199_7:
	s_or_b64 exec, exec, s[8:9]
	v_add_u32_e32 v6, 0xc0, v8
	v_cmp_gt_u32_e64 s[50:51], s70, v6
	s_and_saveexec_b64 s[8:9], s[50:51]
	s_cbranch_execz .LBB199_9
; %bb.8:
	global_load_ushort v22, v[3:4], off offset:384
.LBB199_9:
	s_or_b64 exec, exec, s[8:9]
	v_add_u32_e32 v6, 0x100, v8
	v_cmp_gt_u32_e64 s[8:9], s70, v6
	v_mov_b32_e32 v36, 0x7fff
	v_mov_b32_e32 v31, 0x7fff
	s_and_saveexec_b64 s[10:11], s[8:9]
	s_cbranch_execz .LBB199_11
; %bb.10:
	global_load_ushort v31, v[3:4], off offset:512
.LBB199_11:
	;; [unrolled: 18-line block ×5, first 2 shown]
	s_or_b64 exec, exec, s[10:11]
	v_add_u32_e32 v8, 0x2c0, v8
	v_cmp_gt_u32_e64 s[10:11], s70, v8
	s_and_saveexec_b64 s[24:25], s[10:11]
	s_cbranch_execz .LBB199_25
; %bb.24:
	global_load_ushort v6, v[3:4], off offset:1408
.LBB199_25:
	s_or_b64 exec, exec, s[24:25]
	s_load_dword s24, s[4:5], 0x5c
	s_load_dword s33, s[4:5], 0x50
	s_add_u32 s25, s4, 0x50
	s_addc_u32 s26, s5, 0
	v_mov_b32_e32 v3, 0
	s_waitcnt lgkmcnt(0)
	s_lshr_b32 s27, s24, 16
	s_cmp_lt_u32 s6, s33
	s_cselect_b32 s24, 12, 18
	s_add_u32 s24, s25, s24
	s_addc_u32 s25, s26, 0
	global_load_ushort v12, v3, s[24:25]
	v_mov_b32_e32 v15, 0xffff8000
	s_waitcnt vmcnt(1)
	v_cmp_lt_i16_e64 s[24:25], -1, v5
	v_cndmask_b32_e64 v4, -1, v15, s[24:25]
	s_movk_i32 s28, 0x7fff
	v_xor_b32_e32 v8, v4, v5
	v_cmp_ne_u16_e64 s[24:25], s28, v8
	v_cndmask_b32_e64 v4, v15, v8, s[24:25]
	s_lshl_b32 s24, -1, s69
	v_lshrrev_b32_sdwa v4, s68, v4 dst_sel:DWORD dst_unused:UNUSED_PAD src0_sel:DWORD src1_sel:WORD_0
	s_not_b32 s74, s24
	v_and_b32_e32 v14, s74, v4
	v_and_b32_e32 v16, 1, v14
	v_add_co_u32_e64 v17, s[24:25], -1, v16
	v_lshlrev_b32_e32 v4, 30, v14
	v_addc_co_u32_e64 v19, s[24:25], 0, -1, s[24:25]
	v_mad_u32_u24 v5, v2, s27, v1
	v_cmp_ne_u32_e64 s[24:25], 0, v16
	v_cmp_gt_i64_e64 s[26:27], 0, v[3:4]
	v_not_b32_e32 v16, v4
	v_lshlrev_b32_e32 v4, 29, v14
	v_xor_b32_e32 v19, s25, v19
	v_xor_b32_e32 v17, s24, v17
	v_ashrrev_i32_e32 v16, 31, v16
	v_cmp_gt_i64_e64 s[24:25], 0, v[3:4]
	v_not_b32_e32 v20, v4
	v_lshlrev_b32_e32 v4, 28, v14
	v_and_b32_e32 v19, exec_hi, v19
	v_and_b32_e32 v17, exec_lo, v17
	v_xor_b32_e32 v23, s27, v16
	v_xor_b32_e32 v16, s26, v16
	v_ashrrev_i32_e32 v20, 31, v20
	v_cmp_gt_i64_e64 s[26:27], 0, v[3:4]
	v_not_b32_e32 v24, v4
	v_lshlrev_b32_e32 v4, 27, v14
	v_and_b32_e32 v19, v19, v23
	v_and_b32_e32 v16, v17, v16
	v_xor_b32_e32 v17, s25, v20
	v_xor_b32_e32 v20, s24, v20
	v_ashrrev_i32_e32 v23, 31, v24
	v_cmp_gt_i64_e64 s[24:25], 0, v[3:4]
	v_not_b32_e32 v24, v4
	v_lshlrev_b32_e32 v4, 26, v14
	v_and_b32_e32 v17, v19, v17
	v_and_b32_e32 v16, v16, v20
	;; [unrolled: 8-line block ×4, first 2 shown]
	v_xor_b32_e32 v19, s27, v23
	v_xor_b32_e32 v20, s26, v23
	v_ashrrev_i32_e32 v23, 31, v24
	v_cmp_gt_i64_e64 s[26:27], 0, v[3:4]
	v_not_b32_e32 v24, v4
	v_and_b32_e32 v17, v17, v19
	v_and_b32_e32 v16, v16, v20
	v_xor_b32_e32 v19, s25, v23
	v_xor_b32_e32 v20, s24, v23
	v_and_b32_e32 v16, v16, v20
	v_mul_u32_u24_e32 v11, 20, v0
	ds_write2_b32 v11, v3, v3 offset0:4 offset1:5
	ds_write2_b32 v11, v3, v3 offset0:6 offset1:7
	ds_write_b32 v11, v3 offset:32
	s_waitcnt vmcnt(0) lgkmcnt(0)
	s_barrier
	; wave barrier
	v_mad_u64_u32 v[4:5], s[24:25], v5, v12, v[0:1]
	v_ashrrev_i32_e32 v5, 31, v24
	v_and_b32_e32 v12, v17, v19
	v_lshrrev_b32_e32 v4, 6, v4
	v_lshlrev_b32_e32 v24, 2, v4
	v_xor_b32_e32 v4, s27, v5
	v_xor_b32_e32 v17, s26, v5
	v_and_b32_e32 v5, v12, v4
	v_and_b32_e32 v4, v16, v17
	v_mbcnt_lo_u32_b32 v12, v4, 0
	v_mbcnt_hi_u32_b32 v12, v5, v12
	v_cmp_ne_u64_e64 s[24:25], 0, v[4:5]
	v_cmp_eq_u32_e64 s[26:27], 0, v12
	v_mad_u32_u24 v14, v14, 20, v24
	s_and_b64 s[26:27], s[24:25], s[26:27]
	s_and_saveexec_b64 s[24:25], s[26:27]
; %bb.26:
	v_bcnt_u32_b32 v4, v4, 0
	v_bcnt_u32_b32 v4, v5, v4
	ds_write_b32 v14, v4 offset:16
; %bb.27:
	s_or_b64 exec, exec, s[24:25]
	v_cmp_lt_i16_e64 s[24:25], -1, v13
	v_cndmask_b32_e64 v4, -1, v15, s[24:25]
	v_xor_b32_e32 v13, v4, v13
	v_cmp_ne_u16_e64 s[24:25], s28, v13
	v_cndmask_b32_e64 v4, v15, v13, s[24:25]
	v_lshrrev_b32_sdwa v4, s68, v4 dst_sel:DWORD dst_unused:UNUSED_PAD src0_sel:DWORD src1_sel:WORD_0
	v_and_b32_e32 v5, s74, v4
	v_and_b32_e32 v4, 1, v5
	v_add_co_u32_e64 v17, s[24:25], -1, v4
	v_addc_co_u32_e64 v19, s[24:25], 0, -1, s[24:25]
	v_cmp_ne_u32_e64 s[24:25], 0, v4
	v_xor_b32_e32 v4, s25, v19
	v_and_b32_e32 v19, exec_hi, v4
	v_lshlrev_b32_e32 v4, 30, v5
	v_xor_b32_e32 v17, s24, v17
	v_cmp_gt_i64_e64 s[24:25], 0, v[3:4]
	v_not_b32_e32 v4, v4
	v_ashrrev_i32_e32 v4, 31, v4
	v_and_b32_e32 v17, exec_lo, v17
	v_xor_b32_e32 v20, s25, v4
	v_xor_b32_e32 v4, s24, v4
	v_and_b32_e32 v17, v17, v4
	v_lshlrev_b32_e32 v4, 29, v5
	v_cmp_gt_i64_e64 s[24:25], 0, v[3:4]
	v_not_b32_e32 v4, v4
	v_ashrrev_i32_e32 v4, 31, v4
	v_and_b32_e32 v19, v19, v20
	v_xor_b32_e32 v20, s25, v4
	v_xor_b32_e32 v4, s24, v4
	v_and_b32_e32 v17, v17, v4
	v_lshlrev_b32_e32 v4, 28, v5
	v_cmp_gt_i64_e64 s[24:25], 0, v[3:4]
	v_not_b32_e32 v4, v4
	v_ashrrev_i32_e32 v4, 31, v4
	v_and_b32_e32 v19, v19, v20
	v_xor_b32_e32 v20, s25, v4
	v_xor_b32_e32 v4, s24, v4
	v_and_b32_e32 v17, v17, v4
	v_lshlrev_b32_e32 v4, 27, v5
	v_cmp_gt_i64_e64 s[24:25], 0, v[3:4]
	v_not_b32_e32 v4, v4
	v_ashrrev_i32_e32 v4, 31, v4
	v_and_b32_e32 v19, v19, v20
	v_xor_b32_e32 v20, s25, v4
	v_xor_b32_e32 v4, s24, v4
	v_and_b32_e32 v17, v17, v4
	v_lshlrev_b32_e32 v4, 26, v5
	v_cmp_gt_i64_e64 s[24:25], 0, v[3:4]
	v_not_b32_e32 v4, v4
	v_ashrrev_i32_e32 v4, 31, v4
	v_and_b32_e32 v19, v19, v20
	v_xor_b32_e32 v20, s25, v4
	v_xor_b32_e32 v4, s24, v4
	v_and_b32_e32 v17, v17, v4
	v_lshlrev_b32_e32 v4, 25, v5
	v_cmp_gt_i64_e64 s[24:25], 0, v[3:4]
	v_not_b32_e32 v4, v4
	v_ashrrev_i32_e32 v4, 31, v4
	v_and_b32_e32 v19, v19, v20
	v_xor_b32_e32 v20, s25, v4
	v_xor_b32_e32 v4, s24, v4
	v_and_b32_e32 v17, v17, v4
	v_lshlrev_b32_e32 v4, 24, v5
	v_cmp_gt_i64_e64 s[24:25], 0, v[3:4]
	v_not_b32_e32 v3, v4
	v_ashrrev_i32_e32 v3, 31, v3
	v_mad_u32_u24 v16, v5, 20, v24
	v_xor_b32_e32 v4, s25, v3
	v_xor_b32_e32 v3, s24, v3
	; wave barrier
	ds_read_b32 v15, v16 offset:16
	v_and_b32_e32 v19, v19, v20
	v_and_b32_e32 v3, v17, v3
	;; [unrolled: 1-line block ×3, first 2 shown]
	v_mbcnt_lo_u32_b32 v5, v3, 0
	v_mbcnt_hi_u32_b32 v17, v4, v5
	v_cmp_ne_u64_e64 s[24:25], 0, v[3:4]
	v_cmp_eq_u32_e64 s[26:27], 0, v17
	s_and_b64 s[26:27], s[24:25], s[26:27]
	; wave barrier
	s_and_saveexec_b64 s[24:25], s[26:27]
	s_cbranch_execz .LBB199_29
; %bb.28:
	v_bcnt_u32_b32 v3, v3, 0
	v_bcnt_u32_b32 v3, v4, v3
	s_waitcnt lgkmcnt(0)
	v_add_u32_e32 v3, v15, v3
	ds_write_b32 v16, v3 offset:16
.LBB199_29:
	s_or_b64 exec, exec, s[24:25]
	v_mov_b32_e32 v25, 0xffff8000
	v_cmp_lt_i16_e64 s[24:25], -1, v18
	v_cndmask_b32_e64 v3, -1, v25, s[24:25]
	v_xor_b32_e32 v18, v3, v18
	v_cmp_ne_u16_e64 s[24:25], s28, v18
	v_cndmask_b32_e64 v3, v25, v18, s[24:25]
	v_lshrrev_b32_sdwa v3, s68, v3 dst_sel:DWORD dst_unused:UNUSED_PAD src0_sel:DWORD src1_sel:WORD_0
	v_and_b32_e32 v5, s74, v3
	v_and_b32_e32 v4, 1, v5
	v_add_co_u32_e64 v23, s[24:25], -1, v4
	v_addc_co_u32_e64 v27, s[24:25], 0, -1, s[24:25]
	v_cmp_ne_u32_e64 s[24:25], 0, v4
	v_xor_b32_e32 v4, s25, v27
	v_mov_b32_e32 v3, 0
	v_and_b32_e32 v27, exec_hi, v4
	v_lshlrev_b32_e32 v4, 30, v5
	v_xor_b32_e32 v23, s24, v23
	v_cmp_gt_i64_e64 s[24:25], 0, v[3:4]
	v_not_b32_e32 v4, v4
	v_ashrrev_i32_e32 v4, 31, v4
	v_and_b32_e32 v23, exec_lo, v23
	v_xor_b32_e32 v28, s25, v4
	v_xor_b32_e32 v4, s24, v4
	v_and_b32_e32 v23, v23, v4
	v_lshlrev_b32_e32 v4, 29, v5
	v_cmp_gt_i64_e64 s[24:25], 0, v[3:4]
	v_not_b32_e32 v4, v4
	v_ashrrev_i32_e32 v4, 31, v4
	v_and_b32_e32 v27, v27, v28
	v_xor_b32_e32 v28, s25, v4
	v_xor_b32_e32 v4, s24, v4
	v_and_b32_e32 v23, v23, v4
	v_lshlrev_b32_e32 v4, 28, v5
	v_cmp_gt_i64_e64 s[24:25], 0, v[3:4]
	v_not_b32_e32 v4, v4
	v_ashrrev_i32_e32 v4, 31, v4
	v_and_b32_e32 v27, v27, v28
	;; [unrolled: 8-line block ×5, first 2 shown]
	v_xor_b32_e32 v28, s25, v4
	v_xor_b32_e32 v4, s24, v4
	v_and_b32_e32 v23, v23, v4
	v_lshlrev_b32_e32 v4, 24, v5
	v_cmp_gt_i64_e64 s[24:25], 0, v[3:4]
	v_not_b32_e32 v4, v4
	v_ashrrev_i32_e32 v4, 31, v4
	v_mad_u32_u24 v20, v5, 20, v24
	v_xor_b32_e32 v5, s25, v4
	v_xor_b32_e32 v4, s24, v4
	; wave barrier
	ds_read_b32 v19, v20 offset:16
	v_and_b32_e32 v27, v27, v28
	v_and_b32_e32 v4, v23, v4
	v_and_b32_e32 v5, v27, v5
	v_mbcnt_lo_u32_b32 v23, v4, 0
	v_mbcnt_hi_u32_b32 v23, v5, v23
	v_cmp_ne_u64_e64 s[24:25], 0, v[4:5]
	v_cmp_eq_u32_e64 s[26:27], 0, v23
	s_and_b64 s[26:27], s[24:25], s[26:27]
	; wave barrier
	s_and_saveexec_b64 s[24:25], s[26:27]
	s_cbranch_execz .LBB199_31
; %bb.30:
	v_bcnt_u32_b32 v4, v4, 0
	v_bcnt_u32_b32 v4, v5, v4
	s_waitcnt lgkmcnt(0)
	v_add_u32_e32 v4, v19, v4
	ds_write_b32 v20, v4 offset:16
.LBB199_31:
	s_or_b64 exec, exec, s[24:25]
	v_cmp_lt_i16_e64 s[24:25], -1, v22
	v_cndmask_b32_e64 v4, -1, v25, s[24:25]
	v_xor_b32_e32 v22, v4, v22
	v_cmp_ne_u16_e64 s[24:25], s28, v22
	v_cndmask_b32_e64 v4, v25, v22, s[24:25]
	v_lshrrev_b32_sdwa v4, s68, v4 dst_sel:DWORD dst_unused:UNUSED_PAD src0_sel:DWORD src1_sel:WORD_0
	v_and_b32_e32 v5, s74, v4
	v_and_b32_e32 v4, 1, v5
	v_add_co_u32_e64 v28, s[24:25], -1, v4
	v_addc_co_u32_e64 v32, s[24:25], 0, -1, s[24:25]
	v_cmp_ne_u32_e64 s[24:25], 0, v4
	v_xor_b32_e32 v4, s25, v32
	v_and_b32_e32 v32, exec_hi, v4
	v_lshlrev_b32_e32 v4, 30, v5
	v_xor_b32_e32 v28, s24, v28
	v_cmp_gt_i64_e64 s[24:25], 0, v[3:4]
	v_not_b32_e32 v4, v4
	v_ashrrev_i32_e32 v4, 31, v4
	v_and_b32_e32 v28, exec_lo, v28
	v_xor_b32_e32 v33, s25, v4
	v_xor_b32_e32 v4, s24, v4
	v_and_b32_e32 v28, v28, v4
	v_lshlrev_b32_e32 v4, 29, v5
	v_cmp_gt_i64_e64 s[24:25], 0, v[3:4]
	v_not_b32_e32 v4, v4
	v_ashrrev_i32_e32 v4, 31, v4
	v_and_b32_e32 v32, v32, v33
	v_xor_b32_e32 v33, s25, v4
	v_xor_b32_e32 v4, s24, v4
	v_and_b32_e32 v28, v28, v4
	v_lshlrev_b32_e32 v4, 28, v5
	v_cmp_gt_i64_e64 s[24:25], 0, v[3:4]
	v_not_b32_e32 v4, v4
	v_ashrrev_i32_e32 v4, 31, v4
	v_and_b32_e32 v32, v32, v33
	;; [unrolled: 8-line block ×5, first 2 shown]
	v_xor_b32_e32 v33, s25, v4
	v_xor_b32_e32 v4, s24, v4
	v_and_b32_e32 v28, v28, v4
	v_lshlrev_b32_e32 v4, 24, v5
	v_cmp_gt_i64_e64 s[24:25], 0, v[3:4]
	v_not_b32_e32 v3, v4
	v_ashrrev_i32_e32 v3, 31, v3
	v_mad_u32_u24 v27, v5, 20, v24
	v_xor_b32_e32 v4, s25, v3
	v_xor_b32_e32 v3, s24, v3
	; wave barrier
	ds_read_b32 v25, v27 offset:16
	v_and_b32_e32 v32, v32, v33
	v_and_b32_e32 v3, v28, v3
	;; [unrolled: 1-line block ×3, first 2 shown]
	v_mbcnt_lo_u32_b32 v5, v3, 0
	v_mbcnt_hi_u32_b32 v28, v4, v5
	v_cmp_ne_u64_e64 s[24:25], 0, v[3:4]
	v_cmp_eq_u32_e64 s[26:27], 0, v28
	s_and_b64 s[26:27], s[24:25], s[26:27]
	; wave barrier
	s_and_saveexec_b64 s[24:25], s[26:27]
	s_cbranch_execz .LBB199_33
; %bb.32:
	v_bcnt_u32_b32 v3, v3, 0
	v_bcnt_u32_b32 v3, v4, v3
	s_waitcnt lgkmcnt(0)
	v_add_u32_e32 v3, v25, v3
	ds_write_b32 v27, v3 offset:16
.LBB199_33:
	s_or_b64 exec, exec, s[24:25]
	v_mov_b32_e32 v37, 0xffff8000
	v_cmp_lt_i16_e64 s[24:25], -1, v31
	v_cndmask_b32_e64 v3, -1, v37, s[24:25]
	v_xor_b32_e32 v31, v3, v31
	v_cmp_ne_u16_e64 s[24:25], s28, v31
	v_cndmask_b32_e64 v3, v37, v31, s[24:25]
	v_lshrrev_b32_sdwa v3, s68, v3 dst_sel:DWORD dst_unused:UNUSED_PAD src0_sel:DWORD src1_sel:WORD_0
	v_and_b32_e32 v5, s74, v3
	v_and_b32_e32 v4, 1, v5
	v_add_co_u32_e64 v34, s[24:25], -1, v4
	v_addc_co_u32_e64 v38, s[24:25], 0, -1, s[24:25]
	v_cmp_ne_u32_e64 s[24:25], 0, v4
	v_xor_b32_e32 v4, s25, v38
	v_mov_b32_e32 v3, 0
	v_and_b32_e32 v38, exec_hi, v4
	v_lshlrev_b32_e32 v4, 30, v5
	v_xor_b32_e32 v34, s24, v34
	v_cmp_gt_i64_e64 s[24:25], 0, v[3:4]
	v_not_b32_e32 v4, v4
	v_ashrrev_i32_e32 v4, 31, v4
	v_and_b32_e32 v34, exec_lo, v34
	v_xor_b32_e32 v40, s25, v4
	v_xor_b32_e32 v4, s24, v4
	v_and_b32_e32 v34, v34, v4
	v_lshlrev_b32_e32 v4, 29, v5
	v_cmp_gt_i64_e64 s[24:25], 0, v[3:4]
	v_not_b32_e32 v4, v4
	v_ashrrev_i32_e32 v4, 31, v4
	v_and_b32_e32 v38, v38, v40
	v_xor_b32_e32 v40, s25, v4
	v_xor_b32_e32 v4, s24, v4
	v_and_b32_e32 v34, v34, v4
	v_lshlrev_b32_e32 v4, 28, v5
	v_cmp_gt_i64_e64 s[24:25], 0, v[3:4]
	v_not_b32_e32 v4, v4
	v_ashrrev_i32_e32 v4, 31, v4
	v_and_b32_e32 v38, v38, v40
	;; [unrolled: 8-line block ×5, first 2 shown]
	v_xor_b32_e32 v40, s25, v4
	v_xor_b32_e32 v4, s24, v4
	v_and_b32_e32 v34, v34, v4
	v_lshlrev_b32_e32 v4, 24, v5
	v_cmp_gt_i64_e64 s[24:25], 0, v[3:4]
	v_not_b32_e32 v4, v4
	v_ashrrev_i32_e32 v4, 31, v4
	v_mad_u32_u24 v33, v5, 20, v24
	v_xor_b32_e32 v5, s25, v4
	v_xor_b32_e32 v4, s24, v4
	; wave barrier
	ds_read_b32 v32, v33 offset:16
	v_and_b32_e32 v38, v38, v40
	v_and_b32_e32 v4, v34, v4
	;; [unrolled: 1-line block ×3, first 2 shown]
	v_mbcnt_lo_u32_b32 v34, v4, 0
	v_mbcnt_hi_u32_b32 v34, v5, v34
	v_cmp_ne_u64_e64 s[24:25], 0, v[4:5]
	v_cmp_eq_u32_e64 s[26:27], 0, v34
	s_and_b64 s[26:27], s[24:25], s[26:27]
	; wave barrier
	s_and_saveexec_b64 s[24:25], s[26:27]
	s_cbranch_execz .LBB199_35
; %bb.34:
	v_bcnt_u32_b32 v4, v4, 0
	v_bcnt_u32_b32 v4, v5, v4
	s_waitcnt lgkmcnt(0)
	v_add_u32_e32 v4, v32, v4
	ds_write_b32 v33, v4 offset:16
.LBB199_35:
	s_or_b64 exec, exec, s[24:25]
	v_cmp_lt_i16_e64 s[24:25], -1, v36
	v_cndmask_b32_e64 v4, -1, v37, s[24:25]
	v_xor_b32_e32 v45, v4, v36
	v_cmp_ne_u16_e64 s[24:25], s28, v45
	v_cndmask_b32_e64 v4, v37, v45, s[24:25]
	v_lshrrev_b32_sdwa v4, s68, v4 dst_sel:DWORD dst_unused:UNUSED_PAD src0_sel:DWORD src1_sel:WORD_0
	v_and_b32_e32 v5, s74, v4
	v_and_b32_e32 v4, 1, v5
	v_add_co_u32_e64 v38, s[24:25], -1, v4
	v_addc_co_u32_e64 v40, s[24:25], 0, -1, s[24:25]
	v_cmp_ne_u32_e64 s[24:25], 0, v4
	v_xor_b32_e32 v4, s25, v40
	v_and_b32_e32 v40, exec_hi, v4
	v_lshlrev_b32_e32 v4, 30, v5
	v_xor_b32_e32 v38, s24, v38
	v_cmp_gt_i64_e64 s[24:25], 0, v[3:4]
	v_not_b32_e32 v4, v4
	v_ashrrev_i32_e32 v4, 31, v4
	v_and_b32_e32 v38, exec_lo, v38
	v_xor_b32_e32 v41, s25, v4
	v_xor_b32_e32 v4, s24, v4
	v_and_b32_e32 v38, v38, v4
	v_lshlrev_b32_e32 v4, 29, v5
	v_cmp_gt_i64_e64 s[24:25], 0, v[3:4]
	v_not_b32_e32 v4, v4
	v_ashrrev_i32_e32 v4, 31, v4
	v_and_b32_e32 v40, v40, v41
	v_xor_b32_e32 v41, s25, v4
	v_xor_b32_e32 v4, s24, v4
	v_and_b32_e32 v38, v38, v4
	v_lshlrev_b32_e32 v4, 28, v5
	v_cmp_gt_i64_e64 s[24:25], 0, v[3:4]
	v_not_b32_e32 v4, v4
	v_ashrrev_i32_e32 v4, 31, v4
	v_and_b32_e32 v40, v40, v41
	;; [unrolled: 8-line block ×5, first 2 shown]
	v_xor_b32_e32 v41, s25, v4
	v_xor_b32_e32 v4, s24, v4
	v_and_b32_e32 v38, v38, v4
	v_lshlrev_b32_e32 v4, 24, v5
	v_cmp_gt_i64_e64 s[24:25], 0, v[3:4]
	v_not_b32_e32 v3, v4
	v_ashrrev_i32_e32 v3, 31, v3
	v_mad_u32_u24 v37, v5, 20, v24
	v_xor_b32_e32 v4, s25, v3
	v_xor_b32_e32 v3, s24, v3
	; wave barrier
	ds_read_b32 v36, v37 offset:16
	v_and_b32_e32 v40, v40, v41
	v_and_b32_e32 v3, v38, v3
	;; [unrolled: 1-line block ×3, first 2 shown]
	v_mbcnt_lo_u32_b32 v5, v3, 0
	v_mbcnt_hi_u32_b32 v38, v4, v5
	v_cmp_ne_u64_e64 s[24:25], 0, v[3:4]
	v_cmp_eq_u32_e64 s[26:27], 0, v38
	s_and_b64 s[26:27], s[24:25], s[26:27]
	; wave barrier
	s_and_saveexec_b64 s[24:25], s[26:27]
	s_cbranch_execz .LBB199_37
; %bb.36:
	v_bcnt_u32_b32 v3, v3, 0
	v_bcnt_u32_b32 v3, v4, v3
	s_waitcnt lgkmcnt(0)
	v_add_u32_e32 v3, v36, v3
	ds_write_b32 v37, v3 offset:16
.LBB199_37:
	s_or_b64 exec, exec, s[24:25]
	v_mov_b32_e32 v40, 0xffff8000
	v_cmp_lt_i16_e64 s[24:25], -1, v39
	v_cndmask_b32_e64 v3, -1, v40, s[24:25]
	v_xor_b32_e32 v46, v3, v39
	v_cmp_ne_u16_e64 s[24:25], s28, v46
	v_cndmask_b32_e64 v3, v40, v46, s[24:25]
	v_lshrrev_b32_sdwa v3, s68, v3 dst_sel:DWORD dst_unused:UNUSED_PAD src0_sel:DWORD src1_sel:WORD_0
	v_and_b32_e32 v5, s74, v3
	v_and_b32_e32 v4, 1, v5
	v_add_co_u32_e64 v41, s[24:25], -1, v4
	v_addc_co_u32_e64 v42, s[24:25], 0, -1, s[24:25]
	v_cmp_ne_u32_e64 s[24:25], 0, v4
	v_xor_b32_e32 v4, s25, v42
	v_mov_b32_e32 v3, 0
	v_and_b32_e32 v42, exec_hi, v4
	v_lshlrev_b32_e32 v4, 30, v5
	v_xor_b32_e32 v41, s24, v41
	v_cmp_gt_i64_e64 s[24:25], 0, v[3:4]
	v_not_b32_e32 v4, v4
	v_ashrrev_i32_e32 v4, 31, v4
	v_and_b32_e32 v41, exec_lo, v41
	v_xor_b32_e32 v43, s25, v4
	v_xor_b32_e32 v4, s24, v4
	v_and_b32_e32 v41, v41, v4
	v_lshlrev_b32_e32 v4, 29, v5
	v_cmp_gt_i64_e64 s[24:25], 0, v[3:4]
	v_not_b32_e32 v4, v4
	v_ashrrev_i32_e32 v4, 31, v4
	v_and_b32_e32 v42, v42, v43
	v_xor_b32_e32 v43, s25, v4
	v_xor_b32_e32 v4, s24, v4
	v_and_b32_e32 v41, v41, v4
	v_lshlrev_b32_e32 v4, 28, v5
	v_cmp_gt_i64_e64 s[24:25], 0, v[3:4]
	v_not_b32_e32 v4, v4
	v_ashrrev_i32_e32 v4, 31, v4
	v_and_b32_e32 v42, v42, v43
	;; [unrolled: 8-line block ×5, first 2 shown]
	v_xor_b32_e32 v43, s25, v4
	v_xor_b32_e32 v4, s24, v4
	v_and_b32_e32 v41, v41, v4
	v_lshlrev_b32_e32 v4, 24, v5
	v_cmp_gt_i64_e64 s[24:25], 0, v[3:4]
	v_not_b32_e32 v4, v4
	v_ashrrev_i32_e32 v4, 31, v4
	v_mad_u32_u24 v39, v5, 20, v24
	v_xor_b32_e32 v5, s25, v4
	v_xor_b32_e32 v4, s24, v4
	; wave barrier
	ds_read_b32 v47, v39 offset:16
	v_and_b32_e32 v42, v42, v43
	v_and_b32_e32 v4, v41, v4
	;; [unrolled: 1-line block ×3, first 2 shown]
	v_mbcnt_lo_u32_b32 v41, v4, 0
	v_mbcnt_hi_u32_b32 v49, v5, v41
	v_cmp_ne_u64_e64 s[24:25], 0, v[4:5]
	v_cmp_eq_u32_e64 s[26:27], 0, v49
	s_and_b64 s[26:27], s[24:25], s[26:27]
	; wave barrier
	s_and_saveexec_b64 s[24:25], s[26:27]
	s_cbranch_execz .LBB199_39
; %bb.38:
	v_bcnt_u32_b32 v4, v4, 0
	v_bcnt_u32_b32 v4, v5, v4
	s_waitcnt lgkmcnt(0)
	v_add_u32_e32 v4, v47, v4
	ds_write_b32 v39, v4 offset:16
.LBB199_39:
	s_or_b64 exec, exec, s[24:25]
	v_cmp_lt_i16_e64 s[24:25], -1, v35
	v_cndmask_b32_e64 v4, -1, v40, s[24:25]
	v_xor_b32_e32 v48, v4, v35
	v_cmp_ne_u16_e64 s[24:25], s28, v48
	v_cndmask_b32_e64 v4, v40, v48, s[24:25]
	v_lshrrev_b32_sdwa v4, s68, v4 dst_sel:DWORD dst_unused:UNUSED_PAD src0_sel:DWORD src1_sel:WORD_0
	v_and_b32_e32 v5, s74, v4
	v_and_b32_e32 v4, 1, v5
	v_add_co_u32_e64 v41, s[24:25], -1, v4
	v_addc_co_u32_e64 v42, s[24:25], 0, -1, s[24:25]
	v_cmp_ne_u32_e64 s[24:25], 0, v4
	v_xor_b32_e32 v4, s25, v42
	v_and_b32_e32 v42, exec_hi, v4
	v_lshlrev_b32_e32 v4, 30, v5
	v_xor_b32_e32 v41, s24, v41
	v_cmp_gt_i64_e64 s[24:25], 0, v[3:4]
	v_not_b32_e32 v4, v4
	v_ashrrev_i32_e32 v4, 31, v4
	v_and_b32_e32 v41, exec_lo, v41
	v_xor_b32_e32 v43, s25, v4
	v_xor_b32_e32 v4, s24, v4
	v_and_b32_e32 v41, v41, v4
	v_lshlrev_b32_e32 v4, 29, v5
	v_cmp_gt_i64_e64 s[24:25], 0, v[3:4]
	v_not_b32_e32 v4, v4
	v_ashrrev_i32_e32 v4, 31, v4
	v_and_b32_e32 v42, v42, v43
	v_xor_b32_e32 v43, s25, v4
	v_xor_b32_e32 v4, s24, v4
	v_and_b32_e32 v41, v41, v4
	v_lshlrev_b32_e32 v4, 28, v5
	v_cmp_gt_i64_e64 s[24:25], 0, v[3:4]
	v_not_b32_e32 v4, v4
	v_ashrrev_i32_e32 v4, 31, v4
	v_and_b32_e32 v42, v42, v43
	;; [unrolled: 8-line block ×5, first 2 shown]
	v_xor_b32_e32 v43, s25, v4
	v_xor_b32_e32 v4, s24, v4
	v_and_b32_e32 v41, v41, v4
	v_lshlrev_b32_e32 v4, 24, v5
	v_cmp_gt_i64_e64 s[24:25], 0, v[3:4]
	v_not_b32_e32 v3, v4
	v_ashrrev_i32_e32 v3, 31, v3
	v_mad_u32_u24 v40, v5, 20, v24
	v_xor_b32_e32 v4, s25, v3
	v_xor_b32_e32 v3, s24, v3
	; wave barrier
	ds_read_b32 v35, v40 offset:16
	v_and_b32_e32 v42, v42, v43
	v_and_b32_e32 v3, v41, v3
	;; [unrolled: 1-line block ×3, first 2 shown]
	v_mbcnt_lo_u32_b32 v5, v3, 0
	v_mbcnt_hi_u32_b32 v51, v4, v5
	v_cmp_ne_u64_e64 s[24:25], 0, v[3:4]
	v_cmp_eq_u32_e64 s[26:27], 0, v51
	s_and_b64 s[26:27], s[24:25], s[26:27]
	; wave barrier
	s_and_saveexec_b64 s[24:25], s[26:27]
	s_cbranch_execz .LBB199_41
; %bb.40:
	v_bcnt_u32_b32 v3, v3, 0
	v_bcnt_u32_b32 v3, v4, v3
	s_waitcnt lgkmcnt(0)
	v_add_u32_e32 v3, v35, v3
	ds_write_b32 v40, v3 offset:16
.LBB199_41:
	s_or_b64 exec, exec, s[24:25]
	v_mov_b32_e32 v41, 0xffff8000
	v_cmp_lt_i16_e64 s[24:25], -1, v30
	v_cndmask_b32_e64 v3, -1, v41, s[24:25]
	v_xor_b32_e32 v50, v3, v30
	v_cmp_ne_u16_e64 s[24:25], s28, v50
	v_cndmask_b32_e64 v3, v41, v50, s[24:25]
	v_lshrrev_b32_sdwa v3, s68, v3 dst_sel:DWORD dst_unused:UNUSED_PAD src0_sel:DWORD src1_sel:WORD_0
	v_and_b32_e32 v5, s74, v3
	v_and_b32_e32 v4, 1, v5
	v_add_co_u32_e64 v42, s[24:25], -1, v4
	v_addc_co_u32_e64 v43, s[24:25], 0, -1, s[24:25]
	v_cmp_ne_u32_e64 s[24:25], 0, v4
	v_xor_b32_e32 v4, s25, v43
	v_mov_b32_e32 v3, 0
	v_and_b32_e32 v43, exec_hi, v4
	v_lshlrev_b32_e32 v4, 30, v5
	v_xor_b32_e32 v42, s24, v42
	v_cmp_gt_i64_e64 s[24:25], 0, v[3:4]
	v_not_b32_e32 v4, v4
	v_ashrrev_i32_e32 v4, 31, v4
	v_and_b32_e32 v42, exec_lo, v42
	v_xor_b32_e32 v44, s25, v4
	v_xor_b32_e32 v4, s24, v4
	v_and_b32_e32 v42, v42, v4
	v_lshlrev_b32_e32 v4, 29, v5
	v_cmp_gt_i64_e64 s[24:25], 0, v[3:4]
	v_not_b32_e32 v4, v4
	v_ashrrev_i32_e32 v4, 31, v4
	v_and_b32_e32 v43, v43, v44
	v_xor_b32_e32 v44, s25, v4
	v_xor_b32_e32 v4, s24, v4
	v_and_b32_e32 v42, v42, v4
	v_lshlrev_b32_e32 v4, 28, v5
	v_cmp_gt_i64_e64 s[24:25], 0, v[3:4]
	v_not_b32_e32 v4, v4
	v_ashrrev_i32_e32 v4, 31, v4
	v_and_b32_e32 v43, v43, v44
	;; [unrolled: 8-line block ×5, first 2 shown]
	v_xor_b32_e32 v44, s25, v4
	v_xor_b32_e32 v4, s24, v4
	v_and_b32_e32 v42, v42, v4
	v_lshlrev_b32_e32 v4, 24, v5
	v_cmp_gt_i64_e64 s[24:25], 0, v[3:4]
	v_not_b32_e32 v4, v4
	v_ashrrev_i32_e32 v4, 31, v4
	v_mad_u32_u24 v30, v5, 20, v24
	v_xor_b32_e32 v5, s25, v4
	v_xor_b32_e32 v4, s24, v4
	; wave barrier
	ds_read_b32 v52, v30 offset:16
	v_and_b32_e32 v43, v43, v44
	v_and_b32_e32 v4, v42, v4
	v_and_b32_e32 v5, v43, v5
	v_mbcnt_lo_u32_b32 v42, v4, 0
	v_mbcnt_hi_u32_b32 v53, v5, v42
	v_cmp_ne_u64_e64 s[24:25], 0, v[4:5]
	v_cmp_eq_u32_e64 s[26:27], 0, v53
	s_and_b64 s[26:27], s[24:25], s[26:27]
	; wave barrier
	s_and_saveexec_b64 s[24:25], s[26:27]
	s_cbranch_execz .LBB199_43
; %bb.42:
	v_bcnt_u32_b32 v4, v4, 0
	v_bcnt_u32_b32 v4, v5, v4
	s_waitcnt lgkmcnt(0)
	v_add_u32_e32 v4, v52, v4
	ds_write_b32 v30, v4 offset:16
.LBB199_43:
	s_or_b64 exec, exec, s[24:25]
	v_cmp_lt_i16_e64 s[24:25], -1, v26
	v_cndmask_b32_e64 v4, -1, v41, s[24:25]
	v_xor_b32_e32 v26, v4, v26
	v_cmp_ne_u16_e64 s[24:25], s28, v26
	v_cndmask_b32_e64 v4, v41, v26, s[24:25]
	v_lshrrev_b32_sdwa v4, s68, v4 dst_sel:DWORD dst_unused:UNUSED_PAD src0_sel:DWORD src1_sel:WORD_0
	v_and_b32_e32 v5, s74, v4
	v_and_b32_e32 v4, 1, v5
	v_add_co_u32_e64 v42, s[24:25], -1, v4
	v_addc_co_u32_e64 v43, s[24:25], 0, -1, s[24:25]
	v_cmp_ne_u32_e64 s[24:25], 0, v4
	v_xor_b32_e32 v4, s25, v43
	v_and_b32_e32 v43, exec_hi, v4
	v_lshlrev_b32_e32 v4, 30, v5
	v_xor_b32_e32 v42, s24, v42
	v_cmp_gt_i64_e64 s[24:25], 0, v[3:4]
	v_not_b32_e32 v4, v4
	v_ashrrev_i32_e32 v4, 31, v4
	v_and_b32_e32 v42, exec_lo, v42
	v_xor_b32_e32 v44, s25, v4
	v_xor_b32_e32 v4, s24, v4
	v_and_b32_e32 v42, v42, v4
	v_lshlrev_b32_e32 v4, 29, v5
	v_cmp_gt_i64_e64 s[24:25], 0, v[3:4]
	v_not_b32_e32 v4, v4
	v_ashrrev_i32_e32 v4, 31, v4
	v_and_b32_e32 v43, v43, v44
	v_xor_b32_e32 v44, s25, v4
	v_xor_b32_e32 v4, s24, v4
	v_and_b32_e32 v42, v42, v4
	v_lshlrev_b32_e32 v4, 28, v5
	v_cmp_gt_i64_e64 s[24:25], 0, v[3:4]
	v_not_b32_e32 v4, v4
	v_ashrrev_i32_e32 v4, 31, v4
	v_and_b32_e32 v43, v43, v44
	;; [unrolled: 8-line block ×5, first 2 shown]
	v_xor_b32_e32 v44, s25, v4
	v_xor_b32_e32 v4, s24, v4
	v_and_b32_e32 v42, v42, v4
	v_lshlrev_b32_e32 v4, 24, v5
	v_cmp_gt_i64_e64 s[24:25], 0, v[3:4]
	v_not_b32_e32 v3, v4
	v_ashrrev_i32_e32 v3, 31, v3
	v_mad_u32_u24 v41, v5, 20, v24
	v_xor_b32_e32 v4, s25, v3
	v_xor_b32_e32 v3, s24, v3
	; wave barrier
	ds_read_b32 v54, v41 offset:16
	v_and_b32_e32 v43, v43, v44
	v_and_b32_e32 v3, v42, v3
	v_and_b32_e32 v4, v43, v4
	v_mbcnt_lo_u32_b32 v5, v3, 0
	v_mbcnt_hi_u32_b32 v55, v4, v5
	v_cmp_ne_u64_e64 s[24:25], 0, v[3:4]
	v_cmp_eq_u32_e64 s[26:27], 0, v55
	s_and_b64 s[26:27], s[24:25], s[26:27]
	; wave barrier
	s_and_saveexec_b64 s[24:25], s[26:27]
	s_cbranch_execz .LBB199_45
; %bb.44:
	v_bcnt_u32_b32 v3, v3, 0
	v_bcnt_u32_b32 v3, v4, v3
	s_waitcnt lgkmcnt(0)
	v_add_u32_e32 v3, v54, v3
	ds_write_b32 v41, v3 offset:16
.LBB199_45:
	s_or_b64 exec, exec, s[24:25]
	v_mov_b32_e32 v43, 0xffff8000
	v_cmp_lt_i16_e64 s[24:25], -1, v21
	v_cndmask_b32_e64 v3, -1, v43, s[24:25]
	v_xor_b32_e32 v21, v3, v21
	v_cmp_ne_u16_e64 s[24:25], s28, v21
	v_cndmask_b32_e64 v3, v43, v21, s[24:25]
	v_lshrrev_b32_sdwa v3, s68, v3 dst_sel:DWORD dst_unused:UNUSED_PAD src0_sel:DWORD src1_sel:WORD_0
	v_and_b32_e32 v5, s74, v3
	v_and_b32_e32 v4, 1, v5
	v_add_co_u32_e64 v44, s[24:25], -1, v4
	v_addc_co_u32_e64 v57, s[24:25], 0, -1, s[24:25]
	v_cmp_ne_u32_e64 s[24:25], 0, v4
	v_xor_b32_e32 v4, s25, v57
	v_mov_b32_e32 v3, 0
	v_and_b32_e32 v57, exec_hi, v4
	v_lshlrev_b32_e32 v4, 30, v5
	v_xor_b32_e32 v44, s24, v44
	v_cmp_gt_i64_e64 s[24:25], 0, v[3:4]
	v_not_b32_e32 v4, v4
	v_ashrrev_i32_e32 v4, 31, v4
	v_and_b32_e32 v44, exec_lo, v44
	v_xor_b32_e32 v58, s25, v4
	v_xor_b32_e32 v4, s24, v4
	v_and_b32_e32 v44, v44, v4
	v_lshlrev_b32_e32 v4, 29, v5
	v_cmp_gt_i64_e64 s[24:25], 0, v[3:4]
	v_not_b32_e32 v4, v4
	v_ashrrev_i32_e32 v4, 31, v4
	v_and_b32_e32 v57, v57, v58
	v_xor_b32_e32 v58, s25, v4
	v_xor_b32_e32 v4, s24, v4
	v_and_b32_e32 v44, v44, v4
	v_lshlrev_b32_e32 v4, 28, v5
	v_cmp_gt_i64_e64 s[24:25], 0, v[3:4]
	v_not_b32_e32 v4, v4
	v_ashrrev_i32_e32 v4, 31, v4
	v_and_b32_e32 v57, v57, v58
	;; [unrolled: 8-line block ×5, first 2 shown]
	v_xor_b32_e32 v58, s25, v4
	v_xor_b32_e32 v4, s24, v4
	v_and_b32_e32 v44, v44, v4
	v_lshlrev_b32_e32 v4, 24, v5
	v_cmp_gt_i64_e64 s[24:25], 0, v[3:4]
	v_not_b32_e32 v4, v4
	v_ashrrev_i32_e32 v4, 31, v4
	v_mad_u32_u24 v42, v5, 20, v24
	v_xor_b32_e32 v5, s25, v4
	v_xor_b32_e32 v4, s24, v4
	; wave barrier
	ds_read_b32 v56, v42 offset:16
	v_and_b32_e32 v57, v57, v58
	v_and_b32_e32 v4, v44, v4
	;; [unrolled: 1-line block ×3, first 2 shown]
	v_mbcnt_lo_u32_b32 v44, v4, 0
	v_mbcnt_hi_u32_b32 v58, v5, v44
	v_cmp_ne_u64_e64 s[24:25], 0, v[4:5]
	v_cmp_eq_u32_e64 s[26:27], 0, v58
	s_and_b64 s[26:27], s[24:25], s[26:27]
	; wave barrier
	s_and_saveexec_b64 s[24:25], s[26:27]
	s_cbranch_execz .LBB199_47
; %bb.46:
	v_bcnt_u32_b32 v4, v4, 0
	v_bcnt_u32_b32 v4, v5, v4
	s_waitcnt lgkmcnt(0)
	v_add_u32_e32 v4, v56, v4
	ds_write_b32 v42, v4 offset:16
.LBB199_47:
	s_or_b64 exec, exec, s[24:25]
	v_cmp_lt_i16_e64 s[24:25], -1, v6
	v_cndmask_b32_e64 v4, -1, v43, s[24:25]
	v_xor_b32_e32 v57, v4, v6
	v_cmp_ne_u16_e64 s[24:25], s28, v57
	v_cndmask_b32_e64 v4, v43, v57, s[24:25]
	v_lshrrev_b32_sdwa v4, s68, v4 dst_sel:DWORD dst_unused:UNUSED_PAD src0_sel:DWORD src1_sel:WORD_0
	v_and_b32_e32 v5, s74, v4
	v_and_b32_e32 v4, 1, v5
	v_add_co_u32_e64 v6, s[24:25], -1, v4
	v_addc_co_u32_e64 v44, s[24:25], 0, -1, s[24:25]
	v_cmp_ne_u32_e64 s[24:25], 0, v4
	v_xor_b32_e32 v4, s25, v44
	v_and_b32_e32 v44, exec_hi, v4
	v_lshlrev_b32_e32 v4, 30, v5
	v_xor_b32_e32 v6, s24, v6
	v_cmp_gt_i64_e64 s[24:25], 0, v[3:4]
	v_not_b32_e32 v4, v4
	v_ashrrev_i32_e32 v4, 31, v4
	v_and_b32_e32 v6, exec_lo, v6
	v_xor_b32_e32 v59, s25, v4
	v_xor_b32_e32 v4, s24, v4
	v_and_b32_e32 v6, v6, v4
	v_lshlrev_b32_e32 v4, 29, v5
	v_cmp_gt_i64_e64 s[24:25], 0, v[3:4]
	v_not_b32_e32 v4, v4
	v_ashrrev_i32_e32 v4, 31, v4
	v_and_b32_e32 v44, v44, v59
	v_xor_b32_e32 v59, s25, v4
	v_xor_b32_e32 v4, s24, v4
	v_and_b32_e32 v6, v6, v4
	v_lshlrev_b32_e32 v4, 28, v5
	v_cmp_gt_i64_e64 s[24:25], 0, v[3:4]
	v_not_b32_e32 v4, v4
	v_ashrrev_i32_e32 v4, 31, v4
	v_and_b32_e32 v44, v44, v59
	;; [unrolled: 8-line block ×5, first 2 shown]
	v_xor_b32_e32 v59, s25, v4
	v_xor_b32_e32 v4, s24, v4
	v_and_b32_e32 v6, v6, v4
	v_lshlrev_b32_e32 v4, 24, v5
	v_cmp_gt_i64_e64 s[24:25], 0, v[3:4]
	v_not_b32_e32 v3, v4
	v_ashrrev_i32_e32 v3, 31, v3
	v_mad_u32_u24 v43, v5, 20, v24
	v_xor_b32_e32 v4, s25, v3
	v_xor_b32_e32 v3, s24, v3
	; wave barrier
	ds_read_b32 v24, v43 offset:16
	v_and_b32_e32 v44, v44, v59
	v_and_b32_e32 v3, v6, v3
	;; [unrolled: 1-line block ×3, first 2 shown]
	v_mbcnt_lo_u32_b32 v5, v3, 0
	v_mbcnt_hi_u32_b32 v59, v4, v5
	v_cmp_ne_u64_e64 s[24:25], 0, v[3:4]
	v_cmp_eq_u32_e64 s[26:27], 0, v59
	s_and_b64 s[26:27], s[24:25], s[26:27]
	; wave barrier
	s_and_saveexec_b64 s[24:25], s[26:27]
	s_cbranch_execz .LBB199_49
; %bb.48:
	v_bcnt_u32_b32 v3, v3, 0
	v_bcnt_u32_b32 v3, v4, v3
	s_waitcnt lgkmcnt(0)
	v_add_u32_e32 v3, v24, v3
	ds_write_b32 v43, v3 offset:16
.LBB199_49:
	s_or_b64 exec, exec, s[24:25]
	; wave barrier
	s_waitcnt lgkmcnt(0)
	s_barrier
	ds_read2_b32 v[5:6], v11 offset0:4 offset1:5
	ds_read2_b32 v[3:4], v11 offset0:6 offset1:7
	ds_read_b32 v44, v11 offset:32
	v_min_u32_e32 v7, 0xc0, v7
	v_or_b32_e32 v7, 63, v7
	s_waitcnt lgkmcnt(1)
	v_add3_u32 v60, v6, v5, v3
	s_waitcnt lgkmcnt(0)
	v_add3_u32 v44, v60, v4, v44
	v_and_b32_e32 v60, 15, v9
	v_cmp_ne_u32_e64 s[24:25], 0, v60
	v_mov_b32_dpp v61, v44 row_shr:1 row_mask:0xf bank_mask:0xf
	v_cndmask_b32_e64 v61, 0, v61, s[24:25]
	v_add_u32_e32 v44, v61, v44
	v_cmp_lt_u32_e64 s[24:25], 1, v60
	s_nop 0
	v_mov_b32_dpp v61, v44 row_shr:2 row_mask:0xf bank_mask:0xf
	v_cndmask_b32_e64 v61, 0, v61, s[24:25]
	v_add_u32_e32 v44, v44, v61
	v_cmp_lt_u32_e64 s[24:25], 3, v60
	s_nop 0
	;; [unrolled: 5-line block ×3, first 2 shown]
	v_mov_b32_dpp v61, v44 row_shr:8 row_mask:0xf bank_mask:0xf
	v_cndmask_b32_e64 v60, 0, v61, s[24:25]
	v_add_u32_e32 v44, v44, v60
	v_bfe_i32 v61, v9, 4, 1
	v_cmp_lt_u32_e64 s[24:25], 31, v9
	v_mov_b32_dpp v60, v44 row_bcast:15 row_mask:0xf bank_mask:0xf
	v_and_b32_e32 v60, v61, v60
	v_add_u32_e32 v44, v44, v60
	s_nop 1
	v_mov_b32_dpp v60, v44 row_bcast:31 row_mask:0xf bank_mask:0xf
	v_cndmask_b32_e64 v60, 0, v60, s[24:25]
	v_add_u32_e32 v44, v44, v60
	v_lshrrev_b32_e32 v60, 6, v0
	v_cmp_eq_u32_e64 s[24:25], v0, v7
	s_and_saveexec_b64 s[26:27], s[24:25]
; %bb.50:
	v_lshlrev_b32_e32 v7, 2, v60
	ds_write_b32 v7, v44
; %bb.51:
	s_or_b64 exec, exec, s[26:27]
	v_cmp_gt_u32_e64 s[24:25], 4, v0
	s_waitcnt lgkmcnt(0)
	s_barrier
	s_and_saveexec_b64 s[26:27], s[24:25]
	s_cbranch_execz .LBB199_53
; %bb.52:
	v_lshlrev_b32_e32 v7, 2, v0
	ds_read_b32 v61, v7
	v_and_b32_e32 v62, 3, v9
	v_cmp_ne_u32_e64 s[24:25], 0, v62
	s_waitcnt lgkmcnt(0)
	v_mov_b32_dpp v63, v61 row_shr:1 row_mask:0xf bank_mask:0xf
	v_cndmask_b32_e64 v63, 0, v63, s[24:25]
	v_add_u32_e32 v61, v63, v61
	v_cmp_lt_u32_e64 s[24:25], 1, v62
	s_nop 0
	v_mov_b32_dpp v63, v61 row_shr:2 row_mask:0xf bank_mask:0xf
	v_cndmask_b32_e64 v62, 0, v63, s[24:25]
	v_add_u32_e32 v61, v61, v62
	ds_write_b32 v7, v61
.LBB199_53:
	s_or_b64 exec, exec, s[26:27]
	v_cmp_lt_u32_e64 s[24:25], 63, v0
	v_mov_b32_e32 v7, 0
	s_waitcnt lgkmcnt(0)
	s_barrier
	s_and_saveexec_b64 s[26:27], s[24:25]
; %bb.54:
	v_lshl_add_u32 v7, v60, 2, -4
	ds_read_b32 v7, v7
; %bb.55:
	s_or_b64 exec, exec, s[26:27]
	v_add_u32_e32 v60, -1, v9
	v_and_b32_e32 v61, 64, v9
	v_cmp_lt_i32_e64 s[24:25], v60, v61
	v_cndmask_b32_e64 v60, v60, v9, s[24:25]
	s_waitcnt lgkmcnt(0)
	v_add_u32_e32 v44, v7, v44
	v_lshlrev_b32_e32 v60, 2, v60
	ds_bpermute_b32 v44, v60, v44
	v_cmp_eq_u32_e64 s[24:25], 0, v9
	s_waitcnt lgkmcnt(0)
	v_cndmask_b32_e64 v7, v44, v7, s[24:25]
	v_cmp_ne_u32_e64 s[24:25], 0, v0
	v_cndmask_b32_e64 v7, 0, v7, s[24:25]
	v_add_u32_e32 v5, v7, v5
	v_add_u32_e32 v6, v5, v6
	;; [unrolled: 1-line block ×4, first 2 shown]
	ds_write2_b32 v11, v7, v5 offset0:4 offset1:5
	ds_write2_b32 v11, v6, v3 offset0:6 offset1:7
	ds_write_b32 v11, v4 offset:32
	s_waitcnt lgkmcnt(0)
	s_barrier
	ds_read_b32 v4, v40 offset:16
	ds_read_b32 v5, v30 offset:16
	;; [unrolled: 1-line block ×13, first 2 shown]
	v_add_u32_e32 v11, 1, v0
	s_movk_i32 s24, 0x100
	v_cmp_ne_u32_e64 s[24:25], s24, v11
	v_mov_b32_e32 v3, 0xc00
	s_and_saveexec_b64 s[26:27], s[24:25]
; %bb.56:
	v_mul_u32_u24_e32 v3, 20, v11
	ds_read_b32 v3, v3 offset:16
; %bb.57:
	s_or_b64 exec, exec, s[26:27]
	s_waitcnt lgkmcnt(7)
	v_add_u32_e32 v44, v14, v12
	s_waitcnt lgkmcnt(6)
	v_add3_u32 v43, v17, v15, v16
	s_waitcnt lgkmcnt(2)
	v_add3_u32 v39, v38, v36, v37
	v_add3_u32 v37, v51, v35, v4
	v_lshlrev_b32_e32 v4, 1, v44
	v_add3_u32 v42, v23, v19, v20
	s_waitcnt lgkmcnt(0)
	s_barrier
	ds_write_b16 v4, v8 offset:2048
	v_lshlrev_b32_e32 v4, 1, v43
	v_add3_u32 v41, v28, v25, v27
	ds_write_b16 v4, v13 offset:2048
	v_lshlrev_b32_e32 v4, 1, v42
	v_add3_u32 v40, v34, v32, v33
	ds_write_b16 v4, v18 offset:2048
	v_lshlrev_b32_e32 v4, 1, v41
	ds_write_b16 v4, v22 offset:2048
	v_lshlrev_b32_e32 v4, 1, v40
	v_add3_u32 v38, v49, v47, v61
	ds_write_b16 v4, v31 offset:2048
	v_lshlrev_b32_e32 v4, 1, v39
	;; [unrolled: 5-line block ×3, first 2 shown]
	v_add3_u32 v35, v55, v54, v6
	ds_write_b16 v4, v48 offset:2048
	v_lshlrev_b32_e32 v4, 1, v36
	v_add3_u32 v34, v58, v56, v7
	ds_write_b16 v4, v50 offset:2048
	v_lshlrev_b32_e32 v4, 1, v35
	;; [unrolled: 3-line block ×3, first 2 shown]
	ds_write_b16 v4, v21 offset:2048
	v_lshlrev_b32_e32 v4, 1, v33
	ds_write_b16 v4, v57 offset:2048
	v_sub_u32_e32 v31, v3, v30
	v_lshl_or_b32 v3, s6, 8, v0
	v_mov_b32_e32 v4, 0
	v_lshlrev_b64 v[5:6], 2, v[3:4]
	v_mov_b32_e32 v11, s73
	v_add_co_u32_e64 v5, s[24:25], s72, v5
	v_addc_co_u32_e64 v6, s[24:25], v11, v6, s[24:25]
	v_or_b32_e32 v3, 2.0, v31
	s_mov_b64 s[26:27], 0
	s_brev_b32 s34, -4
	s_mov_b32 s35, s7
	v_mov_b32_e32 v12, 0
	s_waitcnt lgkmcnt(0)
	s_barrier
	global_store_dword v[5:6], v3, off
                                        ; implicit-def: $sgpr24_sgpr25
	s_branch .LBB199_60
.LBB199_58:                             ;   in Loop: Header=BB199_60 Depth=1
	s_or_b64 exec, exec, s[30:31]
.LBB199_59:                             ;   in Loop: Header=BB199_60 Depth=1
	s_or_b64 exec, exec, s[28:29]
	v_and_b32_e32 v7, 0x3fffffff, v3
	v_add_u32_e32 v12, v7, v12
	v_cmp_gt_i32_e64 s[24:25], -2.0, v3
	s_and_b64 s[28:29], exec, s[24:25]
	s_or_b64 s[26:27], s[28:29], s[26:27]
	s_andn2_b64 exec, exec, s[26:27]
	s_cbranch_execz .LBB199_65
.LBB199_60:                             ; =>This Loop Header: Depth=1
                                        ;     Child Loop BB199_63 Depth 2
	s_or_b64 s[24:25], s[24:25], exec
	s_cmp_eq_u32 s35, 0
	s_cbranch_scc1 .LBB199_64
; %bb.61:                               ;   in Loop: Header=BB199_60 Depth=1
	s_add_i32 s35, s35, -1
	v_lshl_or_b32 v3, s35, 8, v0
	v_lshlrev_b64 v[7:8], 2, v[3:4]
	v_add_co_u32_e64 v7, s[24:25], s72, v7
	v_addc_co_u32_e64 v8, s[24:25], v11, v8, s[24:25]
	global_load_dword v3, v[7:8], off glc
	s_waitcnt vmcnt(0)
	v_cmp_gt_u32_e64 s[24:25], 2.0, v3
	s_and_saveexec_b64 s[28:29], s[24:25]
	s_cbranch_execz .LBB199_59
; %bb.62:                               ;   in Loop: Header=BB199_60 Depth=1
	s_mov_b64 s[30:31], 0
.LBB199_63:                             ;   Parent Loop BB199_60 Depth=1
                                        ; =>  This Inner Loop Header: Depth=2
	global_load_dword v3, v[7:8], off glc
	s_waitcnt vmcnt(0)
	v_cmp_lt_u32_e64 s[24:25], s34, v3
	s_or_b64 s[30:31], s[24:25], s[30:31]
	s_andn2_b64 exec, exec, s[30:31]
	s_cbranch_execnz .LBB199_63
	s_branch .LBB199_58
.LBB199_64:                             ;   in Loop: Header=BB199_60 Depth=1
                                        ; implicit-def: $sgpr35
	s_and_b64 s[28:29], exec, s[24:25]
	s_or_b64 s[26:27], s[28:29], s[26:27]
	s_andn2_b64 exec, exec, s[26:27]
	s_cbranch_execnz .LBB199_60
.LBB199_65:
	s_or_b64 exec, exec, s[26:27]
	v_add_u32_e32 v3, v12, v31
	v_or_b32_e32 v3, 0x80000000, v3
	v_lshlrev_b32_e32 v32, 3, v0
	global_store_dword v[5:6], v3, off
	global_load_dwordx2 v[3:4], v32, s[64:65]
	v_sub_co_u32_e64 v5, s[24:25], v12, v30
	v_subb_co_u32_e64 v6, s[24:25], 0, 0, s[24:25]
	s_waitcnt vmcnt(0)
	v_add_co_u32_e64 v3, s[24:25], v5, v3
	v_addc_co_u32_e64 v4, s[24:25], v6, v4, s[24:25]
	v_cmp_gt_u32_e64 s[24:25], s70, v0
	ds_write_b64 v32, v[3:4]
	s_waitcnt lgkmcnt(0)
	s_barrier
	s_and_saveexec_b64 s[28:29], s[24:25]
	s_cbranch_execz .LBB199_67
; %bb.66:
	v_mad_i32_i24 v3, v0, -6, v32
	ds_read_u16 v5, v3 offset:2048
	s_movk_i32 s26, 0x7fff
	v_mov_b32_e32 v6, 0xffff8000
	v_mov_b32_e32 v7, s59
	s_waitcnt lgkmcnt(0)
	v_cmp_ne_u16_e64 s[26:27], s26, v5
	v_cndmask_b32_e64 v3, v6, v5, s[26:27]
	v_lshrrev_b32_sdwa v3, s68, v3 dst_sel:DWORD dst_unused:UNUSED_PAD src0_sel:DWORD src1_sel:WORD_0
	v_and_b32_e32 v3, s74, v3
	v_lshlrev_b32_e32 v3, 3, v3
	ds_read_b64 v[3:4], v3
	v_cmp_lt_i16_e64 s[26:27], -1, v5
	v_cndmask_b32_e64 v6, v6, -1, s[26:27]
	v_xor_b32_e32 v5, v6, v5
	v_lshlrev_b32_e32 v6, 1, v0
	s_waitcnt lgkmcnt(0)
	v_lshlrev_b64 v[3:4], 1, v[3:4]
	v_add_co_u32_e64 v3, s[26:27], s58, v3
	v_addc_co_u32_e64 v4, s[26:27], v7, v4, s[26:27]
	v_add_co_u32_e64 v3, s[26:27], v3, v6
	v_addc_co_u32_e64 v4, s[26:27], 0, v4, s[26:27]
	global_store_short v[3:4], v5, off
.LBB199_67:
	s_or_b64 exec, exec, s[28:29]
	v_or_b32_e32 v3, 0x100, v0
	v_cmp_gt_u32_e64 s[26:27], s70, v3
	s_and_saveexec_b64 s[30:31], s[26:27]
	s_cbranch_execz .LBB199_69
; %bb.68:
	v_mad_i32_i24 v3, v0, -6, v32
	ds_read_u16 v5, v3 offset:2560
	s_movk_i32 s28, 0x7fff
	v_mov_b32_e32 v6, 0xffff8000
	v_mov_b32_e32 v7, s59
	s_waitcnt lgkmcnt(0)
	v_cmp_ne_u16_e64 s[28:29], s28, v5
	v_cndmask_b32_e64 v3, v6, v5, s[28:29]
	v_lshrrev_b32_sdwa v3, s68, v3 dst_sel:DWORD dst_unused:UNUSED_PAD src0_sel:DWORD src1_sel:WORD_0
	v_and_b32_e32 v3, s74, v3
	v_lshlrev_b32_e32 v3, 3, v3
	ds_read_b64 v[3:4], v3
	v_cmp_lt_i16_e64 s[28:29], -1, v5
	v_cndmask_b32_e64 v6, v6, -1, s[28:29]
	v_xor_b32_e32 v5, v6, v5
	v_lshlrev_b32_e32 v6, 1, v0
	s_waitcnt lgkmcnt(0)
	v_lshlrev_b64 v[3:4], 1, v[3:4]
	v_add_co_u32_e64 v3, s[28:29], s58, v3
	v_addc_co_u32_e64 v4, s[28:29], v7, v4, s[28:29]
	v_add_co_u32_e64 v3, s[28:29], v3, v6
	v_addc_co_u32_e64 v4, s[28:29], 0, v4, s[28:29]
	global_store_short v[3:4], v5, off offset:512
.LBB199_69:
	s_or_b64 exec, exec, s[30:31]
	v_or_b32_e32 v45, 0x200, v0
	v_cmp_gt_u32_e64 s[28:29], s70, v45
	s_and_saveexec_b64 s[34:35], s[28:29]
	s_cbranch_execz .LBB199_71
; %bb.70:
	v_mad_i32_i24 v3, v0, -6, v32
	ds_read_u16 v5, v3 offset:3072
	s_movk_i32 s30, 0x7fff
	v_mov_b32_e32 v6, 0xffff8000
	v_mov_b32_e32 v7, s59
	s_waitcnt lgkmcnt(0)
	v_cmp_ne_u16_e64 s[30:31], s30, v5
	v_cndmask_b32_e64 v3, v6, v5, s[30:31]
	v_lshrrev_b32_sdwa v3, s68, v3 dst_sel:DWORD dst_unused:UNUSED_PAD src0_sel:DWORD src1_sel:WORD_0
	v_and_b32_e32 v3, s74, v3
	v_lshlrev_b32_e32 v3, 3, v3
	ds_read_b64 v[3:4], v3
	v_cmp_lt_i16_e64 s[30:31], -1, v5
	v_cndmask_b32_e64 v6, v6, -1, s[30:31]
	v_xor_b32_e32 v5, v6, v5
	v_lshlrev_b32_e32 v6, 1, v0
	s_waitcnt lgkmcnt(0)
	v_lshlrev_b64 v[3:4], 1, v[3:4]
	v_add_co_u32_e64 v3, s[30:31], s58, v3
	v_addc_co_u32_e64 v4, s[30:31], v7, v4, s[30:31]
	v_add_co_u32_e64 v3, s[30:31], v3, v6
	v_addc_co_u32_e64 v4, s[30:31], 0, v4, s[30:31]
	global_store_short v[3:4], v5, off offset:1024
.LBB199_71:
	;; [unrolled: 30-line block ×6, first 2 shown]
	s_or_b64 exec, exec, s[42:43]
	v_or_b32_e32 v50, 0x700, v0
	v_cmp_gt_u32_e64 s[40:41], s70, v50
	s_and_saveexec_b64 s[44:45], s[40:41]
	s_cbranch_execz .LBB199_81
; %bb.80:
	v_lshlrev_b32_e32 v5, 1, v0
	ds_read_u16 v6, v5 offset:5632
	s_movk_i32 s42, 0x7fff
	v_mov_b32_e32 v7, 0xffff8000
	v_mov_b32_e32 v8, s59
	s_waitcnt lgkmcnt(0)
	v_cmp_ne_u16_e64 s[42:43], s42, v6
	v_cndmask_b32_e64 v3, v7, v6, s[42:43]
	v_lshrrev_b32_sdwa v3, s68, v3 dst_sel:DWORD dst_unused:UNUSED_PAD src0_sel:DWORD src1_sel:WORD_0
	v_and_b32_e32 v3, s74, v3
	v_lshlrev_b32_e32 v3, 3, v3
	ds_read_b64 v[3:4], v3
	v_cmp_lt_i16_e64 s[42:43], -1, v6
	v_cndmask_b32_e64 v7, v7, -1, s[42:43]
	v_xor_b32_e32 v6, v7, v6
	s_waitcnt lgkmcnt(0)
	v_lshlrev_b64 v[3:4], 1, v[3:4]
	v_add_co_u32_e64 v3, s[42:43], s58, v3
	v_addc_co_u32_e64 v4, s[42:43], v8, v4, s[42:43]
	v_add_co_u32_e64 v3, s[42:43], v3, v5
	v_addc_co_u32_e64 v4, s[42:43], 0, v4, s[42:43]
	global_store_short v[3:4], v6, off offset:3584
.LBB199_81:
	s_or_b64 exec, exec, s[44:45]
	v_or_b32_e32 v51, 0x800, v0
	v_cmp_gt_u32_e64 s[42:43], s70, v51
	s_and_saveexec_b64 s[46:47], s[42:43]
	s_cbranch_execz .LBB199_83
; %bb.82:
	v_lshlrev_b32_e32 v3, 1, v0
	ds_read_u16 v5, v3 offset:6144
	s_movk_i32 s44, 0x7fff
	v_mov_b32_e32 v6, 0xffff8000
	v_mov_b32_e32 v7, s59
	s_waitcnt lgkmcnt(0)
	v_cmp_ne_u16_e64 s[44:45], s44, v5
	v_cndmask_b32_e64 v3, v6, v5, s[44:45]
	v_lshrrev_b32_sdwa v3, s68, v3 dst_sel:DWORD dst_unused:UNUSED_PAD src0_sel:DWORD src1_sel:WORD_0
	v_and_b32_e32 v3, s74, v3
	v_lshlrev_b32_e32 v3, 3, v3
	ds_read_b64 v[3:4], v3
	v_cmp_lt_i16_e64 s[44:45], -1, v5
	v_cndmask_b32_e64 v6, v6, -1, s[44:45]
	v_xor_b32_e32 v5, v6, v5
	v_lshlrev_b32_e32 v6, 1, v51
	s_waitcnt lgkmcnt(0)
	v_lshlrev_b64 v[3:4], 1, v[3:4]
	v_add_co_u32_e64 v3, s[44:45], s58, v3
	v_addc_co_u32_e64 v4, s[44:45], v7, v4, s[44:45]
	v_add_co_u32_e64 v3, s[44:45], v3, v6
	v_addc_co_u32_e64 v4, s[44:45], 0, v4, s[44:45]
	global_store_short v[3:4], v5, off
.LBB199_83:
	s_or_b64 exec, exec, s[46:47]
	v_or_b32_e32 v52, 0x900, v0
	v_cmp_gt_u32_e64 s[44:45], s70, v52
	s_and_saveexec_b64 s[48:49], s[44:45]
	s_cbranch_execz .LBB199_85
; %bb.84:
	v_lshlrev_b32_e32 v3, 1, v0
	ds_read_u16 v5, v3 offset:6656
	s_movk_i32 s46, 0x7fff
	v_mov_b32_e32 v6, 0xffff8000
	v_mov_b32_e32 v7, s59
	s_waitcnt lgkmcnt(0)
	v_cmp_ne_u16_e64 s[46:47], s46, v5
	v_cndmask_b32_e64 v3, v6, v5, s[46:47]
	v_lshrrev_b32_sdwa v3, s68, v3 dst_sel:DWORD dst_unused:UNUSED_PAD src0_sel:DWORD src1_sel:WORD_0
	v_and_b32_e32 v3, s74, v3
	v_lshlrev_b32_e32 v3, 3, v3
	ds_read_b64 v[3:4], v3
	v_cmp_lt_i16_e64 s[46:47], -1, v5
	v_cndmask_b32_e64 v6, v6, -1, s[46:47]
	v_xor_b32_e32 v5, v6, v5
	v_lshlrev_b32_e32 v6, 1, v52
	s_waitcnt lgkmcnt(0)
	v_lshlrev_b64 v[3:4], 1, v[3:4]
	v_add_co_u32_e64 v3, s[46:47], s58, v3
	v_addc_co_u32_e64 v4, s[46:47], v7, v4, s[46:47]
	v_add_co_u32_e64 v3, s[46:47], v3, v6
	v_addc_co_u32_e64 v4, s[46:47], 0, v4, s[46:47]
	global_store_short v[3:4], v5, off
.LBB199_85:
	;; [unrolled: 30-line block ×4, first 2 shown]
	s_or_b64 exec, exec, s[70:71]
	s_lshl_b64 s[52:53], s[54:55], 3
	s_add_u32 s52, s60, s52
	s_addc_u32 s53, s61, s53
	v_lshlrev_b32_e32 v3, 3, v9
	v_mov_b32_e32 v4, s53
	v_add_co_u32_e64 v3, s[52:53], s52, v3
	v_addc_co_u32_e64 v4, s[52:53], 0, v4, s[52:53]
	v_lshlrev_b32_e32 v5, 3, v10
	v_add_co_u32_e64 v27, s[52:53], v3, v5
	v_addc_co_u32_e64 v28, s[52:53], 0, v4, s[52:53]
                                        ; implicit-def: $vgpr3_vgpr4
	s_and_saveexec_b64 s[52:53], vcc
	s_xor_b64 s[52:53], exec, s[52:53]
	s_cbranch_execz .LBB199_101
; %bb.90:
	global_load_dwordx2 v[3:4], v[27:28], off
	s_or_b64 exec, exec, s[52:53]
                                        ; implicit-def: $vgpr5_vgpr6
	s_and_saveexec_b64 s[52:53], s[0:1]
	s_cbranch_execnz .LBB199_102
.LBB199_91:
	s_or_b64 exec, exec, s[52:53]
                                        ; implicit-def: $vgpr7_vgpr8
	s_and_saveexec_b64 s[0:1], s[2:3]
	s_cbranch_execz .LBB199_103
.LBB199_92:
	global_load_dwordx2 v[7:8], v[27:28], off offset:1024
	s_or_b64 exec, exec, s[0:1]
                                        ; implicit-def: $vgpr9_vgpr10
	s_and_saveexec_b64 s[0:1], s[50:51]
	s_cbranch_execnz .LBB199_104
.LBB199_93:
	s_or_b64 exec, exec, s[0:1]
                                        ; implicit-def: $vgpr11_vgpr12
	s_and_saveexec_b64 s[0:1], s[8:9]
	s_cbranch_execz .LBB199_105
.LBB199_94:
	global_load_dwordx2 v[11:12], v[27:28], off offset:2048
	s_or_b64 exec, exec, s[0:1]
                                        ; implicit-def: $vgpr13_vgpr14
	s_and_saveexec_b64 s[0:1], s[12:13]
	s_cbranch_execnz .LBB199_106
.LBB199_95:
	s_or_b64 exec, exec, s[0:1]
                                        ; implicit-def: $vgpr15_vgpr16
	s_and_saveexec_b64 s[0:1], s[16:17]
	s_cbranch_execz .LBB199_107
.LBB199_96:
	global_load_dwordx2 v[15:16], v[27:28], off offset:3072
	s_or_b64 exec, exec, s[0:1]
                                        ; implicit-def: $vgpr17_vgpr18
	s_and_saveexec_b64 s[0:1], s[20:21]
	s_cbranch_execnz .LBB199_108
.LBB199_97:
	s_or_b64 exec, exec, s[0:1]
                                        ; implicit-def: $vgpr19_vgpr20
	s_and_saveexec_b64 s[0:1], s[22:23]
	s_cbranch_execz .LBB199_109
.LBB199_98:
	v_add_co_u32_e32 v19, vcc, 0x1000, v27
	v_addc_co_u32_e32 v20, vcc, 0, v28, vcc
	global_load_dwordx2 v[19:20], v[19:20], off
	s_or_b64 exec, exec, s[0:1]
                                        ; implicit-def: $vgpr21_vgpr22
	s_and_saveexec_b64 s[0:1], s[18:19]
	s_cbranch_execnz .LBB199_110
.LBB199_99:
	s_or_b64 exec, exec, s[0:1]
                                        ; implicit-def: $vgpr23_vgpr24
	s_and_saveexec_b64 s[0:1], s[14:15]
	s_cbranch_execz .LBB199_111
.LBB199_100:
	v_add_co_u32_e32 v23, vcc, 0x1000, v27
	v_addc_co_u32_e32 v24, vcc, 0, v28, vcc
	global_load_dwordx2 v[23:24], v[23:24], off offset:1024
	s_or_b64 exec, exec, s[0:1]
                                        ; implicit-def: $vgpr25_vgpr26
	s_and_saveexec_b64 s[0:1], s[10:11]
	s_cbranch_execnz .LBB199_112
	s_branch .LBB199_113
.LBB199_101:
	s_or_b64 exec, exec, s[52:53]
                                        ; implicit-def: $vgpr5_vgpr6
	s_and_saveexec_b64 s[52:53], s[0:1]
	s_cbranch_execz .LBB199_91
.LBB199_102:
	global_load_dwordx2 v[5:6], v[27:28], off offset:512
	s_or_b64 exec, exec, s[52:53]
                                        ; implicit-def: $vgpr7_vgpr8
	s_and_saveexec_b64 s[0:1], s[2:3]
	s_cbranch_execnz .LBB199_92
.LBB199_103:
	s_or_b64 exec, exec, s[0:1]
                                        ; implicit-def: $vgpr9_vgpr10
	s_and_saveexec_b64 s[0:1], s[50:51]
	s_cbranch_execz .LBB199_93
.LBB199_104:
	global_load_dwordx2 v[9:10], v[27:28], off offset:1536
	s_or_b64 exec, exec, s[0:1]
                                        ; implicit-def: $vgpr11_vgpr12
	s_and_saveexec_b64 s[0:1], s[8:9]
	s_cbranch_execnz .LBB199_94
.LBB199_105:
	s_or_b64 exec, exec, s[0:1]
                                        ; implicit-def: $vgpr13_vgpr14
	s_and_saveexec_b64 s[0:1], s[12:13]
	s_cbranch_execz .LBB199_95
.LBB199_106:
	global_load_dwordx2 v[13:14], v[27:28], off offset:2560
	s_or_b64 exec, exec, s[0:1]
                                        ; implicit-def: $vgpr15_vgpr16
	s_and_saveexec_b64 s[0:1], s[16:17]
	s_cbranch_execnz .LBB199_96
.LBB199_107:
	s_or_b64 exec, exec, s[0:1]
                                        ; implicit-def: $vgpr17_vgpr18
	s_and_saveexec_b64 s[0:1], s[20:21]
	s_cbranch_execz .LBB199_97
.LBB199_108:
	global_load_dwordx2 v[17:18], v[27:28], off offset:3584
	s_or_b64 exec, exec, s[0:1]
                                        ; implicit-def: $vgpr19_vgpr20
	s_and_saveexec_b64 s[0:1], s[22:23]
	s_cbranch_execnz .LBB199_98
.LBB199_109:
	s_or_b64 exec, exec, s[0:1]
                                        ; implicit-def: $vgpr21_vgpr22
	s_and_saveexec_b64 s[0:1], s[18:19]
	s_cbranch_execz .LBB199_99
.LBB199_110:
	v_add_co_u32_e32 v21, vcc, 0x1000, v27
	v_addc_co_u32_e32 v22, vcc, 0, v28, vcc
	global_load_dwordx2 v[21:22], v[21:22], off offset:512
	s_or_b64 exec, exec, s[0:1]
                                        ; implicit-def: $vgpr23_vgpr24
	s_and_saveexec_b64 s[0:1], s[14:15]
	s_cbranch_execnz .LBB199_100
.LBB199_111:
	s_or_b64 exec, exec, s[0:1]
                                        ; implicit-def: $vgpr25_vgpr26
	s_and_saveexec_b64 s[0:1], s[10:11]
	s_cbranch_execz .LBB199_113
.LBB199_112:
	v_add_co_u32_e32 v25, vcc, 0x1000, v27
	v_addc_co_u32_e32 v26, vcc, 0, v28, vcc
	global_load_dwordx2 v[25:26], v[25:26], off offset:1536
.LBB199_113:
	s_or_b64 exec, exec, s[0:1]
	v_mov_b32_e32 v60, 0
	v_mov_b32_e32 v64, 0
	s_and_saveexec_b64 s[0:1], s[24:25]
	s_cbranch_execz .LBB199_115
; %bb.114:
	v_lshlrev_b32_e32 v27, 1, v0
	ds_read_u16 v27, v27 offset:2048
	s_movk_i32 s2, 0x7fff
	v_mov_b32_e32 v28, 0xffff8000
	s_waitcnt lgkmcnt(0)
	v_cmp_ne_u16_e32 vcc, s2, v27
	v_cndmask_b32_e32 v27, v28, v27, vcc
	v_lshrrev_b32_sdwa v27, s68, v27 dst_sel:DWORD dst_unused:UNUSED_PAD src0_sel:DWORD src1_sel:WORD_0
	v_and_b32_e32 v64, s74, v27
.LBB199_115:
	s_or_b64 exec, exec, s[0:1]
	s_and_saveexec_b64 s[0:1], s[26:27]
	s_cbranch_execz .LBB199_117
; %bb.116:
	v_lshlrev_b32_e32 v27, 1, v0
	ds_read_u16 v27, v27 offset:2560
	s_movk_i32 s2, 0x7fff
	v_mov_b32_e32 v28, 0xffff8000
	s_waitcnt lgkmcnt(0)
	v_cmp_ne_u16_e32 vcc, s2, v27
	v_cndmask_b32_e32 v27, v28, v27, vcc
	v_lshrrev_b32_sdwa v27, s68, v27 dst_sel:DWORD dst_unused:UNUSED_PAD src0_sel:DWORD src1_sel:WORD_0
	v_and_b32_e32 v60, s74, v27
.LBB199_117:
	s_or_b64 exec, exec, s[0:1]
	v_mov_b32_e32 v58, 0
	v_mov_b32_e32 v63, 0
	s_and_saveexec_b64 s[0:1], s[28:29]
	s_cbranch_execz .LBB199_119
; %bb.118:
	v_lshlrev_b32_e32 v27, 1, v0
	ds_read_u16 v27, v27 offset:3072
	s_movk_i32 s2, 0x7fff
	v_mov_b32_e32 v28, 0xffff8000
	s_waitcnt lgkmcnt(0)
	v_cmp_ne_u16_e32 vcc, s2, v27
	v_cndmask_b32_e32 v27, v28, v27, vcc
	v_lshrrev_b32_sdwa v27, s68, v27 dst_sel:DWORD dst_unused:UNUSED_PAD src0_sel:DWORD src1_sel:WORD_0
	v_and_b32_e32 v63, s74, v27
.LBB199_119:
	s_or_b64 exec, exec, s[0:1]
	s_and_saveexec_b64 s[0:1], s[30:31]
	s_cbranch_execz .LBB199_121
; %bb.120:
	v_lshlrev_b32_e32 v27, 1, v0
	ds_read_u16 v27, v27 offset:3584
	s_movk_i32 s2, 0x7fff
	v_mov_b32_e32 v28, 0xffff8000
	s_waitcnt lgkmcnt(0)
	v_cmp_ne_u16_e32 vcc, s2, v27
	v_cndmask_b32_e32 v27, v28, v27, vcc
	v_lshrrev_b32_sdwa v27, s68, v27 dst_sel:DWORD dst_unused:UNUSED_PAD src0_sel:DWORD src1_sel:WORD_0
	v_and_b32_e32 v58, s74, v27
.LBB199_121:
	;; [unrolled: 30-line block ×6, first 2 shown]
	s_or_b64 exec, exec, s[0:1]
	v_lshlrev_b32_e32 v44, 3, v44
	s_waitcnt vmcnt(0)
	s_barrier
	ds_write_b64 v44, v[3:4] offset:2048
	v_lshlrev_b32_e32 v3, 3, v43
	ds_write_b64 v3, v[5:6] offset:2048
	v_lshlrev_b32_e32 v3, 3, v42
	;; [unrolled: 2-line block ×11, first 2 shown]
	ds_write_b64 v3, v[25:26] offset:2048
	s_waitcnt lgkmcnt(0)
	s_barrier
	s_and_saveexec_b64 s[0:1], s[24:25]
	s_cbranch_execz .LBB199_196
; %bb.138:
	v_lshlrev_b32_e32 v3, 3, v64
	ds_read_b64 v[3:4], v3
	ds_read_b64 v[5:6], v32 offset:2048
	v_mov_b32_e32 v7, s63
	s_waitcnt lgkmcnt(1)
	v_lshlrev_b64 v[3:4], 3, v[3:4]
	v_add_co_u32_e32 v3, vcc, s62, v3
	v_addc_co_u32_e32 v4, vcc, v7, v4, vcc
	v_add_co_u32_e32 v3, vcc, v3, v32
	v_addc_co_u32_e32 v4, vcc, 0, v4, vcc
	s_waitcnt lgkmcnt(0)
	global_store_dwordx2 v[3:4], v[5:6], off
	s_or_b64 exec, exec, s[0:1]
	s_and_saveexec_b64 s[0:1], s[26:27]
	s_cbranch_execnz .LBB199_197
.LBB199_139:
	s_or_b64 exec, exec, s[0:1]
	s_and_saveexec_b64 s[0:1], s[28:29]
	s_cbranch_execz .LBB199_198
.LBB199_140:
	v_lshlrev_b32_e32 v3, 3, v63
	ds_read_b64 v[3:4], v3
	ds_read_b64 v[5:6], v32 offset:6144
	v_mov_b32_e32 v7, s63
	s_waitcnt lgkmcnt(1)
	v_lshlrev_b64 v[3:4], 3, v[3:4]
	v_add_co_u32_e32 v3, vcc, s62, v3
	v_addc_co_u32_e32 v4, vcc, v7, v4, vcc
	v_lshlrev_b32_e32 v7, 3, v45
	v_add_co_u32_e32 v3, vcc, v3, v7
	v_addc_co_u32_e32 v4, vcc, 0, v4, vcc
	s_waitcnt lgkmcnt(0)
	global_store_dwordx2 v[3:4], v[5:6], off
	s_or_b64 exec, exec, s[0:1]
	s_and_saveexec_b64 s[0:1], s[30:31]
	s_cbranch_execnz .LBB199_199
.LBB199_141:
	s_or_b64 exec, exec, s[0:1]
	s_and_saveexec_b64 s[0:1], s[34:35]
	s_cbranch_execz .LBB199_200
.LBB199_142:
	v_lshlrev_b32_e32 v3, 3, v62
	ds_read_b64 v[3:4], v3
	ds_read_b64 v[5:6], v32 offset:10240
	v_mov_b32_e32 v7, s63
	s_waitcnt lgkmcnt(1)
	v_lshlrev_b64 v[3:4], 3, v[3:4]
	v_add_co_u32_e32 v3, vcc, s62, v3
	v_addc_co_u32_e32 v4, vcc, v7, v4, vcc
	v_lshlrev_b32_e32 v7, 3, v47
	v_add_co_u32_e32 v3, vcc, v3, v7
	v_addc_co_u32_e32 v4, vcc, 0, v4, vcc
	s_waitcnt lgkmcnt(0)
	global_store_dwordx2 v[3:4], v[5:6], off
	s_or_b64 exec, exec, s[0:1]
	s_and_saveexec_b64 s[0:1], s[36:37]
	s_cbranch_execnz .LBB199_201
.LBB199_143:
	s_or_b64 exec, exec, s[0:1]
	s_and_saveexec_b64 s[0:1], s[38:39]
	s_cbranch_execz .LBB199_202
.LBB199_144:
	v_lshlrev_b32_e32 v3, 3, v61
	ds_read_b64 v[3:4], v3
	ds_read_b64 v[5:6], v32 offset:14336
	v_mov_b32_e32 v7, s63
	s_waitcnt lgkmcnt(1)
	v_lshlrev_b64 v[3:4], 3, v[3:4]
	v_add_co_u32_e32 v3, vcc, s62, v3
	v_addc_co_u32_e32 v4, vcc, v7, v4, vcc
	v_lshlrev_b32_e32 v7, 3, v49
	v_add_co_u32_e32 v3, vcc, v3, v7
	v_addc_co_u32_e32 v4, vcc, 0, v4, vcc
	s_waitcnt lgkmcnt(0)
	global_store_dwordx2 v[3:4], v[5:6], off
	s_or_b64 exec, exec, s[0:1]
	s_and_saveexec_b64 s[0:1], s[40:41]
	s_cbranch_execnz .LBB199_203
.LBB199_145:
	s_or_b64 exec, exec, s[0:1]
	s_and_saveexec_b64 s[0:1], s[42:43]
	s_cbranch_execz .LBB199_204
.LBB199_146:
	v_lshlrev_b32_e32 v3, 3, v59
	ds_read_b64 v[3:4], v3
	ds_read_b64 v[5:6], v32 offset:18432
	v_mov_b32_e32 v7, s63
	s_waitcnt lgkmcnt(1)
	v_lshlrev_b64 v[3:4], 3, v[3:4]
	v_add_co_u32_e32 v3, vcc, s62, v3
	v_addc_co_u32_e32 v4, vcc, v7, v4, vcc
	v_lshlrev_b32_e32 v7, 3, v51
	v_add_co_u32_e32 v3, vcc, v3, v7
	v_addc_co_u32_e32 v4, vcc, 0, v4, vcc
	s_waitcnt lgkmcnt(0)
	global_store_dwordx2 v[3:4], v[5:6], off
	s_or_b64 exec, exec, s[0:1]
	s_and_saveexec_b64 s[0:1], s[44:45]
	s_cbranch_execnz .LBB199_205
.LBB199_147:
	s_or_b64 exec, exec, s[0:1]
	s_and_saveexec_b64 s[0:1], s[46:47]
	s_cbranch_execz .LBB199_206
.LBB199_148:
	v_lshlrev_b32_e32 v3, 3, v57
	ds_read_b64 v[3:4], v3
	ds_read_b64 v[5:6], v32 offset:22528
	v_mov_b32_e32 v7, s63
	s_waitcnt lgkmcnt(1)
	v_lshlrev_b64 v[3:4], 3, v[3:4]
	v_add_co_u32_e32 v3, vcc, s62, v3
	v_addc_co_u32_e32 v4, vcc, v7, v4, vcc
	v_lshlrev_b32_e32 v7, 3, v53
	v_add_co_u32_e32 v3, vcc, v3, v7
	v_addc_co_u32_e32 v4, vcc, 0, v4, vcc
	s_waitcnt lgkmcnt(0)
	global_store_dwordx2 v[3:4], v[5:6], off
	s_or_b64 exec, exec, s[0:1]
	s_and_saveexec_b64 s[0:1], s[48:49]
	s_cbranch_execnz .LBB199_207
.LBB199_149:
	s_or_b64 exec, exec, s[0:1]
	s_add_i32 s33, s33, -1
	s_cmp_eq_u32 s6, s33
	s_cbranch_scc0 .LBB199_151
.LBB199_150:
	ds_read_b64 v[3:4], v32
	v_add_co_u32_e32 v5, vcc, v31, v30
	v_addc_co_u32_e64 v6, s[0:1], 0, 0, vcc
	s_waitcnt lgkmcnt(0)
	v_add_co_u32_e32 v3, vcc, v5, v3
	v_addc_co_u32_e32 v4, vcc, v6, v4, vcc
	global_store_dwordx2 v32, v[3:4], s[66:67]
.LBB199_151:
	s_mov_b64 s[0:1], 0
.LBB199_152:
	s_and_b64 vcc, exec, s[0:1]
	s_cbranch_vccz .LBB199_195
; %bb.153:
	s_mov_b32 s55, 0
	s_lshl_b64 s[0:1], s[54:55], 1
	v_mbcnt_hi_u32_b32 v8, -1, v29
	s_add_u32 s0, s56, s0
	v_lshlrev_b32_e32 v4, 1, v8
	v_add_co_u32_e32 v4, vcc, s0, v4
	s_load_dword s8, s[4:5], 0x50
	s_load_dword s0, s[4:5], 0x5c
	s_addc_u32 s1, s57, s1
	v_and_b32_e32 v9, 0xc0, v0
	v_mul_u32_u24_e32 v7, 12, v9
	v_mov_b32_e32 v5, s1
	v_addc_co_u32_e32 v5, vcc, 0, v5, vcc
	v_lshlrev_b32_e32 v6, 1, v7
	v_add_co_u32_e32 v4, vcc, v4, v6
	s_add_u32 s1, s4, 0x50
	v_addc_co_u32_e32 v5, vcc, 0, v5, vcc
	s_addc_u32 s2, s5, 0
	s_waitcnt lgkmcnt(0)
	s_lshr_b32 s3, s0, 16
	global_load_ushort v10, v[4:5], off
	s_cmp_lt_u32 s6, s8
	s_cselect_b32 s0, 12, 18
	s_add_u32 s0, s1, s0
	v_mov_b32_e32 v3, 0
	s_addc_u32 s1, s2, 0
	global_load_ushort v11, v3, s[0:1]
	v_mul_u32_u24_e32 v6, 20, v0
	ds_write2_b32 v6, v3, v3 offset0:4 offset1:5
	ds_write2_b32 v6, v3, v3 offset0:6 offset1:7
	ds_write_b32 v6, v3 offset:32
	global_load_ushort v12, v[4:5], off offset:128
	global_load_ushort v16, v[4:5], off offset:256
	;; [unrolled: 1-line block ×11, first 2 shown]
	v_mov_b32_e32 v13, 0xffff8000
	v_mad_u32_u24 v1, v2, s3, v1
	s_movk_i32 s2, 0x7fff
	s_lshl_b32 s0, -1, s69
	s_not_b32 s9, s0
	s_waitcnt vmcnt(0) lgkmcnt(0)
	s_barrier
	; wave barrier
	v_cmp_lt_i16_e32 vcc, -1, v10
	v_cndmask_b32_e32 v2, -1, v13, vcc
	v_xor_b32_e32 v5, v2, v10
	v_cmp_ne_u16_e32 vcc, s2, v5
	v_cndmask_b32_e32 v4, v13, v5, vcc
	v_mad_u64_u32 v[1:2], s[0:1], v1, v11, v[0:1]
	v_lshrrev_b32_sdwa v2, s68, v4 dst_sel:DWORD dst_unused:UNUSED_PAD src0_sel:DWORD src1_sel:WORD_0
	v_and_b32_e32 v2, s9, v2
	v_and_b32_e32 v10, 1, v2
	v_add_co_u32_e32 v11, vcc, -1, v10
	v_lshlrev_b32_e32 v4, 30, v2
	v_addc_co_u32_e64 v14, s[0:1], 0, -1, vcc
	v_cmp_ne_u32_e32 vcc, 0, v10
	v_cmp_gt_i64_e64 s[0:1], 0, v[3:4]
	v_not_b32_e32 v10, v4
	v_lshlrev_b32_e32 v4, 29, v2
	v_lshrrev_b32_e32 v1, 6, v1
	v_xor_b32_e32 v14, vcc_hi, v14
	v_xor_b32_e32 v11, vcc_lo, v11
	v_ashrrev_i32_e32 v10, 31, v10
	v_cmp_gt_i64_e32 vcc, 0, v[3:4]
	v_not_b32_e32 v15, v4
	v_lshlrev_b32_e32 v4, 28, v2
	v_lshlrev_b32_e32 v20, 2, v1
	v_and_b32_e32 v1, exec_hi, v14
	v_and_b32_e32 v11, exec_lo, v11
	v_xor_b32_e32 v14, s1, v10
	v_xor_b32_e32 v18, s0, v10
	v_ashrrev_i32_e32 v15, 31, v15
	v_cmp_gt_i64_e64 s[0:1], 0, v[3:4]
	v_not_b32_e32 v4, v4
	v_and_b32_e32 v1, v1, v14
	v_and_b32_e32 v11, v11, v18
	v_xor_b32_e32 v14, vcc_hi, v15
	v_xor_b32_e32 v15, vcc_lo, v15
	v_ashrrev_i32_e32 v4, 31, v4
	v_and_b32_e32 v1, v1, v14
	v_and_b32_e32 v11, v11, v15
	v_xor_b32_e32 v14, s1, v4
	v_xor_b32_e32 v4, s0, v4
	v_and_b32_e32 v11, v11, v4
	v_lshlrev_b32_e32 v4, 27, v2
	v_cmp_gt_i64_e32 vcc, 0, v[3:4]
	v_not_b32_e32 v4, v4
	v_ashrrev_i32_e32 v4, 31, v4
	v_and_b32_e32 v1, v1, v14
	v_xor_b32_e32 v14, vcc_hi, v4
	v_xor_b32_e32 v4, vcc_lo, v4
	v_and_b32_e32 v11, v11, v4
	v_lshlrev_b32_e32 v4, 26, v2
	v_cmp_gt_i64_e32 vcc, 0, v[3:4]
	v_not_b32_e32 v4, v4
	v_ashrrev_i32_e32 v4, 31, v4
	v_and_b32_e32 v1, v1, v14
	v_xor_b32_e32 v14, vcc_hi, v4
	v_xor_b32_e32 v4, vcc_lo, v4
	;; [unrolled: 8-line block ×3, first 2 shown]
	v_and_b32_e32 v11, v11, v4
	v_lshlrev_b32_e32 v4, 24, v2
	v_mad_u32_u24 v10, v2, 20, v20
	v_cmp_gt_i64_e32 vcc, 0, v[3:4]
	v_not_b32_e32 v2, v4
	v_ashrrev_i32_e32 v2, 31, v2
	v_and_b32_e32 v1, v1, v14
	v_xor_b32_e32 v4, vcc_hi, v2
	v_xor_b32_e32 v14, vcc_lo, v2
	v_and_b32_e32 v2, v1, v4
	v_and_b32_e32 v1, v11, v14
	v_mbcnt_lo_u32_b32 v4, v1, 0
	v_mbcnt_hi_u32_b32 v11, v2, v4
	v_cmp_ne_u64_e32 vcc, 0, v[1:2]
	v_cmp_eq_u32_e64 s[0:1], 0, v11
	s_and_b64 s[4:5], vcc, s[0:1]
	s_and_saveexec_b64 s[0:1], s[4:5]
; %bb.154:
	v_bcnt_u32_b32 v1, v1, 0
	v_bcnt_u32_b32 v1, v2, v1
	ds_write_b32 v10, v1 offset:16
; %bb.155:
	s_or_b64 exec, exec, s[0:1]
	v_cmp_lt_i16_e32 vcc, -1, v12
	v_cndmask_b32_e32 v1, -1, v13, vcc
	v_xor_b32_e32 v12, v1, v12
	v_cmp_ne_u16_e32 vcc, s2, v12
	v_cndmask_b32_e32 v1, v13, v12, vcc
	v_lshrrev_b32_sdwa v1, s68, v1 dst_sel:DWORD dst_unused:UNUSED_PAD src0_sel:DWORD src1_sel:WORD_0
	v_and_b32_e32 v1, s9, v1
	v_and_b32_e32 v2, 1, v1
	v_add_co_u32_e32 v4, vcc, -1, v2
	v_addc_co_u32_e64 v15, s[0:1], 0, -1, vcc
	v_cmp_ne_u32_e32 vcc, 0, v2
	v_xor_b32_e32 v4, vcc_lo, v4
	v_xor_b32_e32 v2, vcc_hi, v15
	v_and_b32_e32 v15, exec_lo, v4
	v_lshlrev_b32_e32 v4, 30, v1
	v_cmp_gt_i64_e32 vcc, 0, v[3:4]
	v_not_b32_e32 v4, v4
	v_ashrrev_i32_e32 v4, 31, v4
	v_xor_b32_e32 v18, vcc_hi, v4
	v_xor_b32_e32 v4, vcc_lo, v4
	v_and_b32_e32 v15, v15, v4
	v_lshlrev_b32_e32 v4, 29, v1
	v_cmp_gt_i64_e32 vcc, 0, v[3:4]
	v_not_b32_e32 v4, v4
	v_and_b32_e32 v2, exec_hi, v2
	v_ashrrev_i32_e32 v4, 31, v4
	v_and_b32_e32 v2, v2, v18
	v_xor_b32_e32 v18, vcc_hi, v4
	v_xor_b32_e32 v4, vcc_lo, v4
	v_and_b32_e32 v15, v15, v4
	v_lshlrev_b32_e32 v4, 28, v1
	v_cmp_gt_i64_e32 vcc, 0, v[3:4]
	v_not_b32_e32 v4, v4
	v_ashrrev_i32_e32 v4, 31, v4
	v_and_b32_e32 v2, v2, v18
	v_xor_b32_e32 v18, vcc_hi, v4
	v_xor_b32_e32 v4, vcc_lo, v4
	v_and_b32_e32 v15, v15, v4
	v_lshlrev_b32_e32 v4, 27, v1
	v_cmp_gt_i64_e32 vcc, 0, v[3:4]
	v_not_b32_e32 v4, v4
	;; [unrolled: 8-line block ×4, first 2 shown]
	v_ashrrev_i32_e32 v4, 31, v4
	v_and_b32_e32 v2, v2, v18
	v_xor_b32_e32 v18, vcc_hi, v4
	v_xor_b32_e32 v4, vcc_lo, v4
	v_and_b32_e32 v15, v15, v4
	v_lshlrev_b32_e32 v4, 24, v1
	v_mad_u32_u24 v14, v1, 20, v20
	v_cmp_gt_i64_e32 vcc, 0, v[3:4]
	v_not_b32_e32 v1, v4
	v_ashrrev_i32_e32 v1, 31, v1
	v_xor_b32_e32 v3, vcc_hi, v1
	v_xor_b32_e32 v1, vcc_lo, v1
	; wave barrier
	ds_read_b32 v13, v14 offset:16
	v_and_b32_e32 v2, v2, v18
	v_and_b32_e32 v1, v15, v1
	;; [unrolled: 1-line block ×3, first 2 shown]
	v_mbcnt_lo_u32_b32 v3, v1, 0
	v_mbcnt_hi_u32_b32 v15, v2, v3
	v_cmp_ne_u64_e32 vcc, 0, v[1:2]
	v_cmp_eq_u32_e64 s[0:1], 0, v15
	s_and_b64 s[2:3], vcc, s[0:1]
	; wave barrier
	s_and_saveexec_b64 s[0:1], s[2:3]
	s_cbranch_execz .LBB199_157
; %bb.156:
	v_bcnt_u32_b32 v1, v1, 0
	v_bcnt_u32_b32 v1, v2, v1
	s_waitcnt lgkmcnt(0)
	v_add_u32_e32 v1, v13, v1
	ds_write_b32 v14, v1 offset:16
.LBB199_157:
	s_or_b64 exec, exec, s[0:1]
	v_mov_b32_e32 v4, 0xffff8000
	v_cmp_lt_i16_e32 vcc, -1, v16
	v_cndmask_b32_e32 v1, -1, v4, vcc
	v_xor_b32_e32 v16, v1, v16
	s_movk_i32 s2, 0x7fff
	v_cmp_ne_u16_e32 vcc, s2, v16
	v_cndmask_b32_e32 v1, v4, v16, vcc
	v_lshrrev_b32_sdwa v1, s68, v1 dst_sel:DWORD dst_unused:UNUSED_PAD src0_sel:DWORD src1_sel:WORD_0
	v_and_b32_e32 v3, s9, v1
	v_and_b32_e32 v2, 1, v3
	v_add_co_u32_e32 v22, vcc, -1, v2
	v_addc_co_u32_e64 v23, s[0:1], 0, -1, vcc
	v_cmp_ne_u32_e32 vcc, 0, v2
	v_xor_b32_e32 v2, vcc_hi, v23
	v_mov_b32_e32 v1, 0
	v_and_b32_e32 v23, exec_hi, v2
	v_lshlrev_b32_e32 v2, 30, v3
	v_xor_b32_e32 v22, vcc_lo, v22
	v_cmp_gt_i64_e32 vcc, 0, v[1:2]
	v_not_b32_e32 v2, v2
	v_ashrrev_i32_e32 v2, 31, v2
	v_and_b32_e32 v22, exec_lo, v22
	v_xor_b32_e32 v25, vcc_hi, v2
	v_xor_b32_e32 v2, vcc_lo, v2
	v_and_b32_e32 v22, v22, v2
	v_lshlrev_b32_e32 v2, 29, v3
	v_cmp_gt_i64_e32 vcc, 0, v[1:2]
	v_not_b32_e32 v2, v2
	v_ashrrev_i32_e32 v2, 31, v2
	v_and_b32_e32 v23, v23, v25
	v_xor_b32_e32 v25, vcc_hi, v2
	v_xor_b32_e32 v2, vcc_lo, v2
	v_and_b32_e32 v22, v22, v2
	v_lshlrev_b32_e32 v2, 28, v3
	v_cmp_gt_i64_e32 vcc, 0, v[1:2]
	v_not_b32_e32 v2, v2
	v_ashrrev_i32_e32 v2, 31, v2
	v_and_b32_e32 v23, v23, v25
	;; [unrolled: 8-line block ×5, first 2 shown]
	v_xor_b32_e32 v25, vcc_hi, v2
	v_xor_b32_e32 v2, vcc_lo, v2
	v_and_b32_e32 v22, v22, v2
	v_lshlrev_b32_e32 v2, 24, v3
	v_cmp_gt_i64_e32 vcc, 0, v[1:2]
	v_not_b32_e32 v2, v2
	v_ashrrev_i32_e32 v2, 31, v2
	v_mad_u32_u24 v19, v3, 20, v20
	v_xor_b32_e32 v3, vcc_hi, v2
	v_xor_b32_e32 v2, vcc_lo, v2
	; wave barrier
	ds_read_b32 v18, v19 offset:16
	v_and_b32_e32 v23, v23, v25
	v_and_b32_e32 v2, v22, v2
	;; [unrolled: 1-line block ×3, first 2 shown]
	v_mbcnt_lo_u32_b32 v22, v2, 0
	v_mbcnt_hi_u32_b32 v22, v3, v22
	v_cmp_ne_u64_e32 vcc, 0, v[2:3]
	v_cmp_eq_u32_e64 s[0:1], 0, v22
	s_and_b64 s[4:5], vcc, s[0:1]
	; wave barrier
	s_and_saveexec_b64 s[0:1], s[4:5]
	s_cbranch_execz .LBB199_159
; %bb.158:
	v_bcnt_u32_b32 v2, v2, 0
	v_bcnt_u32_b32 v2, v3, v2
	s_waitcnt lgkmcnt(0)
	v_add_u32_e32 v2, v18, v2
	ds_write_b32 v19, v2 offset:16
.LBB199_159:
	s_or_b64 exec, exec, s[0:1]
	v_cmp_lt_i16_e32 vcc, -1, v21
	v_cndmask_b32_e32 v2, -1, v4, vcc
	v_xor_b32_e32 v21, v2, v21
	v_cmp_ne_u16_e32 vcc, s2, v21
	v_cndmask_b32_e32 v2, v4, v21, vcc
	v_lshrrev_b32_sdwa v2, s68, v2 dst_sel:DWORD dst_unused:UNUSED_PAD src0_sel:DWORD src1_sel:WORD_0
	v_and_b32_e32 v3, s9, v2
	v_and_b32_e32 v2, 1, v3
	v_add_co_u32_e32 v4, vcc, -1, v2
	v_addc_co_u32_e64 v26, s[0:1], 0, -1, vcc
	v_cmp_ne_u32_e32 vcc, 0, v2
	v_xor_b32_e32 v2, vcc_hi, v26
	v_and_b32_e32 v26, exec_hi, v2
	v_lshlrev_b32_e32 v2, 30, v3
	v_xor_b32_e32 v4, vcc_lo, v4
	v_cmp_gt_i64_e32 vcc, 0, v[1:2]
	v_not_b32_e32 v2, v2
	v_ashrrev_i32_e32 v2, 31, v2
	v_and_b32_e32 v4, exec_lo, v4
	v_xor_b32_e32 v29, vcc_hi, v2
	v_xor_b32_e32 v2, vcc_lo, v2
	v_and_b32_e32 v4, v4, v2
	v_lshlrev_b32_e32 v2, 29, v3
	v_cmp_gt_i64_e32 vcc, 0, v[1:2]
	v_not_b32_e32 v2, v2
	v_ashrrev_i32_e32 v2, 31, v2
	v_and_b32_e32 v26, v26, v29
	v_xor_b32_e32 v29, vcc_hi, v2
	v_xor_b32_e32 v2, vcc_lo, v2
	v_and_b32_e32 v4, v4, v2
	v_lshlrev_b32_e32 v2, 28, v3
	v_cmp_gt_i64_e32 vcc, 0, v[1:2]
	v_not_b32_e32 v2, v2
	v_ashrrev_i32_e32 v2, 31, v2
	v_and_b32_e32 v26, v26, v29
	v_xor_b32_e32 v29, vcc_hi, v2
	v_xor_b32_e32 v2, vcc_lo, v2
	v_and_b32_e32 v4, v4, v2
	v_lshlrev_b32_e32 v2, 27, v3
	v_cmp_gt_i64_e32 vcc, 0, v[1:2]
	v_not_b32_e32 v2, v2
	v_ashrrev_i32_e32 v2, 31, v2
	v_and_b32_e32 v26, v26, v29
	v_xor_b32_e32 v29, vcc_hi, v2
	v_xor_b32_e32 v2, vcc_lo, v2
	v_and_b32_e32 v4, v4, v2
	v_lshlrev_b32_e32 v2, 26, v3
	v_cmp_gt_i64_e32 vcc, 0, v[1:2]
	v_not_b32_e32 v2, v2
	v_ashrrev_i32_e32 v2, 31, v2
	v_and_b32_e32 v26, v26, v29
	v_xor_b32_e32 v29, vcc_hi, v2
	v_xor_b32_e32 v2, vcc_lo, v2
	v_and_b32_e32 v4, v4, v2
	v_lshlrev_b32_e32 v2, 25, v3
	v_cmp_gt_i64_e32 vcc, 0, v[1:2]
	v_not_b32_e32 v2, v2
	v_ashrrev_i32_e32 v2, 31, v2
	v_and_b32_e32 v26, v26, v29
	v_xor_b32_e32 v29, vcc_hi, v2
	v_xor_b32_e32 v2, vcc_lo, v2
	v_and_b32_e32 v4, v4, v2
	v_lshlrev_b32_e32 v2, 24, v3
	v_cmp_gt_i64_e32 vcc, 0, v[1:2]
	v_not_b32_e32 v1, v2
	v_ashrrev_i32_e32 v1, 31, v1
	v_mad_u32_u24 v25, v3, 20, v20
	v_xor_b32_e32 v2, vcc_hi, v1
	v_xor_b32_e32 v1, vcc_lo, v1
	; wave barrier
	ds_read_b32 v23, v25 offset:16
	v_and_b32_e32 v26, v26, v29
	v_and_b32_e32 v1, v4, v1
	;; [unrolled: 1-line block ×3, first 2 shown]
	v_mbcnt_lo_u32_b32 v3, v1, 0
	v_mbcnt_hi_u32_b32 v26, v2, v3
	v_cmp_ne_u64_e32 vcc, 0, v[1:2]
	v_cmp_eq_u32_e64 s[0:1], 0, v26
	s_and_b64 s[2:3], vcc, s[0:1]
	; wave barrier
	s_and_saveexec_b64 s[0:1], s[2:3]
	s_cbranch_execz .LBB199_161
; %bb.160:
	v_bcnt_u32_b32 v1, v1, 0
	v_bcnt_u32_b32 v1, v2, v1
	s_waitcnt lgkmcnt(0)
	v_add_u32_e32 v1, v23, v1
	ds_write_b32 v25, v1 offset:16
.LBB199_161:
	s_or_b64 exec, exec, s[0:1]
	v_mov_b32_e32 v4, 0xffff8000
	v_cmp_lt_i16_e32 vcc, -1, v27
	v_cndmask_b32_e32 v1, -1, v4, vcc
	v_xor_b32_e32 v27, v1, v27
	s_movk_i32 s2, 0x7fff
	v_cmp_ne_u16_e32 vcc, s2, v27
	v_cndmask_b32_e32 v1, v4, v27, vcc
	v_lshrrev_b32_sdwa v1, s68, v1 dst_sel:DWORD dst_unused:UNUSED_PAD src0_sel:DWORD src1_sel:WORD_0
	v_and_b32_e32 v3, s9, v1
	v_and_b32_e32 v2, 1, v3
	v_add_co_u32_e32 v32, vcc, -1, v2
	v_addc_co_u32_e64 v33, s[0:1], 0, -1, vcc
	v_cmp_ne_u32_e32 vcc, 0, v2
	v_xor_b32_e32 v2, vcc_hi, v33
	v_mov_b32_e32 v1, 0
	v_and_b32_e32 v33, exec_hi, v2
	v_lshlrev_b32_e32 v2, 30, v3
	v_xor_b32_e32 v32, vcc_lo, v32
	v_cmp_gt_i64_e32 vcc, 0, v[1:2]
	v_not_b32_e32 v2, v2
	v_ashrrev_i32_e32 v2, 31, v2
	v_and_b32_e32 v32, exec_lo, v32
	v_xor_b32_e32 v35, vcc_hi, v2
	v_xor_b32_e32 v2, vcc_lo, v2
	v_and_b32_e32 v32, v32, v2
	v_lshlrev_b32_e32 v2, 29, v3
	v_cmp_gt_i64_e32 vcc, 0, v[1:2]
	v_not_b32_e32 v2, v2
	v_ashrrev_i32_e32 v2, 31, v2
	v_and_b32_e32 v33, v33, v35
	v_xor_b32_e32 v35, vcc_hi, v2
	v_xor_b32_e32 v2, vcc_lo, v2
	v_and_b32_e32 v32, v32, v2
	v_lshlrev_b32_e32 v2, 28, v3
	v_cmp_gt_i64_e32 vcc, 0, v[1:2]
	v_not_b32_e32 v2, v2
	v_ashrrev_i32_e32 v2, 31, v2
	v_and_b32_e32 v33, v33, v35
	;; [unrolled: 8-line block ×5, first 2 shown]
	v_xor_b32_e32 v35, vcc_hi, v2
	v_xor_b32_e32 v2, vcc_lo, v2
	v_and_b32_e32 v32, v32, v2
	v_lshlrev_b32_e32 v2, 24, v3
	v_cmp_gt_i64_e32 vcc, 0, v[1:2]
	v_not_b32_e32 v2, v2
	v_ashrrev_i32_e32 v2, 31, v2
	v_mad_u32_u24 v30, v3, 20, v20
	v_xor_b32_e32 v3, vcc_hi, v2
	v_xor_b32_e32 v2, vcc_lo, v2
	; wave barrier
	ds_read_b32 v29, v30 offset:16
	v_and_b32_e32 v33, v33, v35
	v_and_b32_e32 v2, v32, v2
	;; [unrolled: 1-line block ×3, first 2 shown]
	v_mbcnt_lo_u32_b32 v32, v2, 0
	v_mbcnt_hi_u32_b32 v32, v3, v32
	v_cmp_ne_u64_e32 vcc, 0, v[2:3]
	v_cmp_eq_u32_e64 s[0:1], 0, v32
	s_and_b64 s[4:5], vcc, s[0:1]
	; wave barrier
	s_and_saveexec_b64 s[0:1], s[4:5]
	s_cbranch_execz .LBB199_163
; %bb.162:
	v_bcnt_u32_b32 v2, v2, 0
	v_bcnt_u32_b32 v2, v3, v2
	s_waitcnt lgkmcnt(0)
	v_add_u32_e32 v2, v29, v2
	ds_write_b32 v30, v2 offset:16
.LBB199_163:
	s_or_b64 exec, exec, s[0:1]
	v_cmp_lt_i16_e32 vcc, -1, v31
	v_cndmask_b32_e32 v2, -1, v4, vcc
	v_xor_b32_e32 v31, v2, v31
	v_cmp_ne_u16_e32 vcc, s2, v31
	v_cndmask_b32_e32 v2, v4, v31, vcc
	v_lshrrev_b32_sdwa v2, s68, v2 dst_sel:DWORD dst_unused:UNUSED_PAD src0_sel:DWORD src1_sel:WORD_0
	v_and_b32_e32 v3, s9, v2
	v_and_b32_e32 v2, 1, v3
	v_add_co_u32_e32 v4, vcc, -1, v2
	v_addc_co_u32_e64 v37, s[0:1], 0, -1, vcc
	v_cmp_ne_u32_e32 vcc, 0, v2
	v_xor_b32_e32 v2, vcc_hi, v37
	v_and_b32_e32 v37, exec_hi, v2
	v_lshlrev_b32_e32 v2, 30, v3
	v_xor_b32_e32 v4, vcc_lo, v4
	v_cmp_gt_i64_e32 vcc, 0, v[1:2]
	v_not_b32_e32 v2, v2
	v_ashrrev_i32_e32 v2, 31, v2
	v_and_b32_e32 v4, exec_lo, v4
	v_xor_b32_e32 v39, vcc_hi, v2
	v_xor_b32_e32 v2, vcc_lo, v2
	v_and_b32_e32 v4, v4, v2
	v_lshlrev_b32_e32 v2, 29, v3
	v_cmp_gt_i64_e32 vcc, 0, v[1:2]
	v_not_b32_e32 v2, v2
	v_ashrrev_i32_e32 v2, 31, v2
	v_and_b32_e32 v37, v37, v39
	v_xor_b32_e32 v39, vcc_hi, v2
	v_xor_b32_e32 v2, vcc_lo, v2
	v_and_b32_e32 v4, v4, v2
	v_lshlrev_b32_e32 v2, 28, v3
	v_cmp_gt_i64_e32 vcc, 0, v[1:2]
	v_not_b32_e32 v2, v2
	v_ashrrev_i32_e32 v2, 31, v2
	v_and_b32_e32 v37, v37, v39
	;; [unrolled: 8-line block ×5, first 2 shown]
	v_xor_b32_e32 v39, vcc_hi, v2
	v_xor_b32_e32 v2, vcc_lo, v2
	v_and_b32_e32 v4, v4, v2
	v_lshlrev_b32_e32 v2, 24, v3
	v_cmp_gt_i64_e32 vcc, 0, v[1:2]
	v_not_b32_e32 v1, v2
	v_ashrrev_i32_e32 v1, 31, v1
	v_mad_u32_u24 v35, v3, 20, v20
	v_xor_b32_e32 v2, vcc_hi, v1
	v_xor_b32_e32 v1, vcc_lo, v1
	; wave barrier
	ds_read_b32 v33, v35 offset:16
	v_and_b32_e32 v37, v37, v39
	v_and_b32_e32 v1, v4, v1
	;; [unrolled: 1-line block ×3, first 2 shown]
	v_mbcnt_lo_u32_b32 v3, v1, 0
	v_mbcnt_hi_u32_b32 v37, v2, v3
	v_cmp_ne_u64_e32 vcc, 0, v[1:2]
	v_cmp_eq_u32_e64 s[0:1], 0, v37
	s_and_b64 s[2:3], vcc, s[0:1]
	; wave barrier
	s_and_saveexec_b64 s[0:1], s[2:3]
	s_cbranch_execz .LBB199_165
; %bb.164:
	v_bcnt_u32_b32 v1, v1, 0
	v_bcnt_u32_b32 v1, v2, v1
	s_waitcnt lgkmcnt(0)
	v_add_u32_e32 v1, v33, v1
	ds_write_b32 v35, v1 offset:16
.LBB199_165:
	s_or_b64 exec, exec, s[0:1]
	v_mov_b32_e32 v4, 0xffff8000
	v_cmp_lt_i16_e32 vcc, -1, v36
	v_cndmask_b32_e32 v1, -1, v4, vcc
	v_xor_b32_e32 v36, v1, v36
	s_movk_i32 s2, 0x7fff
	v_cmp_ne_u16_e32 vcc, s2, v36
	v_cndmask_b32_e32 v1, v4, v36, vcc
	v_lshrrev_b32_sdwa v1, s68, v1 dst_sel:DWORD dst_unused:UNUSED_PAD src0_sel:DWORD src1_sel:WORD_0
	v_and_b32_e32 v3, s9, v1
	v_and_b32_e32 v2, 1, v3
	v_add_co_u32_e32 v41, vcc, -1, v2
	v_addc_co_u32_e64 v42, s[0:1], 0, -1, vcc
	v_cmp_ne_u32_e32 vcc, 0, v2
	v_xor_b32_e32 v2, vcc_hi, v42
	v_mov_b32_e32 v1, 0
	v_and_b32_e32 v42, exec_hi, v2
	v_lshlrev_b32_e32 v2, 30, v3
	v_xor_b32_e32 v41, vcc_lo, v41
	v_cmp_gt_i64_e32 vcc, 0, v[1:2]
	v_not_b32_e32 v2, v2
	v_ashrrev_i32_e32 v2, 31, v2
	v_and_b32_e32 v41, exec_lo, v41
	v_xor_b32_e32 v43, vcc_hi, v2
	v_xor_b32_e32 v2, vcc_lo, v2
	v_and_b32_e32 v41, v41, v2
	v_lshlrev_b32_e32 v2, 29, v3
	v_cmp_gt_i64_e32 vcc, 0, v[1:2]
	v_not_b32_e32 v2, v2
	v_ashrrev_i32_e32 v2, 31, v2
	v_and_b32_e32 v42, v42, v43
	v_xor_b32_e32 v43, vcc_hi, v2
	v_xor_b32_e32 v2, vcc_lo, v2
	v_and_b32_e32 v41, v41, v2
	v_lshlrev_b32_e32 v2, 28, v3
	v_cmp_gt_i64_e32 vcc, 0, v[1:2]
	v_not_b32_e32 v2, v2
	v_ashrrev_i32_e32 v2, 31, v2
	v_and_b32_e32 v42, v42, v43
	;; [unrolled: 8-line block ×5, first 2 shown]
	v_xor_b32_e32 v43, vcc_hi, v2
	v_xor_b32_e32 v2, vcc_lo, v2
	v_and_b32_e32 v41, v41, v2
	v_lshlrev_b32_e32 v2, 24, v3
	v_cmp_gt_i64_e32 vcc, 0, v[1:2]
	v_not_b32_e32 v2, v2
	v_ashrrev_i32_e32 v2, 31, v2
	v_mad_u32_u24 v40, v3, 20, v20
	v_xor_b32_e32 v3, vcc_hi, v2
	v_xor_b32_e32 v2, vcc_lo, v2
	; wave barrier
	ds_read_b32 v39, v40 offset:16
	v_and_b32_e32 v42, v42, v43
	v_and_b32_e32 v2, v41, v2
	;; [unrolled: 1-line block ×3, first 2 shown]
	v_mbcnt_lo_u32_b32 v41, v2, 0
	v_mbcnt_hi_u32_b32 v41, v3, v41
	v_cmp_ne_u64_e32 vcc, 0, v[2:3]
	v_cmp_eq_u32_e64 s[0:1], 0, v41
	s_and_b64 s[4:5], vcc, s[0:1]
	; wave barrier
	s_and_saveexec_b64 s[0:1], s[4:5]
	s_cbranch_execz .LBB199_167
; %bb.166:
	v_bcnt_u32_b32 v2, v2, 0
	v_bcnt_u32_b32 v2, v3, v2
	s_waitcnt lgkmcnt(0)
	v_add_u32_e32 v2, v39, v2
	ds_write_b32 v40, v2 offset:16
.LBB199_167:
	s_or_b64 exec, exec, s[0:1]
	v_cmp_lt_i16_e32 vcc, -1, v38
	v_cndmask_b32_e32 v2, -1, v4, vcc
	v_xor_b32_e32 v38, v2, v38
	v_cmp_ne_u16_e32 vcc, s2, v38
	v_cndmask_b32_e32 v2, v4, v38, vcc
	v_lshrrev_b32_sdwa v2, s68, v2 dst_sel:DWORD dst_unused:UNUSED_PAD src0_sel:DWORD src1_sel:WORD_0
	v_and_b32_e32 v3, s9, v2
	v_and_b32_e32 v2, 1, v3
	v_add_co_u32_e32 v4, vcc, -1, v2
	v_addc_co_u32_e64 v44, s[0:1], 0, -1, vcc
	v_cmp_ne_u32_e32 vcc, 0, v2
	v_xor_b32_e32 v2, vcc_hi, v44
	v_and_b32_e32 v44, exec_hi, v2
	v_lshlrev_b32_e32 v2, 30, v3
	v_xor_b32_e32 v4, vcc_lo, v4
	v_cmp_gt_i64_e32 vcc, 0, v[1:2]
	v_not_b32_e32 v2, v2
	v_ashrrev_i32_e32 v2, 31, v2
	v_and_b32_e32 v4, exec_lo, v4
	v_xor_b32_e32 v45, vcc_hi, v2
	v_xor_b32_e32 v2, vcc_lo, v2
	v_and_b32_e32 v4, v4, v2
	v_lshlrev_b32_e32 v2, 29, v3
	v_cmp_gt_i64_e32 vcc, 0, v[1:2]
	v_not_b32_e32 v2, v2
	v_ashrrev_i32_e32 v2, 31, v2
	v_and_b32_e32 v44, v44, v45
	v_xor_b32_e32 v45, vcc_hi, v2
	v_xor_b32_e32 v2, vcc_lo, v2
	v_and_b32_e32 v4, v4, v2
	v_lshlrev_b32_e32 v2, 28, v3
	v_cmp_gt_i64_e32 vcc, 0, v[1:2]
	v_not_b32_e32 v2, v2
	v_ashrrev_i32_e32 v2, 31, v2
	v_and_b32_e32 v44, v44, v45
	;; [unrolled: 8-line block ×5, first 2 shown]
	v_xor_b32_e32 v45, vcc_hi, v2
	v_xor_b32_e32 v2, vcc_lo, v2
	v_and_b32_e32 v4, v4, v2
	v_lshlrev_b32_e32 v2, 24, v3
	v_cmp_gt_i64_e32 vcc, 0, v[1:2]
	v_not_b32_e32 v1, v2
	v_ashrrev_i32_e32 v1, 31, v1
	v_mad_u32_u24 v43, v3, 20, v20
	v_xor_b32_e32 v2, vcc_hi, v1
	v_xor_b32_e32 v1, vcc_lo, v1
	; wave barrier
	ds_read_b32 v42, v43 offset:16
	v_and_b32_e32 v44, v44, v45
	v_and_b32_e32 v1, v4, v1
	;; [unrolled: 1-line block ×3, first 2 shown]
	v_mbcnt_lo_u32_b32 v3, v1, 0
	v_mbcnt_hi_u32_b32 v44, v2, v3
	v_cmp_ne_u64_e32 vcc, 0, v[1:2]
	v_cmp_eq_u32_e64 s[0:1], 0, v44
	s_and_b64 s[2:3], vcc, s[0:1]
	; wave barrier
	s_and_saveexec_b64 s[0:1], s[2:3]
	s_cbranch_execz .LBB199_169
; %bb.168:
	v_bcnt_u32_b32 v1, v1, 0
	v_bcnt_u32_b32 v1, v2, v1
	s_waitcnt lgkmcnt(0)
	v_add_u32_e32 v1, v42, v1
	ds_write_b32 v43, v1 offset:16
.LBB199_169:
	s_or_b64 exec, exec, s[0:1]
	v_mov_b32_e32 v4, 0xffff8000
	v_cmp_lt_i16_e32 vcc, -1, v34
	v_cndmask_b32_e32 v1, -1, v4, vcc
	v_xor_b32_e32 v34, v1, v34
	s_movk_i32 s2, 0x7fff
	v_cmp_ne_u16_e32 vcc, s2, v34
	v_cndmask_b32_e32 v1, v4, v34, vcc
	v_lshrrev_b32_sdwa v1, s68, v1 dst_sel:DWORD dst_unused:UNUSED_PAD src0_sel:DWORD src1_sel:WORD_0
	v_and_b32_e32 v3, s9, v1
	v_and_b32_e32 v2, 1, v3
	v_add_co_u32_e32 v47, vcc, -1, v2
	v_addc_co_u32_e64 v48, s[0:1], 0, -1, vcc
	v_cmp_ne_u32_e32 vcc, 0, v2
	v_xor_b32_e32 v2, vcc_hi, v48
	v_mov_b32_e32 v1, 0
	v_and_b32_e32 v48, exec_hi, v2
	v_lshlrev_b32_e32 v2, 30, v3
	v_xor_b32_e32 v47, vcc_lo, v47
	v_cmp_gt_i64_e32 vcc, 0, v[1:2]
	v_not_b32_e32 v2, v2
	v_ashrrev_i32_e32 v2, 31, v2
	v_and_b32_e32 v47, exec_lo, v47
	v_xor_b32_e32 v49, vcc_hi, v2
	v_xor_b32_e32 v2, vcc_lo, v2
	v_and_b32_e32 v47, v47, v2
	v_lshlrev_b32_e32 v2, 29, v3
	v_cmp_gt_i64_e32 vcc, 0, v[1:2]
	v_not_b32_e32 v2, v2
	v_ashrrev_i32_e32 v2, 31, v2
	v_and_b32_e32 v48, v48, v49
	v_xor_b32_e32 v49, vcc_hi, v2
	v_xor_b32_e32 v2, vcc_lo, v2
	v_and_b32_e32 v47, v47, v2
	v_lshlrev_b32_e32 v2, 28, v3
	v_cmp_gt_i64_e32 vcc, 0, v[1:2]
	v_not_b32_e32 v2, v2
	v_ashrrev_i32_e32 v2, 31, v2
	v_and_b32_e32 v48, v48, v49
	;; [unrolled: 8-line block ×5, first 2 shown]
	v_xor_b32_e32 v49, vcc_hi, v2
	v_xor_b32_e32 v2, vcc_lo, v2
	v_and_b32_e32 v47, v47, v2
	v_lshlrev_b32_e32 v2, 24, v3
	v_cmp_gt_i64_e32 vcc, 0, v[1:2]
	v_not_b32_e32 v2, v2
	v_ashrrev_i32_e32 v2, 31, v2
	v_mad_u32_u24 v46, v3, 20, v20
	v_xor_b32_e32 v3, vcc_hi, v2
	v_xor_b32_e32 v2, vcc_lo, v2
	; wave barrier
	ds_read_b32 v45, v46 offset:16
	v_and_b32_e32 v48, v48, v49
	v_and_b32_e32 v2, v47, v2
	v_and_b32_e32 v3, v48, v3
	v_mbcnt_lo_u32_b32 v47, v2, 0
	v_mbcnt_hi_u32_b32 v48, v3, v47
	v_cmp_ne_u64_e32 vcc, 0, v[2:3]
	v_cmp_eq_u32_e64 s[0:1], 0, v48
	s_and_b64 s[4:5], vcc, s[0:1]
	; wave barrier
	s_and_saveexec_b64 s[0:1], s[4:5]
	s_cbranch_execz .LBB199_171
; %bb.170:
	v_bcnt_u32_b32 v2, v2, 0
	v_bcnt_u32_b32 v2, v3, v2
	s_waitcnt lgkmcnt(0)
	v_add_u32_e32 v2, v45, v2
	ds_write_b32 v46, v2 offset:16
.LBB199_171:
	s_or_b64 exec, exec, s[0:1]
	v_cmp_lt_i16_e32 vcc, -1, v28
	v_cndmask_b32_e32 v2, -1, v4, vcc
	v_xor_b32_e32 v47, v2, v28
	v_cmp_ne_u16_e32 vcc, s2, v47
	v_cndmask_b32_e32 v2, v4, v47, vcc
	v_lshrrev_b32_sdwa v2, s68, v2 dst_sel:DWORD dst_unused:UNUSED_PAD src0_sel:DWORD src1_sel:WORD_0
	v_and_b32_e32 v3, s9, v2
	v_and_b32_e32 v2, 1, v3
	v_add_co_u32_e32 v4, vcc, -1, v2
	v_addc_co_u32_e64 v50, s[0:1], 0, -1, vcc
	v_cmp_ne_u32_e32 vcc, 0, v2
	v_xor_b32_e32 v2, vcc_hi, v50
	v_and_b32_e32 v50, exec_hi, v2
	v_lshlrev_b32_e32 v2, 30, v3
	v_xor_b32_e32 v4, vcc_lo, v4
	v_cmp_gt_i64_e32 vcc, 0, v[1:2]
	v_not_b32_e32 v2, v2
	v_ashrrev_i32_e32 v2, 31, v2
	v_and_b32_e32 v4, exec_lo, v4
	v_xor_b32_e32 v51, vcc_hi, v2
	v_xor_b32_e32 v2, vcc_lo, v2
	v_and_b32_e32 v4, v4, v2
	v_lshlrev_b32_e32 v2, 29, v3
	v_cmp_gt_i64_e32 vcc, 0, v[1:2]
	v_not_b32_e32 v2, v2
	v_ashrrev_i32_e32 v2, 31, v2
	v_and_b32_e32 v50, v50, v51
	v_xor_b32_e32 v51, vcc_hi, v2
	v_xor_b32_e32 v2, vcc_lo, v2
	v_and_b32_e32 v4, v4, v2
	v_lshlrev_b32_e32 v2, 28, v3
	v_cmp_gt_i64_e32 vcc, 0, v[1:2]
	v_not_b32_e32 v2, v2
	v_ashrrev_i32_e32 v2, 31, v2
	v_and_b32_e32 v50, v50, v51
	;; [unrolled: 8-line block ×5, first 2 shown]
	v_xor_b32_e32 v51, vcc_hi, v2
	v_xor_b32_e32 v2, vcc_lo, v2
	v_and_b32_e32 v4, v4, v2
	v_lshlrev_b32_e32 v2, 24, v3
	v_cmp_gt_i64_e32 vcc, 0, v[1:2]
	v_not_b32_e32 v1, v2
	v_ashrrev_i32_e32 v1, 31, v1
	v_mad_u32_u24 v28, v3, 20, v20
	v_xor_b32_e32 v2, vcc_hi, v1
	v_xor_b32_e32 v1, vcc_lo, v1
	; wave barrier
	ds_read_b32 v49, v28 offset:16
	v_and_b32_e32 v50, v50, v51
	v_and_b32_e32 v1, v4, v1
	;; [unrolled: 1-line block ×3, first 2 shown]
	v_mbcnt_lo_u32_b32 v3, v1, 0
	v_mbcnt_hi_u32_b32 v51, v2, v3
	v_cmp_ne_u64_e32 vcc, 0, v[1:2]
	v_cmp_eq_u32_e64 s[0:1], 0, v51
	s_and_b64 s[2:3], vcc, s[0:1]
	; wave barrier
	s_and_saveexec_b64 s[0:1], s[2:3]
	s_cbranch_execz .LBB199_173
; %bb.172:
	v_bcnt_u32_b32 v1, v1, 0
	v_bcnt_u32_b32 v1, v2, v1
	s_waitcnt lgkmcnt(0)
	v_add_u32_e32 v1, v49, v1
	ds_write_b32 v28, v1 offset:16
.LBB199_173:
	s_or_b64 exec, exec, s[0:1]
	v_mov_b32_e32 v4, 0xffff8000
	v_cmp_lt_i16_e32 vcc, -1, v24
	v_cndmask_b32_e32 v1, -1, v4, vcc
	v_xor_b32_e32 v50, v1, v24
	s_movk_i32 s2, 0x7fff
	v_cmp_ne_u16_e32 vcc, s2, v50
	v_cndmask_b32_e32 v1, v4, v50, vcc
	v_lshrrev_b32_sdwa v1, s68, v1 dst_sel:DWORD dst_unused:UNUSED_PAD src0_sel:DWORD src1_sel:WORD_0
	v_and_b32_e32 v3, s9, v1
	v_and_b32_e32 v2, 1, v3
	v_add_co_u32_e32 v53, vcc, -1, v2
	v_addc_co_u32_e64 v54, s[0:1], 0, -1, vcc
	v_cmp_ne_u32_e32 vcc, 0, v2
	v_xor_b32_e32 v2, vcc_hi, v54
	v_mov_b32_e32 v1, 0
	v_and_b32_e32 v54, exec_hi, v2
	v_lshlrev_b32_e32 v2, 30, v3
	v_xor_b32_e32 v53, vcc_lo, v53
	v_cmp_gt_i64_e32 vcc, 0, v[1:2]
	v_not_b32_e32 v2, v2
	v_ashrrev_i32_e32 v2, 31, v2
	v_and_b32_e32 v53, exec_lo, v53
	v_xor_b32_e32 v55, vcc_hi, v2
	v_xor_b32_e32 v2, vcc_lo, v2
	v_and_b32_e32 v53, v53, v2
	v_lshlrev_b32_e32 v2, 29, v3
	v_cmp_gt_i64_e32 vcc, 0, v[1:2]
	v_not_b32_e32 v2, v2
	v_ashrrev_i32_e32 v2, 31, v2
	v_and_b32_e32 v54, v54, v55
	v_xor_b32_e32 v55, vcc_hi, v2
	v_xor_b32_e32 v2, vcc_lo, v2
	v_and_b32_e32 v53, v53, v2
	v_lshlrev_b32_e32 v2, 28, v3
	v_cmp_gt_i64_e32 vcc, 0, v[1:2]
	v_not_b32_e32 v2, v2
	v_ashrrev_i32_e32 v2, 31, v2
	v_and_b32_e32 v54, v54, v55
	;; [unrolled: 8-line block ×5, first 2 shown]
	v_xor_b32_e32 v55, vcc_hi, v2
	v_xor_b32_e32 v2, vcc_lo, v2
	v_and_b32_e32 v53, v53, v2
	v_lshlrev_b32_e32 v2, 24, v3
	v_cmp_gt_i64_e32 vcc, 0, v[1:2]
	v_not_b32_e32 v2, v2
	v_ashrrev_i32_e32 v2, 31, v2
	v_mad_u32_u24 v24, v3, 20, v20
	v_xor_b32_e32 v3, vcc_hi, v2
	v_xor_b32_e32 v2, vcc_lo, v2
	; wave barrier
	ds_read_b32 v52, v24 offset:16
	v_and_b32_e32 v54, v54, v55
	v_and_b32_e32 v2, v53, v2
	;; [unrolled: 1-line block ×3, first 2 shown]
	v_mbcnt_lo_u32_b32 v53, v2, 0
	v_mbcnt_hi_u32_b32 v54, v3, v53
	v_cmp_ne_u64_e32 vcc, 0, v[2:3]
	v_cmp_eq_u32_e64 s[0:1], 0, v54
	s_and_b64 s[4:5], vcc, s[0:1]
	; wave barrier
	s_and_saveexec_b64 s[0:1], s[4:5]
	s_cbranch_execz .LBB199_175
; %bb.174:
	v_bcnt_u32_b32 v2, v2, 0
	v_bcnt_u32_b32 v2, v3, v2
	s_waitcnt lgkmcnt(0)
	v_add_u32_e32 v2, v52, v2
	ds_write_b32 v24, v2 offset:16
.LBB199_175:
	s_or_b64 exec, exec, s[0:1]
	v_cmp_lt_i16_e32 vcc, -1, v17
	v_cndmask_b32_e32 v2, -1, v4, vcc
	v_xor_b32_e32 v53, v2, v17
	v_cmp_ne_u16_e32 vcc, s2, v53
	v_cndmask_b32_e32 v2, v4, v53, vcc
	v_lshrrev_b32_sdwa v2, s68, v2 dst_sel:DWORD dst_unused:UNUSED_PAD src0_sel:DWORD src1_sel:WORD_0
	v_and_b32_e32 v3, s9, v2
	v_and_b32_e32 v2, 1, v3
	v_add_co_u32_e32 v4, vcc, -1, v2
	v_mad_u32_u24 v17, v3, 20, v20
	v_addc_co_u32_e64 v20, s[0:1], 0, -1, vcc
	v_cmp_ne_u32_e32 vcc, 0, v2
	v_xor_b32_e32 v2, vcc_hi, v20
	v_and_b32_e32 v20, exec_hi, v2
	v_lshlrev_b32_e32 v2, 30, v3
	v_xor_b32_e32 v4, vcc_lo, v4
	v_cmp_gt_i64_e32 vcc, 0, v[1:2]
	v_not_b32_e32 v2, v2
	v_ashrrev_i32_e32 v2, 31, v2
	v_and_b32_e32 v4, exec_lo, v4
	v_xor_b32_e32 v56, vcc_hi, v2
	v_xor_b32_e32 v2, vcc_lo, v2
	v_and_b32_e32 v4, v4, v2
	v_lshlrev_b32_e32 v2, 29, v3
	v_cmp_gt_i64_e32 vcc, 0, v[1:2]
	v_not_b32_e32 v2, v2
	v_ashrrev_i32_e32 v2, 31, v2
	v_and_b32_e32 v20, v20, v56
	v_xor_b32_e32 v56, vcc_hi, v2
	v_xor_b32_e32 v2, vcc_lo, v2
	v_and_b32_e32 v4, v4, v2
	v_lshlrev_b32_e32 v2, 28, v3
	v_cmp_gt_i64_e32 vcc, 0, v[1:2]
	v_not_b32_e32 v2, v2
	v_ashrrev_i32_e32 v2, 31, v2
	v_and_b32_e32 v20, v20, v56
	;; [unrolled: 8-line block ×5, first 2 shown]
	v_xor_b32_e32 v56, vcc_hi, v2
	v_xor_b32_e32 v2, vcc_lo, v2
	v_and_b32_e32 v4, v4, v2
	v_lshlrev_b32_e32 v2, 24, v3
	v_cmp_gt_i64_e32 vcc, 0, v[1:2]
	v_not_b32_e32 v1, v2
	v_ashrrev_i32_e32 v1, 31, v1
	v_xor_b32_e32 v2, vcc_hi, v1
	v_xor_b32_e32 v1, vcc_lo, v1
	; wave barrier
	ds_read_b32 v55, v17 offset:16
	v_and_b32_e32 v20, v20, v56
	v_and_b32_e32 v1, v4, v1
	v_and_b32_e32 v2, v20, v2
	v_mbcnt_lo_u32_b32 v3, v1, 0
	v_mbcnt_hi_u32_b32 v56, v2, v3
	v_cmp_ne_u64_e32 vcc, 0, v[1:2]
	v_cmp_eq_u32_e64 s[0:1], 0, v56
	s_and_b64 s[2:3], vcc, s[0:1]
	; wave barrier
	s_and_saveexec_b64 s[0:1], s[2:3]
	s_cbranch_execz .LBB199_177
; %bb.176:
	v_bcnt_u32_b32 v1, v1, 0
	v_bcnt_u32_b32 v1, v2, v1
	s_waitcnt lgkmcnt(0)
	v_add_u32_e32 v1, v55, v1
	ds_write_b32 v17, v1 offset:16
.LBB199_177:
	s_or_b64 exec, exec, s[0:1]
	; wave barrier
	s_waitcnt lgkmcnt(0)
	s_barrier
	ds_read2_b32 v[3:4], v6 offset0:4 offset1:5
	ds_read2_b32 v[1:2], v6 offset0:6 offset1:7
	ds_read_b32 v20, v6 offset:32
	v_min_u32_e32 v9, 0xc0, v9
	v_or_b32_e32 v9, 63, v9
	s_waitcnt lgkmcnt(1)
	v_add3_u32 v57, v4, v3, v1
	s_waitcnt lgkmcnt(0)
	v_add3_u32 v20, v57, v2, v20
	v_and_b32_e32 v57, 15, v8
	v_cmp_ne_u32_e32 vcc, 0, v57
	v_mov_b32_dpp v58, v20 row_shr:1 row_mask:0xf bank_mask:0xf
	v_cndmask_b32_e32 v58, 0, v58, vcc
	v_add_u32_e32 v20, v58, v20
	v_cmp_lt_u32_e32 vcc, 1, v57
	s_nop 0
	v_mov_b32_dpp v58, v20 row_shr:2 row_mask:0xf bank_mask:0xf
	v_cndmask_b32_e32 v58, 0, v58, vcc
	v_add_u32_e32 v20, v20, v58
	v_cmp_lt_u32_e32 vcc, 3, v57
	s_nop 0
	v_mov_b32_dpp v58, v20 row_shr:4 row_mask:0xf bank_mask:0xf
	v_cndmask_b32_e32 v58, 0, v58, vcc
	v_add_u32_e32 v20, v20, v58
	v_cmp_lt_u32_e32 vcc, 7, v57
	s_nop 0
	v_mov_b32_dpp v58, v20 row_shr:8 row_mask:0xf bank_mask:0xf
	v_cndmask_b32_e32 v57, 0, v58, vcc
	v_add_u32_e32 v20, v20, v57
	v_bfe_i32 v58, v8, 4, 1
	v_cmp_lt_u32_e32 vcc, 31, v8
	v_mov_b32_dpp v57, v20 row_bcast:15 row_mask:0xf bank_mask:0xf
	v_and_b32_e32 v57, v58, v57
	v_add_u32_e32 v20, v20, v57
	s_nop 1
	v_mov_b32_dpp v57, v20 row_bcast:31 row_mask:0xf bank_mask:0xf
	v_cndmask_b32_e32 v57, 0, v57, vcc
	v_add_u32_e32 v20, v20, v57
	v_lshrrev_b32_e32 v57, 6, v0
	v_cmp_eq_u32_e32 vcc, v0, v9
	s_and_saveexec_b64 s[0:1], vcc
; %bb.178:
	v_lshlrev_b32_e32 v9, 2, v57
	ds_write_b32 v9, v20
; %bb.179:
	s_or_b64 exec, exec, s[0:1]
	v_cmp_gt_u32_e32 vcc, 4, v0
	s_waitcnt lgkmcnt(0)
	s_barrier
	s_and_saveexec_b64 s[0:1], vcc
	s_cbranch_execz .LBB199_181
; %bb.180:
	v_lshlrev_b32_e32 v9, 2, v0
	ds_read_b32 v58, v9
	v_and_b32_e32 v59, 3, v8
	v_cmp_ne_u32_e32 vcc, 0, v59
	s_waitcnt lgkmcnt(0)
	v_mov_b32_dpp v60, v58 row_shr:1 row_mask:0xf bank_mask:0xf
	v_cndmask_b32_e32 v60, 0, v60, vcc
	v_add_u32_e32 v58, v60, v58
	v_cmp_lt_u32_e32 vcc, 1, v59
	s_nop 0
	v_mov_b32_dpp v60, v58 row_shr:2 row_mask:0xf bank_mask:0xf
	v_cndmask_b32_e32 v59, 0, v60, vcc
	v_add_u32_e32 v58, v58, v59
	ds_write_b32 v9, v58
.LBB199_181:
	s_or_b64 exec, exec, s[0:1]
	v_cmp_lt_u32_e32 vcc, 63, v0
	v_mov_b32_e32 v9, 0
	s_waitcnt lgkmcnt(0)
	s_barrier
	s_and_saveexec_b64 s[0:1], vcc
; %bb.182:
	v_lshl_add_u32 v9, v57, 2, -4
	ds_read_b32 v9, v9
; %bb.183:
	s_or_b64 exec, exec, s[0:1]
	v_add_u32_e32 v57, -1, v8
	v_and_b32_e32 v58, 64, v8
	v_cmp_lt_i32_e32 vcc, v57, v58
	v_cndmask_b32_e32 v57, v57, v8, vcc
	s_waitcnt lgkmcnt(0)
	v_add_u32_e32 v20, v9, v20
	v_lshlrev_b32_e32 v57, 2, v57
	ds_bpermute_b32 v20, v57, v20
	v_cmp_eq_u32_e32 vcc, 0, v8
	s_movk_i32 s0, 0x100
	s_waitcnt lgkmcnt(0)
	v_cndmask_b32_e32 v9, v20, v9, vcc
	v_cmp_ne_u32_e32 vcc, 0, v0
	v_cndmask_b32_e32 v9, 0, v9, vcc
	v_add_u32_e32 v3, v9, v3
	v_add_u32_e32 v4, v3, v4
	;; [unrolled: 1-line block ×4, first 2 shown]
	ds_write2_b32 v6, v9, v3 offset0:4 offset1:5
	ds_write2_b32 v6, v4, v1 offset0:6 offset1:7
	ds_write_b32 v6, v2 offset:32
	s_waitcnt lgkmcnt(0)
	s_barrier
	ds_read_b32 v2, v43 offset:16
	ds_read_b32 v3, v46 offset:16
	;; [unrolled: 1-line block ×13, first 2 shown]
	v_add_u32_e32 v6, 1, v0
	v_cmp_ne_u32_e32 vcc, s0, v6
	v_mov_b32_e32 v1, 0xc00
	s_and_saveexec_b64 s[0:1], vcc
; %bb.184:
	v_mul_u32_u24_e32 v1, 20, v6
	ds_read_b32 v1, v1 offset:16
; %bb.185:
	s_or_b64 exec, exec, s[0:1]
	s_waitcnt lgkmcnt(7)
	v_add_u32_e32 v28, v10, v11
	s_waitcnt lgkmcnt(6)
	v_add3_u32 v25, v15, v13, v14
	s_waitcnt lgkmcnt(5)
	v_add3_u32 v24, v22, v18, v17
	v_add3_u32 v17, v44, v42, v2
	v_lshlrev_b32_e32 v2, 1, v28
	s_waitcnt lgkmcnt(0)
	s_barrier
	ds_write_b16 v2, v5 offset:2048
	v_lshlrev_b32_e32 v2, 1, v25
	v_add3_u32 v22, v26, v23, v19
	ds_write_b16 v2, v12 offset:2048
	v_lshlrev_b32_e32 v2, 1, v24
	v_add3_u32 v20, v32, v29, v20
	;; [unrolled: 3-line block ×4, first 2 shown]
	ds_write_b16 v2, v27 offset:2048
	v_lshlrev_b32_e32 v2, 1, v19
	ds_write_b16 v2, v31 offset:2048
	v_lshlrev_b32_e32 v2, 1, v18
	v_add3_u32 v15, v48, v45, v3
	ds_write_b16 v2, v36 offset:2048
	v_lshlrev_b32_e32 v2, 1, v17
	v_add3_u32 v14, v51, v49, v4
	ds_write_b16 v2, v38 offset:2048
	v_lshlrev_b32_e32 v2, 1, v15
	v_add3_u32 v13, v54, v52, v43
	ds_write_b16 v2, v34 offset:2048
	v_lshlrev_b32_e32 v2, 1, v14
	v_add3_u32 v11, v56, v55, v46
	ds_write_b16 v2, v47 offset:2048
	v_lshlrev_b32_e32 v2, 1, v13
	ds_write_b16 v2, v50 offset:2048
	v_lshlrev_b32_e32 v2, 1, v11
	ds_write_b16 v2, v53 offset:2048
	v_sub_u32_e32 v10, v1, v9
	v_lshl_or_b32 v1, s6, 8, v0
	v_mov_b32_e32 v2, 0
	v_lshlrev_b64 v[3:4], 2, v[1:2]
	v_mov_b32_e32 v12, s73
	v_add_co_u32_e32 v3, vcc, s72, v3
	v_addc_co_u32_e32 v4, vcc, v12, v4, vcc
	v_or_b32_e32 v1, 2.0, v10
	s_mov_b64 s[0:1], 0
	s_brev_b32 s10, -4
	v_mov_b32_e32 v16, 0
	s_waitcnt lgkmcnt(0)
	s_barrier
	global_store_dword v[3:4], v1, off
                                        ; implicit-def: $sgpr2_sgpr3
	s_branch .LBB199_188
.LBB199_186:                            ;   in Loop: Header=BB199_188 Depth=1
	s_or_b64 exec, exec, s[4:5]
.LBB199_187:                            ;   in Loop: Header=BB199_188 Depth=1
	s_or_b64 exec, exec, s[2:3]
	v_and_b32_e32 v5, 0x3fffffff, v1
	v_add_u32_e32 v16, v5, v16
	v_cmp_gt_i32_e64 s[2:3], -2.0, v1
	s_and_b64 s[4:5], exec, s[2:3]
	s_or_b64 s[0:1], s[4:5], s[0:1]
	s_andn2_b64 exec, exec, s[0:1]
	s_cbranch_execz .LBB199_193
.LBB199_188:                            ; =>This Loop Header: Depth=1
                                        ;     Child Loop BB199_191 Depth 2
	s_or_b64 s[2:3], s[2:3], exec
	s_cmp_eq_u32 s7, 0
	s_cbranch_scc1 .LBB199_192
; %bb.189:                              ;   in Loop: Header=BB199_188 Depth=1
	s_add_i32 s7, s7, -1
	v_lshl_or_b32 v1, s7, 8, v0
	v_lshlrev_b64 v[5:6], 2, v[1:2]
	v_add_co_u32_e32 v5, vcc, s72, v5
	v_addc_co_u32_e32 v6, vcc, v12, v6, vcc
	global_load_dword v1, v[5:6], off glc
	s_waitcnt vmcnt(0)
	v_cmp_gt_u32_e32 vcc, 2.0, v1
	s_and_saveexec_b64 s[2:3], vcc
	s_cbranch_execz .LBB199_187
; %bb.190:                              ;   in Loop: Header=BB199_188 Depth=1
	s_mov_b64 s[4:5], 0
.LBB199_191:                            ;   Parent Loop BB199_188 Depth=1
                                        ; =>  This Inner Loop Header: Depth=2
	global_load_dword v1, v[5:6], off glc
	s_waitcnt vmcnt(0)
	v_cmp_lt_u32_e32 vcc, s10, v1
	s_or_b64 s[4:5], vcc, s[4:5]
	s_andn2_b64 exec, exec, s[4:5]
	s_cbranch_execnz .LBB199_191
	s_branch .LBB199_186
.LBB199_192:                            ;   in Loop: Header=BB199_188 Depth=1
                                        ; implicit-def: $sgpr7
	s_and_b64 s[4:5], exec, s[2:3]
	s_or_b64 s[0:1], s[4:5], s[0:1]
	s_andn2_b64 exec, exec, s[0:1]
	s_cbranch_execnz .LBB199_188
.LBB199_193:
	s_or_b64 exec, exec, s[0:1]
	v_add_u32_e32 v2, v16, v10
	v_or_b32_e32 v2, 0x80000000, v2
	v_lshlrev_b32_e32 v1, 3, v0
	global_store_dword v[3:4], v2, off
	global_load_dwordx2 v[2:3], v1, s[64:65]
	v_sub_co_u32_e32 v4, vcc, v16, v9
	v_subb_co_u32_e64 v5, s[0:1], 0, 0, vcc
	s_movk_i32 s0, 0x7fff
	v_mad_i32_i24 v47, v0, -6, v1
	v_mov_b32_e32 v6, 0xffff8000
	v_mov_b32_e32 v12, s59
	v_mov_b32_e32 v21, s59
	v_mov_b32_e32 v23, s59
	v_lshlrev_b32_e32 v16, 1, v0
	v_or_b32_e32 v55, 0x800, v0
	v_or_b32_e32 v56, 0x900, v0
	;; [unrolled: 1-line block ×4, first 2 shown]
	v_mad_u32_u24 v0, v0, 6, v47
	s_waitcnt vmcnt(0)
	v_add_co_u32_e32 v2, vcc, v4, v2
	v_addc_co_u32_e32 v3, vcc, v5, v3, vcc
	ds_write_b64 v1, v[2:3]
	s_waitcnt lgkmcnt(0)
	s_barrier
	ds_read_u16 v2, v47 offset:2048
	ds_read_u16 v3, v47 offset:2560
	;; [unrolled: 1-line block ×8, first 2 shown]
	s_waitcnt lgkmcnt(7)
	v_cmp_ne_u16_e32 vcc, s0, v2
	v_cndmask_b32_e32 v5, v6, v2, vcc
	v_cmp_lt_i16_e32 vcc, -1, v2
	v_cndmask_b32_e64 v26, v6, -1, vcc
	s_waitcnt lgkmcnt(6)
	v_cmp_ne_u16_e32 vcc, s0, v3
	v_cndmask_b32_e32 v27, v6, v3, vcc
	v_cmp_lt_i16_e32 vcc, -1, v3
	v_cndmask_b32_e64 v29, v6, -1, vcc
	;; [unrolled: 5-line block ×3, first 2 shown]
	s_waitcnt lgkmcnt(4)
	v_cmp_ne_u16_e32 vcc, s0, v33
	v_cndmask_b32_e32 v32, v6, v33, vcc
	s_waitcnt lgkmcnt(3)
	v_cmp_ne_u16_e32 vcc, s0, v34
	v_cndmask_b32_e32 v38, v6, v34, vcc
	v_xor_b32_e32 v39, v26, v2
	v_lshrrev_b32_sdwa v2, s68, v27 dst_sel:DWORD dst_unused:UNUSED_PAD src0_sel:DWORD src1_sel:WORD_0
	v_lshrrev_b32_sdwa v5, s68, v5 dst_sel:DWORD dst_unused:UNUSED_PAD src0_sel:DWORD src1_sel:WORD_0
	v_xor_b32_e32 v40, v29, v3
	v_lshrrev_b32_sdwa v3, s68, v30 dst_sel:DWORD dst_unused:UNUSED_PAD src0_sel:DWORD src1_sel:WORD_0
	v_xor_b32_e32 v41, v31, v4
	v_lshrrev_b32_sdwa v4, s68, v32 dst_sel:DWORD dst_unused:UNUSED_PAD src0_sel:DWORD src1_sel:WORD_0
	v_lshrrev_b32_sdwa v26, s68, v38 dst_sel:DWORD dst_unused:UNUSED_PAD src0_sel:DWORD src1_sel:WORD_0
	v_and_b32_e32 v2, s9, v2
	v_and_b32_e32 v5, s9, v5
	;; [unrolled: 1-line block ×5, first 2 shown]
	v_lshlrev_b32_e32 v49, 3, v2
	v_lshlrev_b32_e32 v48, 3, v5
	;; [unrolled: 1-line block ×5, first 2 shown]
	ds_read_b64 v[2:3], v49
	ds_read_b64 v[4:5], v50
	;; [unrolled: 1-line block ×5, first 2 shown]
	ds_read_u16 v38, v47 offset:6144
	ds_read_u16 v42, v47 offset:6656
	;; [unrolled: 1-line block ×4, first 2 shown]
	s_waitcnt lgkmcnt(4)
	v_lshlrev_b64 v[31:32], 1, v[31:32]
	v_lshlrev_b64 v[2:3], 1, v[2:3]
	v_add_co_u32_e32 v31, vcc, s58, v31
	v_addc_co_u32_e32 v12, vcc, v12, v32, vcc
	v_lshlrev_b64 v[4:5], 1, v[4:5]
	v_add_co_u32_e32 v32, vcc, s58, v2
	v_addc_co_u32_e32 v21, vcc, v21, v3, vcc
	v_add_co_u32_e32 v45, vcc, s58, v4
	v_addc_co_u32_e32 v23, vcc, v23, v5, vcc
	;; [unrolled: 2-line block ×4, first 2 shown]
	global_store_short v[2:3], v39, off
	global_store_short v[4:5], v40, off offset:512
	v_add_co_u32_e32 v2, vcc, v45, v16
	v_addc_co_u32_e32 v3, vcc, 0, v23, vcc
	v_cmp_lt_i16_e32 vcc, -1, v33
	global_store_short v[2:3], v41, off offset:1024
	v_cndmask_b32_e64 v2, v6, -1, vcc
	v_xor_b32_e32 v4, v2, v33
	v_lshlrev_b64 v[2:3], 1, v[26:27]
	v_mov_b32_e32 v5, s59
	v_add_co_u32_e32 v2, vcc, s58, v2
	v_addc_co_u32_e32 v3, vcc, v5, v3, vcc
	v_add_co_u32_e32 v2, vcc, v2, v16
	v_addc_co_u32_e32 v3, vcc, 0, v3, vcc
	v_cmp_lt_i16_e32 vcc, -1, v34
	global_store_short v[2:3], v4, off offset:1536
	v_cndmask_b32_e64 v2, v6, -1, vcc
	v_xor_b32_e32 v4, v2, v34
	v_lshlrev_b64 v[2:3], 1, v[29:30]
	v_mov_b32_e32 v31, s59
	v_add_co_u32_e32 v2, vcc, s58, v2
	v_addc_co_u32_e32 v3, vcc, v5, v3, vcc
	v_add_co_u32_e32 v2, vcc, v2, v16
	v_addc_co_u32_e32 v3, vcc, 0, v3, vcc
	v_cmp_ne_u16_e32 vcc, s0, v35
	global_store_short v[2:3], v4, off offset:2048
	v_cndmask_b32_e32 v2, v6, v35, vcc
	v_lshrrev_b32_sdwa v2, s68, v2 dst_sel:DWORD dst_unused:UNUSED_PAD src0_sel:DWORD src1_sel:WORD_0
	v_and_b32_e32 v2, s9, v2
	v_cmp_lt_i16_e32 vcc, -1, v35
	v_cndmask_b32_e64 v3, v6, -1, vcc
	v_lshlrev_b32_e32 v21, 3, v2
	v_xor_b32_e32 v12, v3, v35
	ds_read_b64 v[2:3], v21
	v_cmp_ne_u16_e32 vcc, s0, v36
	v_cndmask_b32_e32 v4, v6, v36, vcc
	v_lshrrev_b32_sdwa v4, s68, v4 dst_sel:DWORD dst_unused:UNUSED_PAD src0_sel:DWORD src1_sel:WORD_0
	v_and_b32_e32 v4, s9, v4
	v_cmp_ne_u16_e32 vcc, s0, v37
	v_lshlrev_b32_e32 v23, 3, v4
	v_cndmask_b32_e32 v4, v6, v37, vcc
	v_lshrrev_b32_sdwa v4, s68, v4 dst_sel:DWORD dst_unused:UNUSED_PAD src0_sel:DWORD src1_sel:WORD_0
	s_waitcnt lgkmcnt(0)
	v_lshlrev_b64 v[2:3], 1, v[2:3]
	v_and_b32_e32 v4, s9, v4
	v_cmp_ne_u16_e32 vcc, s0, v38
	v_lshlrev_b32_e32 v53, 3, v4
	v_cndmask_b32_e32 v4, v6, v38, vcc
	v_add_co_u32_e32 v2, vcc, s58, v2
	v_lshrrev_b32_sdwa v4, s68, v4 dst_sel:DWORD dst_unused:UNUSED_PAD src0_sel:DWORD src1_sel:WORD_0
	v_addc_co_u32_e32 v3, vcc, v31, v3, vcc
	v_and_b32_e32 v4, s9, v4
	v_add_co_u32_e32 v2, vcc, v2, v16
	v_lshlrev_b32_e32 v54, 3, v4
	ds_read_b64 v[4:5], v23
	ds_read_b64 v[26:27], v53
	;; [unrolled: 1-line block ×3, first 2 shown]
	v_addc_co_u32_e32 v3, vcc, 0, v3, vcc
	v_cmp_lt_i16_e32 vcc, -1, v36
	global_store_short v[2:3], v12, off offset:2560
	v_cndmask_b32_e64 v2, v6, -1, vcc
	v_xor_b32_e32 v12, v2, v36
	s_waitcnt lgkmcnt(2)
	v_lshlrev_b64 v[2:3], 1, v[4:5]
	v_mov_b32_e32 v4, s59
	v_add_co_u32_e32 v2, vcc, s58, v2
	v_addc_co_u32_e32 v3, vcc, v4, v3, vcc
	v_add_co_u32_e32 v2, vcc, v2, v16
	v_addc_co_u32_e32 v3, vcc, 0, v3, vcc
	v_cmp_lt_i16_e32 vcc, -1, v37
	global_store_short v[2:3], v12, off offset:3072
	v_cndmask_b32_e64 v2, v6, -1, vcc
	v_xor_b32_e32 v4, v2, v37
	s_waitcnt lgkmcnt(1)
	v_lshlrev_b64 v[2:3], 1, v[26:27]
	v_mov_b32_e32 v5, s59
	v_add_co_u32_e32 v2, vcc, s58, v2
	v_addc_co_u32_e32 v3, vcc, v5, v3, vcc
	v_add_co_u32_e32 v2, vcc, v2, v16
	v_addc_co_u32_e32 v3, vcc, 0, v3, vcc
	v_cmp_lt_i16_e32 vcc, -1, v38
	global_store_short v[2:3], v4, off offset:3584
	v_cndmask_b32_e64 v2, v6, -1, vcc
	v_xor_b32_e32 v4, v2, v38
	s_waitcnt lgkmcnt(0)
	v_lshlrev_b64 v[2:3], 1, v[29:30]
	v_mov_b32_e32 v16, s59
	v_add_co_u32_e32 v2, vcc, s58, v2
	v_addc_co_u32_e32 v3, vcc, v5, v3, vcc
	v_lshlrev_b32_e32 v5, 1, v55
	v_add_co_u32_e32 v2, vcc, v2, v5
	v_addc_co_u32_e32 v3, vcc, 0, v3, vcc
	v_cmp_ne_u16_e32 vcc, s0, v42
	global_store_short v[2:3], v4, off
	v_cndmask_b32_e32 v2, v6, v42, vcc
	v_lshrrev_b32_sdwa v2, s68, v2 dst_sel:DWORD dst_unused:UNUSED_PAD src0_sel:DWORD src1_sel:WORD_0
	v_and_b32_e32 v2, s9, v2
	v_cmp_lt_i16_e32 vcc, -1, v42
	v_cndmask_b32_e64 v3, v6, -1, vcc
	v_lshlrev_b32_e32 v57, 3, v2
	v_xor_b32_e32 v12, v3, v42
	ds_read_b64 v[2:3], v57
	v_cmp_ne_u16_e32 vcc, s0, v43
	v_cndmask_b32_e32 v4, v6, v43, vcc
	v_lshrrev_b32_sdwa v4, s68, v4 dst_sel:DWORD dst_unused:UNUSED_PAD src0_sel:DWORD src1_sel:WORD_0
	v_and_b32_e32 v4, s9, v4
	v_cmp_ne_u16_e32 vcc, s0, v44
	s_waitcnt lgkmcnt(0)
	v_lshlrev_b64 v[2:3], 1, v[2:3]
	v_lshlrev_b32_e32 v58, 3, v4
	v_cndmask_b32_e32 v4, v6, v44, vcc
	v_lshrrev_b32_sdwa v4, s68, v4 dst_sel:DWORD dst_unused:UNUSED_PAD src0_sel:DWORD src1_sel:WORD_0
	v_add_co_u32_e32 v2, vcc, s58, v2
	v_and_b32_e32 v4, s9, v4
	v_addc_co_u32_e32 v3, vcc, v16, v3, vcc
	v_lshlrev_b32_e32 v16, 1, v56
	v_lshlrev_b32_e32 v59, 3, v4
	ds_read_b64 v[4:5], v58
	ds_read_b64 v[26:27], v59
	v_add_co_u32_e32 v2, vcc, v2, v16
	v_addc_co_u32_e32 v3, vcc, 0, v3, vcc
	v_cmp_lt_i16_e32 vcc, -1, v43
	global_store_short v[2:3], v12, off
	v_cndmask_b32_e64 v2, v6, -1, vcc
	v_xor_b32_e32 v12, v2, v43
	s_waitcnt lgkmcnt(1)
	v_lshlrev_b64 v[2:3], 1, v[4:5]
	v_mov_b32_e32 v4, s59
	v_add_co_u32_e32 v2, vcc, s58, v2
	v_addc_co_u32_e32 v3, vcc, v4, v3, vcc
	v_lshlrev_b32_e32 v4, 1, v60
	v_add_co_u32_e32 v2, vcc, v2, v4
	v_addc_co_u32_e32 v3, vcc, 0, v3, vcc
	v_cmp_lt_i16_e32 vcc, -1, v44
	global_store_short v[2:3], v12, off
	v_cndmask_b32_e64 v2, v6, -1, vcc
	v_xor_b32_e32 v4, v2, v44
	s_waitcnt lgkmcnt(0)
	v_lshlrev_b64 v[2:3], 1, v[26:27]
	v_mov_b32_e32 v5, s59
	v_add_co_u32_e32 v2, vcc, s58, v2
	v_addc_co_u32_e32 v3, vcc, v5, v3, vcc
	v_lshlrev_b32_e32 v5, 1, v61
	v_add_co_u32_e32 v2, vcc, v2, v5
	s_lshl_b64 s[0:1], s[54:55], 3
	v_addc_co_u32_e32 v3, vcc, 0, v3, vcc
	s_add_u32 s0, s60, s0
	global_store_short v[2:3], v4, off
	s_addc_u32 s1, s61, s1
	v_lshlrev_b32_e32 v2, 3, v8
	v_mov_b32_e32 v3, s1
	v_add_co_u32_e32 v2, vcc, s0, v2
	v_addc_co_u32_e32 v3, vcc, 0, v3, vcc
	v_lshlrev_b32_e32 v4, 3, v7
	v_add_co_u32_e32 v2, vcc, v2, v4
	v_addc_co_u32_e32 v3, vcc, 0, v3, vcc
	global_load_dwordx2 v[4:5], v[2:3], off
	global_load_dwordx2 v[6:7], v[2:3], off offset:512
	global_load_dwordx2 v[26:27], v[2:3], off offset:1024
	;; [unrolled: 1-line block ×7, first 2 shown]
	s_movk_i32 s0, 0x1000
	v_add_co_u32_e32 v2, vcc, s0, v2
	v_addc_co_u32_e32 v3, vcc, 0, v3, vcc
	global_load_dwordx2 v[39:40], v[2:3], off
	global_load_dwordx2 v[41:42], v[2:3], off offset:512
	global_load_dwordx2 v[43:44], v[2:3], off offset:1024
	;; [unrolled: 1-line block ×3, first 2 shown]
	v_lshlrev_b32_e32 v2, 3, v28
	s_waitcnt vmcnt(0)
	s_barrier
	v_mov_b32_e32 v8, s63
	s_add_i32 s8, s8, -1
	s_cmp_lg_u32 s6, s8
	ds_write_b64 v2, v[4:5] offset:2048
	v_lshlrev_b32_e32 v2, 3, v25
	ds_write_b64 v2, v[6:7] offset:2048
	v_lshlrev_b32_e32 v2, 3, v24
	;; [unrolled: 2-line block ×11, first 2 shown]
	ds_write_b64 v2, v[45:46] offset:2048
	s_waitcnt lgkmcnt(0)
	s_barrier
	ds_read_b64 v[6:7], v48
	ds_read2st64_b64 v[2:5], v0 offset0:4 offset1:8
	ds_read_b64 v[11:12], v49
	ds_read_b64 v[13:14], v50
	;; [unrolled: 1-line block ×3, first 2 shown]
	s_waitcnt lgkmcnt(4)
	v_lshlrev_b64 v[6:7], 3, v[6:7]
	v_add_co_u32_e32 v6, vcc, s62, v6
	v_addc_co_u32_e32 v7, vcc, v8, v7, vcc
	v_add_co_u32_e32 v6, vcc, v6, v1
	v_addc_co_u32_e32 v7, vcc, 0, v7, vcc
	s_waitcnt lgkmcnt(3)
	global_store_dwordx2 v[6:7], v[2:3], off
	s_waitcnt lgkmcnt(2)
	v_lshlrev_b64 v[2:3], 3, v[11:12]
	v_mov_b32_e32 v6, s63
	v_add_co_u32_e32 v2, vcc, s62, v2
	v_addc_co_u32_e32 v3, vcc, v6, v3, vcc
	v_add_co_u32_e32 v2, vcc, v2, v1
	v_addc_co_u32_e32 v3, vcc, 0, v3, vcc
	s_waitcnt lgkmcnt(1)
	v_lshlrev_b64 v[6:7], 3, v[13:14]
	global_store_dwordx2 v[2:3], v[4:5], off offset:2048
	ds_read2st64_b64 v[2:5], v0 offset0:12 offset1:16
	v_add_co_u32_e32 v6, vcc, s62, v6
	v_addc_co_u32_e32 v7, vcc, v8, v7, vcc
	v_or_b32_e32 v8, 0x1000, v1
	v_add_co_u32_e32 v6, vcc, v6, v8
	v_addc_co_u32_e32 v7, vcc, 0, v7, vcc
	s_waitcnt lgkmcnt(0)
	global_store_dwordx2 v[6:7], v[2:3], off
	v_lshlrev_b64 v[2:3], 3, v[15:16]
	v_mov_b32_e32 v6, s63
	v_add_co_u32_e32 v2, vcc, s62, v2
	v_addc_co_u32_e32 v3, vcc, v6, v3, vcc
	v_or_b32_e32 v6, 0x1800, v1
	v_add_co_u32_e32 v2, vcc, v2, v6
	v_addc_co_u32_e32 v3, vcc, 0, v3, vcc
	global_store_dwordx2 v[2:3], v[4:5], off
	ds_read_b64 v[6:7], v52
	ds_read2st64_b64 v[2:5], v0 offset0:20 offset1:24
	ds_read_b64 v[11:12], v21
	ds_read_b64 v[13:14], v23
	;; [unrolled: 1-line block ×3, first 2 shown]
	s_waitcnt lgkmcnt(4)
	v_lshlrev_b64 v[6:7], 3, v[6:7]
	v_mov_b32_e32 v8, s63
	v_add_co_u32_e32 v6, vcc, s62, v6
	v_addc_co_u32_e32 v7, vcc, v8, v7, vcc
	v_or_b32_e32 v8, 0x2000, v1
	v_add_co_u32_e32 v6, vcc, v6, v8
	v_addc_co_u32_e32 v7, vcc, 0, v7, vcc
	s_waitcnt lgkmcnt(3)
	global_store_dwordx2 v[6:7], v[2:3], off
	s_waitcnt lgkmcnt(2)
	v_lshlrev_b64 v[2:3], 3, v[11:12]
	v_mov_b32_e32 v6, s63
	v_add_co_u32_e32 v2, vcc, s62, v2
	v_addc_co_u32_e32 v3, vcc, v6, v3, vcc
	v_or_b32_e32 v6, 0x2800, v1
	v_add_co_u32_e32 v2, vcc, v2, v6
	v_addc_co_u32_e32 v3, vcc, 0, v3, vcc
	s_waitcnt lgkmcnt(1)
	v_lshlrev_b64 v[6:7], 3, v[13:14]
	global_store_dwordx2 v[2:3], v[4:5], off
	ds_read2st64_b64 v[2:5], v0 offset0:28 offset1:32
	v_mov_b32_e32 v8, s63
	v_add_co_u32_e32 v6, vcc, s62, v6
	v_addc_co_u32_e32 v7, vcc, v8, v7, vcc
	v_or_b32_e32 v8, 0x3000, v1
	v_add_co_u32_e32 v6, vcc, v6, v8
	v_addc_co_u32_e32 v7, vcc, 0, v7, vcc
	s_waitcnt lgkmcnt(0)
	global_store_dwordx2 v[6:7], v[2:3], off
	v_lshlrev_b64 v[2:3], 3, v[15:16]
	v_mov_b32_e32 v6, s63
	v_add_co_u32_e32 v2, vcc, s62, v2
	v_addc_co_u32_e32 v3, vcc, v6, v3, vcc
	v_or_b32_e32 v6, 0x3800, v1
	v_add_co_u32_e32 v2, vcc, v2, v6
	v_addc_co_u32_e32 v3, vcc, 0, v3, vcc
	global_store_dwordx2 v[2:3], v[4:5], off
	ds_read_b64 v[6:7], v54
	ds_read2st64_b64 v[2:5], v0 offset0:36 offset1:40
	ds_read_b64 v[11:12], v57
	ds_read_b64 v[13:14], v58
	;; [unrolled: 1-line block ×3, first 2 shown]
	s_waitcnt lgkmcnt(4)
	v_lshlrev_b64 v[6:7], 3, v[6:7]
	v_mov_b32_e32 v8, s63
	v_add_co_u32_e32 v6, vcc, s62, v6
	v_addc_co_u32_e32 v7, vcc, v8, v7, vcc
	v_lshlrev_b32_e32 v8, 3, v55
	v_add_co_u32_e32 v6, vcc, v6, v8
	v_addc_co_u32_e32 v7, vcc, 0, v7, vcc
	s_waitcnt lgkmcnt(3)
	global_store_dwordx2 v[6:7], v[2:3], off
	s_waitcnt lgkmcnt(2)
	v_lshlrev_b64 v[2:3], 3, v[11:12]
	v_mov_b32_e32 v6, s63
	v_add_co_u32_e32 v2, vcc, s62, v2
	v_addc_co_u32_e32 v3, vcc, v6, v3, vcc
	v_lshlrev_b32_e32 v6, 3, v56
	v_add_co_u32_e32 v2, vcc, v2, v6
	v_addc_co_u32_e32 v3, vcc, 0, v3, vcc
	s_waitcnt lgkmcnt(1)
	v_lshlrev_b64 v[6:7], 3, v[13:14]
	global_store_dwordx2 v[2:3], v[4:5], off
	ds_read2st64_b64 v[2:5], v0 offset0:44 offset1:48
	v_mov_b32_e32 v0, s63
	v_add_co_u32_e32 v6, vcc, s62, v6
	v_addc_co_u32_e32 v0, vcc, v0, v7, vcc
	v_lshlrev_b32_e32 v7, 3, v60
	v_add_co_u32_e32 v6, vcc, v6, v7
	v_addc_co_u32_e32 v7, vcc, 0, v0, vcc
	s_waitcnt lgkmcnt(0)
	global_store_dwordx2 v[6:7], v[2:3], off
	v_lshlrev_b64 v[2:3], 3, v[15:16]
	v_mov_b32_e32 v0, s63
	v_add_co_u32_e32 v2, vcc, s62, v2
	v_addc_co_u32_e32 v0, vcc, v0, v3, vcc
	v_lshlrev_b32_e32 v3, 3, v61
	v_add_co_u32_e32 v2, vcc, v2, v3
	v_addc_co_u32_e32 v3, vcc, 0, v0, vcc
	global_store_dwordx2 v[2:3], v[4:5], off
	s_cbranch_scc1 .LBB199_195
; %bb.194:
	ds_read_b64 v[2:3], v1
	v_add_co_u32_e32 v0, vcc, v10, v9
	v_addc_co_u32_e64 v4, s[0:1], 0, 0, vcc
	s_waitcnt lgkmcnt(0)
	v_add_co_u32_e32 v2, vcc, v0, v2
	v_addc_co_u32_e32 v3, vcc, v4, v3, vcc
	global_store_dwordx2 v1, v[2:3], s[66:67]
.LBB199_195:
	s_endpgm
.LBB199_196:
	s_or_b64 exec, exec, s[0:1]
	s_and_saveexec_b64 s[0:1], s[26:27]
	s_cbranch_execz .LBB199_139
.LBB199_197:
	v_lshlrev_b32_e32 v3, 3, v60
	ds_read_b64 v[3:4], v3
	ds_read_b64 v[5:6], v32 offset:4096
	v_mov_b32_e32 v7, s63
	s_waitcnt lgkmcnt(1)
	v_lshlrev_b64 v[3:4], 3, v[3:4]
	v_add_co_u32_e32 v3, vcc, s62, v3
	v_addc_co_u32_e32 v4, vcc, v7, v4, vcc
	v_add_co_u32_e32 v3, vcc, v3, v32
	v_addc_co_u32_e32 v4, vcc, 0, v4, vcc
	s_waitcnt lgkmcnt(0)
	global_store_dwordx2 v[3:4], v[5:6], off offset:2048
	s_or_b64 exec, exec, s[0:1]
	s_and_saveexec_b64 s[0:1], s[28:29]
	s_cbranch_execnz .LBB199_140
.LBB199_198:
	s_or_b64 exec, exec, s[0:1]
	s_and_saveexec_b64 s[0:1], s[30:31]
	s_cbranch_execz .LBB199_141
.LBB199_199:
	v_lshlrev_b32_e32 v3, 3, v58
	ds_read_b64 v[3:4], v3
	ds_read_b64 v[5:6], v32 offset:8192
	v_mov_b32_e32 v7, s63
	s_waitcnt lgkmcnt(1)
	v_lshlrev_b64 v[3:4], 3, v[3:4]
	v_add_co_u32_e32 v3, vcc, s62, v3
	v_addc_co_u32_e32 v4, vcc, v7, v4, vcc
	v_lshlrev_b32_e32 v7, 3, v46
	v_add_co_u32_e32 v3, vcc, v3, v7
	v_addc_co_u32_e32 v4, vcc, 0, v4, vcc
	s_waitcnt lgkmcnt(0)
	global_store_dwordx2 v[3:4], v[5:6], off
	s_or_b64 exec, exec, s[0:1]
	s_and_saveexec_b64 s[0:1], s[34:35]
	s_cbranch_execnz .LBB199_142
.LBB199_200:
	s_or_b64 exec, exec, s[0:1]
	s_and_saveexec_b64 s[0:1], s[36:37]
	s_cbranch_execz .LBB199_143
.LBB199_201:
	v_lshlrev_b32_e32 v3, 3, v56
	ds_read_b64 v[3:4], v3
	ds_read_b64 v[5:6], v32 offset:12288
	v_mov_b32_e32 v7, s63
	s_waitcnt lgkmcnt(1)
	v_lshlrev_b64 v[3:4], 3, v[3:4]
	v_add_co_u32_e32 v3, vcc, s62, v3
	v_addc_co_u32_e32 v4, vcc, v7, v4, vcc
	v_lshlrev_b32_e32 v7, 3, v48
	v_add_co_u32_e32 v3, vcc, v3, v7
	v_addc_co_u32_e32 v4, vcc, 0, v4, vcc
	s_waitcnt lgkmcnt(0)
	global_store_dwordx2 v[3:4], v[5:6], off
	s_or_b64 exec, exec, s[0:1]
	s_and_saveexec_b64 s[0:1], s[38:39]
	s_cbranch_execnz .LBB199_144
.LBB199_202:
	s_or_b64 exec, exec, s[0:1]
	s_and_saveexec_b64 s[0:1], s[40:41]
	s_cbranch_execz .LBB199_145
.LBB199_203:
	v_lshlrev_b32_e32 v3, 3, v55
	ds_read_b64 v[3:4], v3
	ds_read_b64 v[5:6], v32 offset:16384
	v_mov_b32_e32 v7, s63
	s_waitcnt lgkmcnt(1)
	v_lshlrev_b64 v[3:4], 3, v[3:4]
	v_add_co_u32_e32 v3, vcc, s62, v3
	v_addc_co_u32_e32 v4, vcc, v7, v4, vcc
	v_lshlrev_b32_e32 v7, 3, v50
	v_add_co_u32_e32 v3, vcc, v3, v7
	v_addc_co_u32_e32 v4, vcc, 0, v4, vcc
	s_waitcnt lgkmcnt(0)
	global_store_dwordx2 v[3:4], v[5:6], off
	s_or_b64 exec, exec, s[0:1]
	s_and_saveexec_b64 s[0:1], s[42:43]
	s_cbranch_execnz .LBB199_146
.LBB199_204:
	s_or_b64 exec, exec, s[0:1]
	s_and_saveexec_b64 s[0:1], s[44:45]
	s_cbranch_execz .LBB199_147
.LBB199_205:
	v_lshlrev_b32_e32 v3, 3, v28
	ds_read_b64 v[3:4], v3
	ds_read_b64 v[5:6], v32 offset:20480
	v_mov_b32_e32 v7, s63
	s_waitcnt lgkmcnt(1)
	v_lshlrev_b64 v[3:4], 3, v[3:4]
	v_add_co_u32_e32 v3, vcc, s62, v3
	v_addc_co_u32_e32 v4, vcc, v7, v4, vcc
	v_lshlrev_b32_e32 v7, 3, v52
	v_add_co_u32_e32 v3, vcc, v3, v7
	v_addc_co_u32_e32 v4, vcc, 0, v4, vcc
	s_waitcnt lgkmcnt(0)
	global_store_dwordx2 v[3:4], v[5:6], off
	s_or_b64 exec, exec, s[0:1]
	s_and_saveexec_b64 s[0:1], s[46:47]
	s_cbranch_execnz .LBB199_148
.LBB199_206:
	s_or_b64 exec, exec, s[0:1]
	s_and_saveexec_b64 s[0:1], s[48:49]
	s_cbranch_execz .LBB199_149
.LBB199_207:
	v_lshlrev_b32_e32 v3, 3, v27
	ds_read_b64 v[3:4], v3
	ds_read_b64 v[5:6], v32 offset:24576
	v_mov_b32_e32 v7, s63
	s_waitcnt lgkmcnt(1)
	v_lshlrev_b64 v[3:4], 3, v[3:4]
	v_add_co_u32_e32 v3, vcc, s62, v3
	v_addc_co_u32_e32 v4, vcc, v7, v4, vcc
	v_lshlrev_b32_e32 v7, 3, v54
	v_add_co_u32_e32 v3, vcc, v3, v7
	v_addc_co_u32_e32 v4, vcc, 0, v4, vcc
	s_waitcnt lgkmcnt(0)
	global_store_dwordx2 v[3:4], v[5:6], off
	s_or_b64 exec, exec, s[0:1]
	s_add_i32 s33, s33, -1
	s_cmp_eq_u32 s6, s33
	s_cbranch_scc1 .LBB199_150
	s_branch .LBB199_151
	.section	.rodata,"a",@progbits
	.p2align	6, 0x0
	.amdhsa_kernel _ZN7rocprim17ROCPRIM_304000_NS6detail25onesweep_iteration_kernelINS1_34wrapped_radix_sort_onesweep_configINS0_14default_configE6__halfN2at4cuda3cub6detail10OpaqueTypeILi8EEEEELb0EPS5_SD_PSB_SE_mNS0_19identity_decomposerEEEvT1_T2_T3_T4_jPT5_SL_PNS1_23onesweep_lookback_stateET6_jjj
		.amdhsa_group_segment_fixed_size 26624
		.amdhsa_private_segment_fixed_size 0
		.amdhsa_kernarg_size 336
		.amdhsa_user_sgpr_count 6
		.amdhsa_user_sgpr_private_segment_buffer 1
		.amdhsa_user_sgpr_dispatch_ptr 0
		.amdhsa_user_sgpr_queue_ptr 0
		.amdhsa_user_sgpr_kernarg_segment_ptr 1
		.amdhsa_user_sgpr_dispatch_id 0
		.amdhsa_user_sgpr_flat_scratch_init 0
		.amdhsa_user_sgpr_private_segment_size 0
		.amdhsa_uses_dynamic_stack 0
		.amdhsa_system_sgpr_private_segment_wavefront_offset 0
		.amdhsa_system_sgpr_workgroup_id_x 1
		.amdhsa_system_sgpr_workgroup_id_y 0
		.amdhsa_system_sgpr_workgroup_id_z 0
		.amdhsa_system_sgpr_workgroup_info 0
		.amdhsa_system_vgpr_workitem_id 2
		.amdhsa_next_free_vgpr 85
		.amdhsa_next_free_sgpr 98
		.amdhsa_reserve_vcc 1
		.amdhsa_reserve_flat_scratch 0
		.amdhsa_float_round_mode_32 0
		.amdhsa_float_round_mode_16_64 0
		.amdhsa_float_denorm_mode_32 3
		.amdhsa_float_denorm_mode_16_64 3
		.amdhsa_dx10_clamp 1
		.amdhsa_ieee_mode 1
		.amdhsa_fp16_overflow 0
		.amdhsa_exception_fp_ieee_invalid_op 0
		.amdhsa_exception_fp_denorm_src 0
		.amdhsa_exception_fp_ieee_div_zero 0
		.amdhsa_exception_fp_ieee_overflow 0
		.amdhsa_exception_fp_ieee_underflow 0
		.amdhsa_exception_fp_ieee_inexact 0
		.amdhsa_exception_int_div_zero 0
	.end_amdhsa_kernel
	.section	.text._ZN7rocprim17ROCPRIM_304000_NS6detail25onesweep_iteration_kernelINS1_34wrapped_radix_sort_onesweep_configINS0_14default_configE6__halfN2at4cuda3cub6detail10OpaqueTypeILi8EEEEELb0EPS5_SD_PSB_SE_mNS0_19identity_decomposerEEEvT1_T2_T3_T4_jPT5_SL_PNS1_23onesweep_lookback_stateET6_jjj,"axG",@progbits,_ZN7rocprim17ROCPRIM_304000_NS6detail25onesweep_iteration_kernelINS1_34wrapped_radix_sort_onesweep_configINS0_14default_configE6__halfN2at4cuda3cub6detail10OpaqueTypeILi8EEEEELb0EPS5_SD_PSB_SE_mNS0_19identity_decomposerEEEvT1_T2_T3_T4_jPT5_SL_PNS1_23onesweep_lookback_stateET6_jjj,comdat
.Lfunc_end199:
	.size	_ZN7rocprim17ROCPRIM_304000_NS6detail25onesweep_iteration_kernelINS1_34wrapped_radix_sort_onesweep_configINS0_14default_configE6__halfN2at4cuda3cub6detail10OpaqueTypeILi8EEEEELb0EPS5_SD_PSB_SE_mNS0_19identity_decomposerEEEvT1_T2_T3_T4_jPT5_SL_PNS1_23onesweep_lookback_stateET6_jjj, .Lfunc_end199-_ZN7rocprim17ROCPRIM_304000_NS6detail25onesweep_iteration_kernelINS1_34wrapped_radix_sort_onesweep_configINS0_14default_configE6__halfN2at4cuda3cub6detail10OpaqueTypeILi8EEEEELb0EPS5_SD_PSB_SE_mNS0_19identity_decomposerEEEvT1_T2_T3_T4_jPT5_SL_PNS1_23onesweep_lookback_stateET6_jjj
                                        ; -- End function
	.set _ZN7rocprim17ROCPRIM_304000_NS6detail25onesweep_iteration_kernelINS1_34wrapped_radix_sort_onesweep_configINS0_14default_configE6__halfN2at4cuda3cub6detail10OpaqueTypeILi8EEEEELb0EPS5_SD_PSB_SE_mNS0_19identity_decomposerEEEvT1_T2_T3_T4_jPT5_SL_PNS1_23onesweep_lookback_stateET6_jjj.num_vgpr, 66
	.set _ZN7rocprim17ROCPRIM_304000_NS6detail25onesweep_iteration_kernelINS1_34wrapped_radix_sort_onesweep_configINS0_14default_configE6__halfN2at4cuda3cub6detail10OpaqueTypeILi8EEEEELb0EPS5_SD_PSB_SE_mNS0_19identity_decomposerEEEvT1_T2_T3_T4_jPT5_SL_PNS1_23onesweep_lookback_stateET6_jjj.num_agpr, 0
	.set _ZN7rocprim17ROCPRIM_304000_NS6detail25onesweep_iteration_kernelINS1_34wrapped_radix_sort_onesweep_configINS0_14default_configE6__halfN2at4cuda3cub6detail10OpaqueTypeILi8EEEEELb0EPS5_SD_PSB_SE_mNS0_19identity_decomposerEEEvT1_T2_T3_T4_jPT5_SL_PNS1_23onesweep_lookback_stateET6_jjj.numbered_sgpr, 75
	.set _ZN7rocprim17ROCPRIM_304000_NS6detail25onesweep_iteration_kernelINS1_34wrapped_radix_sort_onesweep_configINS0_14default_configE6__halfN2at4cuda3cub6detail10OpaqueTypeILi8EEEEELb0EPS5_SD_PSB_SE_mNS0_19identity_decomposerEEEvT1_T2_T3_T4_jPT5_SL_PNS1_23onesweep_lookback_stateET6_jjj.num_named_barrier, 0
	.set _ZN7rocprim17ROCPRIM_304000_NS6detail25onesweep_iteration_kernelINS1_34wrapped_radix_sort_onesweep_configINS0_14default_configE6__halfN2at4cuda3cub6detail10OpaqueTypeILi8EEEEELb0EPS5_SD_PSB_SE_mNS0_19identity_decomposerEEEvT1_T2_T3_T4_jPT5_SL_PNS1_23onesweep_lookback_stateET6_jjj.private_seg_size, 0
	.set _ZN7rocprim17ROCPRIM_304000_NS6detail25onesweep_iteration_kernelINS1_34wrapped_radix_sort_onesweep_configINS0_14default_configE6__halfN2at4cuda3cub6detail10OpaqueTypeILi8EEEEELb0EPS5_SD_PSB_SE_mNS0_19identity_decomposerEEEvT1_T2_T3_T4_jPT5_SL_PNS1_23onesweep_lookback_stateET6_jjj.uses_vcc, 1
	.set _ZN7rocprim17ROCPRIM_304000_NS6detail25onesweep_iteration_kernelINS1_34wrapped_radix_sort_onesweep_configINS0_14default_configE6__halfN2at4cuda3cub6detail10OpaqueTypeILi8EEEEELb0EPS5_SD_PSB_SE_mNS0_19identity_decomposerEEEvT1_T2_T3_T4_jPT5_SL_PNS1_23onesweep_lookback_stateET6_jjj.uses_flat_scratch, 0
	.set _ZN7rocprim17ROCPRIM_304000_NS6detail25onesweep_iteration_kernelINS1_34wrapped_radix_sort_onesweep_configINS0_14default_configE6__halfN2at4cuda3cub6detail10OpaqueTypeILi8EEEEELb0EPS5_SD_PSB_SE_mNS0_19identity_decomposerEEEvT1_T2_T3_T4_jPT5_SL_PNS1_23onesweep_lookback_stateET6_jjj.has_dyn_sized_stack, 0
	.set _ZN7rocprim17ROCPRIM_304000_NS6detail25onesweep_iteration_kernelINS1_34wrapped_radix_sort_onesweep_configINS0_14default_configE6__halfN2at4cuda3cub6detail10OpaqueTypeILi8EEEEELb0EPS5_SD_PSB_SE_mNS0_19identity_decomposerEEEvT1_T2_T3_T4_jPT5_SL_PNS1_23onesweep_lookback_stateET6_jjj.has_recursion, 0
	.set _ZN7rocprim17ROCPRIM_304000_NS6detail25onesweep_iteration_kernelINS1_34wrapped_radix_sort_onesweep_configINS0_14default_configE6__halfN2at4cuda3cub6detail10OpaqueTypeILi8EEEEELb0EPS5_SD_PSB_SE_mNS0_19identity_decomposerEEEvT1_T2_T3_T4_jPT5_SL_PNS1_23onesweep_lookback_stateET6_jjj.has_indirect_call, 0
	.section	.AMDGPU.csdata,"",@progbits
; Kernel info:
; codeLenInByte = 20624
; TotalNumSgprs: 79
; NumVgprs: 66
; ScratchSize: 0
; MemoryBound: 0
; FloatMode: 240
; IeeeMode: 1
; LDSByteSize: 26624 bytes/workgroup (compile time only)
; SGPRBlocks: 12
; VGPRBlocks: 21
; NumSGPRsForWavesPerEU: 102
; NumVGPRsForWavesPerEU: 85
; Occupancy: 2
; WaveLimiterHint : 1
; COMPUTE_PGM_RSRC2:SCRATCH_EN: 0
; COMPUTE_PGM_RSRC2:USER_SGPR: 6
; COMPUTE_PGM_RSRC2:TRAP_HANDLER: 0
; COMPUTE_PGM_RSRC2:TGID_X_EN: 1
; COMPUTE_PGM_RSRC2:TGID_Y_EN: 0
; COMPUTE_PGM_RSRC2:TGID_Z_EN: 0
; COMPUTE_PGM_RSRC2:TIDIG_COMP_CNT: 2
	.section	.AMDGPU.gpr_maximums,"",@progbits
	.set amdgpu.max_num_vgpr, 0
	.set amdgpu.max_num_agpr, 0
	.set amdgpu.max_num_sgpr, 0
	.section	.AMDGPU.csdata,"",@progbits
	.type	__hip_cuid_b266b9f613b8e806,@object ; @__hip_cuid_b266b9f613b8e806
	.section	.bss,"aw",@nobits
	.globl	__hip_cuid_b266b9f613b8e806
__hip_cuid_b266b9f613b8e806:
	.byte	0                               ; 0x0
	.size	__hip_cuid_b266b9f613b8e806, 1

	.ident	"AMD clang version 22.0.0git (https://github.com/RadeonOpenCompute/llvm-project roc-7.2.4 26084 f58b06dce1f9c15707c5f808fd002e18c2accf7e)"
	.section	".note.GNU-stack","",@progbits
	.addrsig
	.addrsig_sym __hip_cuid_b266b9f613b8e806
	.amdgpu_metadata
---
amdhsa.kernels:
  - .args:
      - .address_space:  global
        .offset:         0
        .size:           8
        .value_kind:     global_buffer
      - .address_space:  global
        .offset:         8
        .size:           8
        .value_kind:     global_buffer
      - .address_space:  global
        .offset:         16
        .size:           8
        .value_kind:     global_buffer
      - .address_space:  global
        .offset:         24
        .size:           8
        .value_kind:     global_buffer
      - .offset:         32
        .size:           4
        .value_kind:     by_value
      - .offset:         36
        .size:           1
        .value_kind:     by_value
      - .offset:         40
        .size:           4
        .value_kind:     by_value
      - .offset:         44
        .size:           4
        .value_kind:     by_value
      - .offset:         48
        .size:           4
        .value_kind:     hidden_block_count_x
      - .offset:         52
        .size:           4
        .value_kind:     hidden_block_count_y
      - .offset:         56
        .size:           4
        .value_kind:     hidden_block_count_z
      - .offset:         60
        .size:           2
        .value_kind:     hidden_group_size_x
      - .offset:         62
        .size:           2
        .value_kind:     hidden_group_size_y
      - .offset:         64
        .size:           2
        .value_kind:     hidden_group_size_z
      - .offset:         66
        .size:           2
        .value_kind:     hidden_remainder_x
      - .offset:         68
        .size:           2
        .value_kind:     hidden_remainder_y
      - .offset:         70
        .size:           2
        .value_kind:     hidden_remainder_z
      - .offset:         88
        .size:           8
        .value_kind:     hidden_global_offset_x
      - .offset:         96
        .size:           8
        .value_kind:     hidden_global_offset_y
      - .offset:         104
        .size:           8
        .value_kind:     hidden_global_offset_z
      - .offset:         112
        .size:           2
        .value_kind:     hidden_grid_dims
    .group_segment_fixed_size: 8192
    .kernarg_segment_align: 8
    .kernarg_segment_size: 304
    .language:       OpenCL C
    .language_version:
      - 2
      - 0
    .max_flat_workgroup_size: 256
    .name:           _ZN7rocprim17ROCPRIM_304000_NS6detail28radix_sort_block_sort_kernelINS1_36wrapped_radix_sort_block_sort_configINS0_13kernel_configILj256ELj4ELj4294967295EEEhN2at4cuda3cub6detail10OpaqueTypeILi8EEEEELb1EPKhPhPKSB_PSB_NS0_19identity_decomposerEEEvT1_T2_T3_T4_jT5_jj
    .private_segment_fixed_size: 0
    .sgpr_count:     50
    .sgpr_spill_count: 0
    .symbol:         _ZN7rocprim17ROCPRIM_304000_NS6detail28radix_sort_block_sort_kernelINS1_36wrapped_radix_sort_block_sort_configINS0_13kernel_configILj256ELj4ELj4294967295EEEhN2at4cuda3cub6detail10OpaqueTypeILi8EEEEELb1EPKhPhPKSB_PSB_NS0_19identity_decomposerEEEvT1_T2_T3_T4_jT5_jj.kd
    .uniform_work_group_size: 1
    .uses_dynamic_stack: false
    .vgpr_count:     48
    .vgpr_spill_count: 0
    .wavefront_size: 64
  - .args:           []
    .group_segment_fixed_size: 0
    .kernarg_segment_align: 4
    .kernarg_segment_size: 0
    .language:       OpenCL C
    .language_version:
      - 2
      - 0
    .max_flat_workgroup_size: 1024
    .name:           _ZN7rocprim17ROCPRIM_304000_NS6detail39device_merge_sort_compile_time_verifierINS1_36wrapped_merge_sort_block_sort_configINS1_28merge_sort_block_sort_configILj256ELj4ELNS0_20block_sort_algorithmE0EEEhN2at4cuda3cub6detail10OpaqueTypeILi8EEEEENS1_37wrapped_merge_sort_block_merge_configINS0_14default_configEhSC_EEEEvv
    .private_segment_fixed_size: 0
    .sgpr_count:     4
    .sgpr_spill_count: 0
    .symbol:         _ZN7rocprim17ROCPRIM_304000_NS6detail39device_merge_sort_compile_time_verifierINS1_36wrapped_merge_sort_block_sort_configINS1_28merge_sort_block_sort_configILj256ELj4ELNS0_20block_sort_algorithmE0EEEhN2at4cuda3cub6detail10OpaqueTypeILi8EEEEENS1_37wrapped_merge_sort_block_merge_configINS0_14default_configEhSC_EEEEvv.kd
    .uniform_work_group_size: 1
    .uses_dynamic_stack: false
    .vgpr_count:     0
    .vgpr_spill_count: 0
    .wavefront_size: 64
  - .args:
      - .address_space:  global
        .offset:         0
        .size:           8
        .value_kind:     global_buffer
      - .offset:         8
        .size:           4
        .value_kind:     by_value
      - .offset:         12
        .size:           4
        .value_kind:     by_value
      - .address_space:  global
        .offset:         16
        .size:           8
        .value_kind:     global_buffer
      - .offset:         24
        .size:           1
        .value_kind:     by_value
      - .offset:         28
        .size:           4
        .value_kind:     by_value
    .group_segment_fixed_size: 0
    .kernarg_segment_align: 8
    .kernarg_segment_size: 32
    .language:       OpenCL C
    .language_version:
      - 2
      - 0
    .max_flat_workgroup_size: 128
    .name:           _ZN7rocprim17ROCPRIM_304000_NS6detail45device_block_merge_mergepath_partition_kernelINS1_37wrapped_merge_sort_block_merge_configINS0_14default_configEhN2at4cuda3cub6detail10OpaqueTypeILi8EEEEEPhjNS1_19radix_merge_compareILb1ELb0EhNS0_19identity_decomposerEEEEEvT0_T1_jPSH_T2_SH_
    .private_segment_fixed_size: 0
    .sgpr_count:     11
    .sgpr_spill_count: 0
    .symbol:         _ZN7rocprim17ROCPRIM_304000_NS6detail45device_block_merge_mergepath_partition_kernelINS1_37wrapped_merge_sort_block_merge_configINS0_14default_configEhN2at4cuda3cub6detail10OpaqueTypeILi8EEEEEPhjNS1_19radix_merge_compareILb1ELb0EhNS0_19identity_decomposerEEEEEvT0_T1_jPSH_T2_SH_.kd
    .uniform_work_group_size: 1
    .uses_dynamic_stack: false
    .vgpr_count:     16
    .vgpr_spill_count: 0
    .wavefront_size: 64
  - .args:
      - .address_space:  global
        .offset:         0
        .size:           8
        .value_kind:     global_buffer
      - .address_space:  global
        .offset:         8
        .size:           8
        .value_kind:     global_buffer
      - .address_space:  global
        .offset:         16
        .size:           8
        .value_kind:     global_buffer
      - .address_space:  global
        .offset:         24
        .size:           8
        .value_kind:     global_buffer
      - .offset:         32
        .size:           4
        .value_kind:     by_value
      - .offset:         36
        .size:           4
        .value_kind:     by_value
      - .offset:         40
        .size:           4
        .value_kind:     by_value
      - .offset:         44
        .size:           1
        .value_kind:     by_value
      - .address_space:  global
        .offset:         48
        .size:           8
        .value_kind:     global_buffer
      - .address_space:  global
        .offset:         56
        .size:           8
        .value_kind:     global_buffer
      - .offset:         64
        .size:           4
        .value_kind:     hidden_block_count_x
      - .offset:         68
        .size:           4
        .value_kind:     hidden_block_count_y
      - .offset:         72
        .size:           4
        .value_kind:     hidden_block_count_z
      - .offset:         76
        .size:           2
        .value_kind:     hidden_group_size_x
      - .offset:         78
        .size:           2
        .value_kind:     hidden_group_size_y
      - .offset:         80
        .size:           2
        .value_kind:     hidden_group_size_z
      - .offset:         82
        .size:           2
        .value_kind:     hidden_remainder_x
      - .offset:         84
        .size:           2
        .value_kind:     hidden_remainder_y
      - .offset:         86
        .size:           2
        .value_kind:     hidden_remainder_z
      - .offset:         104
        .size:           8
        .value_kind:     hidden_global_offset_x
      - .offset:         112
        .size:           8
        .value_kind:     hidden_global_offset_y
      - .offset:         120
        .size:           8
        .value_kind:     hidden_global_offset_z
      - .offset:         128
        .size:           2
        .value_kind:     hidden_grid_dims
    .group_segment_fixed_size: 8208
    .kernarg_segment_align: 8
    .kernarg_segment_size: 320
    .language:       OpenCL C
    .language_version:
      - 2
      - 0
    .max_flat_workgroup_size: 128
    .name:           _ZN7rocprim17ROCPRIM_304000_NS6detail35device_block_merge_mergepath_kernelINS1_37wrapped_merge_sort_block_merge_configINS0_14default_configEhN2at4cuda3cub6detail10OpaqueTypeILi8EEEEEPhSC_PSA_SD_jNS1_19radix_merge_compareILb1ELb0EhNS0_19identity_decomposerEEEEEvT0_T1_T2_T3_T4_SL_jT5_PKSL_NS1_7vsmem_tE
    .private_segment_fixed_size: 0
    .sgpr_count:     40
    .sgpr_spill_count: 0
    .symbol:         _ZN7rocprim17ROCPRIM_304000_NS6detail35device_block_merge_mergepath_kernelINS1_37wrapped_merge_sort_block_merge_configINS0_14default_configEhN2at4cuda3cub6detail10OpaqueTypeILi8EEEEEPhSC_PSA_SD_jNS1_19radix_merge_compareILb1ELb0EhNS0_19identity_decomposerEEEEEvT0_T1_T2_T3_T4_SL_jT5_PKSL_NS1_7vsmem_tE.kd
    .uniform_work_group_size: 1
    .uses_dynamic_stack: false
    .vgpr_count:     31
    .vgpr_spill_count: 0
    .wavefront_size: 64
  - .args:
      - .address_space:  global
        .offset:         0
        .size:           8
        .value_kind:     global_buffer
      - .address_space:  global
        .offset:         8
        .size:           8
        .value_kind:     global_buffer
      - .address_space:  global
        .offset:         16
        .size:           8
        .value_kind:     global_buffer
      - .address_space:  global
        .offset:         24
        .size:           8
        .value_kind:     global_buffer
      - .offset:         32
        .size:           4
        .value_kind:     by_value
      - .offset:         36
        .size:           4
        .value_kind:     by_value
      - .offset:         40
        .size:           1
        .value_kind:     by_value
    .group_segment_fixed_size: 0
    .kernarg_segment_align: 8
    .kernarg_segment_size: 44
    .language:       OpenCL C
    .language_version:
      - 2
      - 0
    .max_flat_workgroup_size: 256
    .name:           _ZN7rocprim17ROCPRIM_304000_NS6detail33device_block_merge_oddeven_kernelINS1_37wrapped_merge_sort_block_merge_configINS0_14default_configEhN2at4cuda3cub6detail10OpaqueTypeILi8EEEEEPhSC_PSA_SD_jNS1_19radix_merge_compareILb1ELb0EhNS0_19identity_decomposerEEEEEvT0_T1_T2_T3_T4_SL_T5_
    .private_segment_fixed_size: 0
    .sgpr_count:     26
    .sgpr_spill_count: 0
    .symbol:         _ZN7rocprim17ROCPRIM_304000_NS6detail33device_block_merge_oddeven_kernelINS1_37wrapped_merge_sort_block_merge_configINS0_14default_configEhN2at4cuda3cub6detail10OpaqueTypeILi8EEEEEPhSC_PSA_SD_jNS1_19radix_merge_compareILb1ELb0EhNS0_19identity_decomposerEEEEEvT0_T1_T2_T3_T4_SL_T5_.kd
    .uniform_work_group_size: 1
    .uses_dynamic_stack: false
    .vgpr_count:     10
    .vgpr_spill_count: 0
    .wavefront_size: 64
  - .args:
      - .address_space:  global
        .offset:         0
        .size:           8
        .value_kind:     global_buffer
      - .offset:         8
        .size:           8
        .value_kind:     by_value
      - .address_space:  global
        .offset:         16
        .size:           8
        .value_kind:     global_buffer
      - .offset:         24
        .size:           1
        .value_kind:     by_value
      - .offset:         32
        .size:           4
        .value_kind:     hidden_block_count_x
      - .offset:         36
        .size:           4
        .value_kind:     hidden_block_count_y
      - .offset:         40
        .size:           4
        .value_kind:     hidden_block_count_z
      - .offset:         44
        .size:           2
        .value_kind:     hidden_group_size_x
      - .offset:         46
        .size:           2
        .value_kind:     hidden_group_size_y
      - .offset:         48
        .size:           2
        .value_kind:     hidden_group_size_z
      - .offset:         50
        .size:           2
        .value_kind:     hidden_remainder_x
      - .offset:         52
        .size:           2
        .value_kind:     hidden_remainder_y
      - .offset:         54
        .size:           2
        .value_kind:     hidden_remainder_z
      - .offset:         72
        .size:           8
        .value_kind:     hidden_global_offset_x
      - .offset:         80
        .size:           8
        .value_kind:     hidden_global_offset_y
      - .offset:         88
        .size:           8
        .value_kind:     hidden_global_offset_z
      - .offset:         96
        .size:           2
        .value_kind:     hidden_grid_dims
    .group_segment_fixed_size: 0
    .kernarg_segment_align: 8
    .kernarg_segment_size: 288
    .language:       OpenCL C
    .language_version:
      - 2
      - 0
    .max_flat_workgroup_size: 64
    .name:           _ZN7rocprim17ROCPRIM_304000_NS6detail16transform_kernelINS1_24wrapped_transform_configINS0_14default_configEhEEhPhS6_NS0_8identityIhEEEEvT1_mT2_T3_
    .private_segment_fixed_size: 0
    .sgpr_count:     42
    .sgpr_spill_count: 0
    .symbol:         _ZN7rocprim17ROCPRIM_304000_NS6detail16transform_kernelINS1_24wrapped_transform_configINS0_14default_configEhEEhPhS6_NS0_8identityIhEEEEvT1_mT2_T3_.kd
    .uniform_work_group_size: 1
    .uses_dynamic_stack: false
    .vgpr_count:     27
    .vgpr_spill_count: 0
    .wavefront_size: 64
  - .args:
      - .address_space:  global
        .offset:         0
        .size:           8
        .value_kind:     global_buffer
      - .offset:         8
        .size:           8
        .value_kind:     by_value
      - .address_space:  global
        .offset:         16
        .size:           8
        .value_kind:     global_buffer
      - .offset:         24
        .size:           1
        .value_kind:     by_value
      - .offset:         32
        .size:           4
        .value_kind:     hidden_block_count_x
      - .offset:         36
        .size:           4
        .value_kind:     hidden_block_count_y
      - .offset:         40
        .size:           4
        .value_kind:     hidden_block_count_z
      - .offset:         44
        .size:           2
        .value_kind:     hidden_group_size_x
      - .offset:         46
        .size:           2
        .value_kind:     hidden_group_size_y
      - .offset:         48
        .size:           2
        .value_kind:     hidden_group_size_z
      - .offset:         50
        .size:           2
        .value_kind:     hidden_remainder_x
      - .offset:         52
        .size:           2
        .value_kind:     hidden_remainder_y
      - .offset:         54
        .size:           2
        .value_kind:     hidden_remainder_z
      - .offset:         72
        .size:           8
        .value_kind:     hidden_global_offset_x
      - .offset:         80
        .size:           8
        .value_kind:     hidden_global_offset_y
      - .offset:         88
        .size:           8
        .value_kind:     hidden_global_offset_z
      - .offset:         96
        .size:           2
        .value_kind:     hidden_grid_dims
    .group_segment_fixed_size: 0
    .kernarg_segment_align: 8
    .kernarg_segment_size: 288
    .language:       OpenCL C
    .language_version:
      - 2
      - 0
    .max_flat_workgroup_size: 512
    .name:           _ZN7rocprim17ROCPRIM_304000_NS6detail16transform_kernelINS1_24wrapped_transform_configINS0_14default_configEN2at4cuda3cub6detail10OpaqueTypeILi8EEEEESA_PSA_SC_NS0_8identityISA_EEEEvT1_mT2_T3_
    .private_segment_fixed_size: 0
    .sgpr_count:     14
    .sgpr_spill_count: 0
    .symbol:         _ZN7rocprim17ROCPRIM_304000_NS6detail16transform_kernelINS1_24wrapped_transform_configINS0_14default_configEN2at4cuda3cub6detail10OpaqueTypeILi8EEEEESA_PSA_SC_NS0_8identityISA_EEEEvT1_mT2_T3_.kd
    .uniform_work_group_size: 1
    .uses_dynamic_stack: false
    .vgpr_count:     3
    .vgpr_spill_count: 0
    .wavefront_size: 64
  - .args:
      - .address_space:  global
        .offset:         0
        .size:           8
        .value_kind:     global_buffer
      - .offset:         8
        .size:           4
        .value_kind:     by_value
      - .offset:         12
        .size:           4
        .value_kind:     by_value
      - .address_space:  global
        .offset:         16
        .size:           8
        .value_kind:     global_buffer
      - .offset:         24
        .size:           1
        .value_kind:     by_value
      - .offset:         28
        .size:           4
        .value_kind:     by_value
    .group_segment_fixed_size: 0
    .kernarg_segment_align: 8
    .kernarg_segment_size: 32
    .language:       OpenCL C
    .language_version:
      - 2
      - 0
    .max_flat_workgroup_size: 128
    .name:           _ZN7rocprim17ROCPRIM_304000_NS6detail45device_block_merge_mergepath_partition_kernelINS1_37wrapped_merge_sort_block_merge_configINS0_14default_configEhN2at4cuda3cub6detail10OpaqueTypeILi8EEEEEPhjNS1_19radix_merge_compareILb1ELb1EhNS0_19identity_decomposerEEEEEvT0_T1_jPSH_T2_SH_
    .private_segment_fixed_size: 0
    .sgpr_count:     12
    .sgpr_spill_count: 0
    .symbol:         _ZN7rocprim17ROCPRIM_304000_NS6detail45device_block_merge_mergepath_partition_kernelINS1_37wrapped_merge_sort_block_merge_configINS0_14default_configEhN2at4cuda3cub6detail10OpaqueTypeILi8EEEEEPhjNS1_19radix_merge_compareILb1ELb1EhNS0_19identity_decomposerEEEEEvT0_T1_jPSH_T2_SH_.kd
    .uniform_work_group_size: 1
    .uses_dynamic_stack: false
    .vgpr_count:     16
    .vgpr_spill_count: 0
    .wavefront_size: 64
  - .args:
      - .address_space:  global
        .offset:         0
        .size:           8
        .value_kind:     global_buffer
      - .address_space:  global
        .offset:         8
        .size:           8
        .value_kind:     global_buffer
      - .address_space:  global
        .offset:         16
        .size:           8
        .value_kind:     global_buffer
      - .address_space:  global
        .offset:         24
        .size:           8
        .value_kind:     global_buffer
      - .offset:         32
        .size:           4
        .value_kind:     by_value
      - .offset:         36
        .size:           4
        .value_kind:     by_value
      - .offset:         40
        .size:           4
        .value_kind:     by_value
      - .offset:         44
        .size:           1
        .value_kind:     by_value
      - .address_space:  global
        .offset:         48
        .size:           8
        .value_kind:     global_buffer
      - .address_space:  global
        .offset:         56
        .size:           8
        .value_kind:     global_buffer
      - .offset:         64
        .size:           4
        .value_kind:     hidden_block_count_x
      - .offset:         68
        .size:           4
        .value_kind:     hidden_block_count_y
      - .offset:         72
        .size:           4
        .value_kind:     hidden_block_count_z
      - .offset:         76
        .size:           2
        .value_kind:     hidden_group_size_x
      - .offset:         78
        .size:           2
        .value_kind:     hidden_group_size_y
      - .offset:         80
        .size:           2
        .value_kind:     hidden_group_size_z
      - .offset:         82
        .size:           2
        .value_kind:     hidden_remainder_x
      - .offset:         84
        .size:           2
        .value_kind:     hidden_remainder_y
      - .offset:         86
        .size:           2
        .value_kind:     hidden_remainder_z
      - .offset:         104
        .size:           8
        .value_kind:     hidden_global_offset_x
      - .offset:         112
        .size:           8
        .value_kind:     hidden_global_offset_y
      - .offset:         120
        .size:           8
        .value_kind:     hidden_global_offset_z
      - .offset:         128
        .size:           2
        .value_kind:     hidden_grid_dims
    .group_segment_fixed_size: 8208
    .kernarg_segment_align: 8
    .kernarg_segment_size: 320
    .language:       OpenCL C
    .language_version:
      - 2
      - 0
    .max_flat_workgroup_size: 128
    .name:           _ZN7rocprim17ROCPRIM_304000_NS6detail35device_block_merge_mergepath_kernelINS1_37wrapped_merge_sort_block_merge_configINS0_14default_configEhN2at4cuda3cub6detail10OpaqueTypeILi8EEEEEPhSC_PSA_SD_jNS1_19radix_merge_compareILb1ELb1EhNS0_19identity_decomposerEEEEEvT0_T1_T2_T3_T4_SL_jT5_PKSL_NS1_7vsmem_tE
    .private_segment_fixed_size: 0
    .sgpr_count:     40
    .sgpr_spill_count: 0
    .symbol:         _ZN7rocprim17ROCPRIM_304000_NS6detail35device_block_merge_mergepath_kernelINS1_37wrapped_merge_sort_block_merge_configINS0_14default_configEhN2at4cuda3cub6detail10OpaqueTypeILi8EEEEEPhSC_PSA_SD_jNS1_19radix_merge_compareILb1ELb1EhNS0_19identity_decomposerEEEEEvT0_T1_T2_T3_T4_SL_jT5_PKSL_NS1_7vsmem_tE.kd
    .uniform_work_group_size: 1
    .uses_dynamic_stack: false
    .vgpr_count:     31
    .vgpr_spill_count: 0
    .wavefront_size: 64
  - .args:
      - .address_space:  global
        .offset:         0
        .size:           8
        .value_kind:     global_buffer
      - .address_space:  global
        .offset:         8
        .size:           8
        .value_kind:     global_buffer
      - .address_space:  global
        .offset:         16
        .size:           8
        .value_kind:     global_buffer
      - .address_space:  global
        .offset:         24
        .size:           8
        .value_kind:     global_buffer
      - .offset:         32
        .size:           4
        .value_kind:     by_value
      - .offset:         36
        .size:           4
        .value_kind:     by_value
      - .offset:         40
        .size:           1
        .value_kind:     by_value
    .group_segment_fixed_size: 0
    .kernarg_segment_align: 8
    .kernarg_segment_size: 44
    .language:       OpenCL C
    .language_version:
      - 2
      - 0
    .max_flat_workgroup_size: 256
    .name:           _ZN7rocprim17ROCPRIM_304000_NS6detail33device_block_merge_oddeven_kernelINS1_37wrapped_merge_sort_block_merge_configINS0_14default_configEhN2at4cuda3cub6detail10OpaqueTypeILi8EEEEEPhSC_PSA_SD_jNS1_19radix_merge_compareILb1ELb1EhNS0_19identity_decomposerEEEEEvT0_T1_T2_T3_T4_SL_T5_
    .private_segment_fixed_size: 0
    .sgpr_count:     28
    .sgpr_spill_count: 0
    .symbol:         _ZN7rocprim17ROCPRIM_304000_NS6detail33device_block_merge_oddeven_kernelINS1_37wrapped_merge_sort_block_merge_configINS0_14default_configEhN2at4cuda3cub6detail10OpaqueTypeILi8EEEEEPhSC_PSA_SD_jNS1_19radix_merge_compareILb1ELb1EhNS0_19identity_decomposerEEEEEvT0_T1_T2_T3_T4_SL_T5_.kd
    .uniform_work_group_size: 1
    .uses_dynamic_stack: false
    .vgpr_count:     11
    .vgpr_spill_count: 0
    .wavefront_size: 64
  - .args:
      - .address_space:  global
        .offset:         0
        .size:           8
        .value_kind:     global_buffer
      - .address_space:  global
        .offset:         8
        .size:           8
        .value_kind:     global_buffer
      - .offset:         16
        .size:           8
        .value_kind:     by_value
      - .offset:         24
        .size:           8
        .value_kind:     by_value
      - .offset:         32
        .size:           1
        .value_kind:     by_value
      - .offset:         36
        .size:           4
        .value_kind:     by_value
      - .offset:         40
        .size:           4
        .value_kind:     by_value
    .group_segment_fixed_size: 4096
    .kernarg_segment_align: 8
    .kernarg_segment_size: 44
    .language:       OpenCL C
    .language_version:
      - 2
      - 0
    .max_flat_workgroup_size: 512
    .name:           _ZN7rocprim17ROCPRIM_304000_NS6detail26onesweep_histograms_kernelINS1_34wrapped_radix_sort_onesweep_configINS0_14default_configEhN2at4cuda3cub6detail10OpaqueTypeILi8EEEEELb1EPKhmNS0_19identity_decomposerEEEvT1_PT2_SG_SG_T3_jj
    .private_segment_fixed_size: 0
    .sgpr_count:     30
    .sgpr_spill_count: 0
    .symbol:         _ZN7rocprim17ROCPRIM_304000_NS6detail26onesweep_histograms_kernelINS1_34wrapped_radix_sort_onesweep_configINS0_14default_configEhN2at4cuda3cub6detail10OpaqueTypeILi8EEEEELb1EPKhmNS0_19identity_decomposerEEEvT1_PT2_SG_SG_T3_jj.kd
    .uniform_work_group_size: 1
    .uses_dynamic_stack: false
    .vgpr_count:     18
    .vgpr_spill_count: 0
    .wavefront_size: 64
  - .args:
      - .address_space:  global
        .offset:         0
        .size:           8
        .value_kind:     global_buffer
    .group_segment_fixed_size: 64
    .kernarg_segment_align: 8
    .kernarg_segment_size: 8
    .language:       OpenCL C
    .language_version:
      - 2
      - 0
    .max_flat_workgroup_size: 512
    .name:           _ZN7rocprim17ROCPRIM_304000_NS6detail31onesweep_scan_histograms_kernelINS1_34wrapped_radix_sort_onesweep_configINS0_14default_configEhN2at4cuda3cub6detail10OpaqueTypeILi8EEEEEmEEvPT0_
    .private_segment_fixed_size: 0
    .sgpr_count:     12
    .sgpr_spill_count: 0
    .symbol:         _ZN7rocprim17ROCPRIM_304000_NS6detail31onesweep_scan_histograms_kernelINS1_34wrapped_radix_sort_onesweep_configINS0_14default_configEhN2at4cuda3cub6detail10OpaqueTypeILi8EEEEEmEEvPT0_.kd
    .uniform_work_group_size: 1
    .uses_dynamic_stack: false
    .vgpr_count:     12
    .vgpr_spill_count: 0
    .wavefront_size: 64
  - .args:
      - .address_space:  global
        .offset:         0
        .size:           8
        .value_kind:     global_buffer
      - .offset:         8
        .size:           8
        .value_kind:     by_value
      - .address_space:  global
        .offset:         16
        .size:           8
        .value_kind:     global_buffer
      - .offset:         24
        .size:           1
        .value_kind:     by_value
      - .offset:         32
        .size:           4
        .value_kind:     hidden_block_count_x
      - .offset:         36
        .size:           4
        .value_kind:     hidden_block_count_y
      - .offset:         40
        .size:           4
        .value_kind:     hidden_block_count_z
      - .offset:         44
        .size:           2
        .value_kind:     hidden_group_size_x
      - .offset:         46
        .size:           2
        .value_kind:     hidden_group_size_y
      - .offset:         48
        .size:           2
        .value_kind:     hidden_group_size_z
      - .offset:         50
        .size:           2
        .value_kind:     hidden_remainder_x
      - .offset:         52
        .size:           2
        .value_kind:     hidden_remainder_y
      - .offset:         54
        .size:           2
        .value_kind:     hidden_remainder_z
      - .offset:         72
        .size:           8
        .value_kind:     hidden_global_offset_x
      - .offset:         80
        .size:           8
        .value_kind:     hidden_global_offset_y
      - .offset:         88
        .size:           8
        .value_kind:     hidden_global_offset_z
      - .offset:         96
        .size:           2
        .value_kind:     hidden_grid_dims
    .group_segment_fixed_size: 0
    .kernarg_segment_align: 8
    .kernarg_segment_size: 288
    .language:       OpenCL C
    .language_version:
      - 2
      - 0
    .max_flat_workgroup_size: 64
    .name:           _ZN7rocprim17ROCPRIM_304000_NS6detail16transform_kernelINS1_24wrapped_transform_configINS0_14default_configEhEEhPKhPhNS0_8identityIhEEEEvT1_mT2_T3_
    .private_segment_fixed_size: 0
    .sgpr_count:     42
    .sgpr_spill_count: 0
    .symbol:         _ZN7rocprim17ROCPRIM_304000_NS6detail16transform_kernelINS1_24wrapped_transform_configINS0_14default_configEhEEhPKhPhNS0_8identityIhEEEEvT1_mT2_T3_.kd
    .uniform_work_group_size: 1
    .uses_dynamic_stack: false
    .vgpr_count:     27
    .vgpr_spill_count: 0
    .wavefront_size: 64
  - .args:
      - .address_space:  global
        .offset:         0
        .size:           8
        .value_kind:     global_buffer
      - .offset:         8
        .size:           8
        .value_kind:     by_value
      - .address_space:  global
        .offset:         16
        .size:           8
        .value_kind:     global_buffer
      - .offset:         24
        .size:           1
        .value_kind:     by_value
      - .offset:         32
        .size:           4
        .value_kind:     hidden_block_count_x
      - .offset:         36
        .size:           4
        .value_kind:     hidden_block_count_y
      - .offset:         40
        .size:           4
        .value_kind:     hidden_block_count_z
      - .offset:         44
        .size:           2
        .value_kind:     hidden_group_size_x
      - .offset:         46
        .size:           2
        .value_kind:     hidden_group_size_y
      - .offset:         48
        .size:           2
        .value_kind:     hidden_group_size_z
      - .offset:         50
        .size:           2
        .value_kind:     hidden_remainder_x
      - .offset:         52
        .size:           2
        .value_kind:     hidden_remainder_y
      - .offset:         54
        .size:           2
        .value_kind:     hidden_remainder_z
      - .offset:         72
        .size:           8
        .value_kind:     hidden_global_offset_x
      - .offset:         80
        .size:           8
        .value_kind:     hidden_global_offset_y
      - .offset:         88
        .size:           8
        .value_kind:     hidden_global_offset_z
      - .offset:         96
        .size:           2
        .value_kind:     hidden_grid_dims
    .group_segment_fixed_size: 0
    .kernarg_segment_align: 8
    .kernarg_segment_size: 288
    .language:       OpenCL C
    .language_version:
      - 2
      - 0
    .max_flat_workgroup_size: 512
    .name:           _ZN7rocprim17ROCPRIM_304000_NS6detail16transform_kernelINS1_24wrapped_transform_configINS0_14default_configEN2at4cuda3cub6detail10OpaqueTypeILi8EEEEESA_PKSA_PSA_NS0_8identityISA_EEEEvT1_mT2_T3_
    .private_segment_fixed_size: 0
    .sgpr_count:     14
    .sgpr_spill_count: 0
    .symbol:         _ZN7rocprim17ROCPRIM_304000_NS6detail16transform_kernelINS1_24wrapped_transform_configINS0_14default_configEN2at4cuda3cub6detail10OpaqueTypeILi8EEEEESA_PKSA_PSA_NS0_8identityISA_EEEEvT1_mT2_T3_.kd
    .uniform_work_group_size: 1
    .uses_dynamic_stack: false
    .vgpr_count:     3
    .vgpr_spill_count: 0
    .wavefront_size: 64
  - .args:
      - .address_space:  global
        .offset:         0
        .size:           8
        .value_kind:     global_buffer
      - .address_space:  global
        .offset:         8
        .size:           8
        .value_kind:     global_buffer
      - .address_space:  global
        .offset:         16
        .size:           8
        .value_kind:     global_buffer
      - .address_space:  global
        .offset:         24
        .size:           8
        .value_kind:     global_buffer
      - .offset:         32
        .size:           4
        .value_kind:     by_value
      - .address_space:  global
        .offset:         40
        .size:           8
        .value_kind:     global_buffer
      - .address_space:  global
        .offset:         48
        .size:           8
        .value_kind:     global_buffer
      - .address_space:  global
        .offset:         56
        .size:           8
        .value_kind:     global_buffer
      - .offset:         64
        .size:           1
        .value_kind:     by_value
      - .offset:         68
        .size:           4
        .value_kind:     by_value
      - .offset:         72
        .size:           4
        .value_kind:     by_value
      - .offset:         76
        .size:           4
        .value_kind:     by_value
      - .offset:         80
        .size:           4
        .value_kind:     hidden_block_count_x
      - .offset:         84
        .size:           4
        .value_kind:     hidden_block_count_y
      - .offset:         88
        .size:           4
        .value_kind:     hidden_block_count_z
      - .offset:         92
        .size:           2
        .value_kind:     hidden_group_size_x
      - .offset:         94
        .size:           2
        .value_kind:     hidden_group_size_y
      - .offset:         96
        .size:           2
        .value_kind:     hidden_group_size_z
      - .offset:         98
        .size:           2
        .value_kind:     hidden_remainder_x
      - .offset:         100
        .size:           2
        .value_kind:     hidden_remainder_y
      - .offset:         102
        .size:           2
        .value_kind:     hidden_remainder_z
      - .offset:         120
        .size:           8
        .value_kind:     hidden_global_offset_x
      - .offset:         128
        .size:           8
        .value_kind:     hidden_global_offset_y
      - .offset:         136
        .size:           8
        .value_kind:     hidden_global_offset_z
      - .offset:         144
        .size:           2
        .value_kind:     hidden_grid_dims
    .group_segment_fixed_size: 26624
    .kernarg_segment_align: 8
    .kernarg_segment_size: 336
    .language:       OpenCL C
    .language_version:
      - 2
      - 0
    .max_flat_workgroup_size: 512
    .name:           _ZN7rocprim17ROCPRIM_304000_NS6detail25onesweep_iteration_kernelINS1_34wrapped_radix_sort_onesweep_configINS0_14default_configEhN2at4cuda3cub6detail10OpaqueTypeILi8EEEEELb1EPKhPhPKSA_PSA_mNS0_19identity_decomposerEEEvT1_T2_T3_T4_jPT5_SO_PNS1_23onesweep_lookback_stateET6_jjj
    .private_segment_fixed_size: 0
    .sgpr_count:     57
    .sgpr_spill_count: 0
    .symbol:         _ZN7rocprim17ROCPRIM_304000_NS6detail25onesweep_iteration_kernelINS1_34wrapped_radix_sort_onesweep_configINS0_14default_configEhN2at4cuda3cub6detail10OpaqueTypeILi8EEEEELb1EPKhPhPKSA_PSA_mNS0_19identity_decomposerEEEvT1_T2_T3_T4_jPT5_SO_PNS1_23onesweep_lookback_stateET6_jjj.kd
    .uniform_work_group_size: 1
    .uses_dynamic_stack: false
    .vgpr_count:     40
    .vgpr_spill_count: 0
    .wavefront_size: 64
  - .args:
      - .address_space:  global
        .offset:         0
        .size:           8
        .value_kind:     global_buffer
      - .address_space:  global
        .offset:         8
        .size:           8
        .value_kind:     global_buffer
      - .address_space:  global
        .offset:         16
        .size:           8
        .value_kind:     global_buffer
      - .address_space:  global
        .offset:         24
        .size:           8
        .value_kind:     global_buffer
      - .offset:         32
        .size:           4
        .value_kind:     by_value
      - .address_space:  global
        .offset:         40
        .size:           8
        .value_kind:     global_buffer
      - .address_space:  global
        .offset:         48
        .size:           8
        .value_kind:     global_buffer
      - .address_space:  global
        .offset:         56
        .size:           8
        .value_kind:     global_buffer
      - .offset:         64
        .size:           1
        .value_kind:     by_value
      - .offset:         68
        .size:           4
        .value_kind:     by_value
      - .offset:         72
        .size:           4
        .value_kind:     by_value
      - .offset:         76
        .size:           4
        .value_kind:     by_value
      - .offset:         80
        .size:           4
        .value_kind:     hidden_block_count_x
      - .offset:         84
        .size:           4
        .value_kind:     hidden_block_count_y
      - .offset:         88
        .size:           4
        .value_kind:     hidden_block_count_z
      - .offset:         92
        .size:           2
        .value_kind:     hidden_group_size_x
      - .offset:         94
        .size:           2
        .value_kind:     hidden_group_size_y
      - .offset:         96
        .size:           2
        .value_kind:     hidden_group_size_z
      - .offset:         98
        .size:           2
        .value_kind:     hidden_remainder_x
      - .offset:         100
        .size:           2
        .value_kind:     hidden_remainder_y
      - .offset:         102
        .size:           2
        .value_kind:     hidden_remainder_z
      - .offset:         120
        .size:           8
        .value_kind:     hidden_global_offset_x
      - .offset:         128
        .size:           8
        .value_kind:     hidden_global_offset_y
      - .offset:         136
        .size:           8
        .value_kind:     hidden_global_offset_z
      - .offset:         144
        .size:           2
        .value_kind:     hidden_grid_dims
    .group_segment_fixed_size: 26624
    .kernarg_segment_align: 8
    .kernarg_segment_size: 336
    .language:       OpenCL C
    .language_version:
      - 2
      - 0
    .max_flat_workgroup_size: 512
    .name:           _ZN7rocprim17ROCPRIM_304000_NS6detail25onesweep_iteration_kernelINS1_34wrapped_radix_sort_onesweep_configINS0_14default_configEhN2at4cuda3cub6detail10OpaqueTypeILi8EEEEELb1EPhSC_PSA_SD_mNS0_19identity_decomposerEEEvT1_T2_T3_T4_jPT5_SK_PNS1_23onesweep_lookback_stateET6_jjj
    .private_segment_fixed_size: 0
    .sgpr_count:     57
    .sgpr_spill_count: 0
    .symbol:         _ZN7rocprim17ROCPRIM_304000_NS6detail25onesweep_iteration_kernelINS1_34wrapped_radix_sort_onesweep_configINS0_14default_configEhN2at4cuda3cub6detail10OpaqueTypeILi8EEEEELb1EPhSC_PSA_SD_mNS0_19identity_decomposerEEEvT1_T2_T3_T4_jPT5_SK_PNS1_23onesweep_lookback_stateET6_jjj.kd
    .uniform_work_group_size: 1
    .uses_dynamic_stack: false
    .vgpr_count:     40
    .vgpr_spill_count: 0
    .wavefront_size: 64
  - .args:
      - .address_space:  global
        .offset:         0
        .size:           8
        .value_kind:     global_buffer
      - .address_space:  global
        .offset:         8
        .size:           8
        .value_kind:     global_buffer
      - .address_space:  global
        .offset:         16
        .size:           8
        .value_kind:     global_buffer
      - .address_space:  global
        .offset:         24
        .size:           8
        .value_kind:     global_buffer
      - .offset:         32
        .size:           4
        .value_kind:     by_value
      - .offset:         36
        .size:           1
        .value_kind:     by_value
      - .offset:         40
        .size:           4
        .value_kind:     by_value
      - .offset:         44
        .size:           4
        .value_kind:     by_value
      - .offset:         48
        .size:           4
        .value_kind:     hidden_block_count_x
      - .offset:         52
        .size:           4
        .value_kind:     hidden_block_count_y
      - .offset:         56
        .size:           4
        .value_kind:     hidden_block_count_z
      - .offset:         60
        .size:           2
        .value_kind:     hidden_group_size_x
      - .offset:         62
        .size:           2
        .value_kind:     hidden_group_size_y
      - .offset:         64
        .size:           2
        .value_kind:     hidden_group_size_z
      - .offset:         66
        .size:           2
        .value_kind:     hidden_remainder_x
      - .offset:         68
        .size:           2
        .value_kind:     hidden_remainder_y
      - .offset:         70
        .size:           2
        .value_kind:     hidden_remainder_z
      - .offset:         88
        .size:           8
        .value_kind:     hidden_global_offset_x
      - .offset:         96
        .size:           8
        .value_kind:     hidden_global_offset_y
      - .offset:         104
        .size:           8
        .value_kind:     hidden_global_offset_z
      - .offset:         112
        .size:           2
        .value_kind:     hidden_grid_dims
    .group_segment_fixed_size: 8192
    .kernarg_segment_align: 8
    .kernarg_segment_size: 304
    .language:       OpenCL C
    .language_version:
      - 2
      - 0
    .max_flat_workgroup_size: 256
    .name:           _ZN7rocprim17ROCPRIM_304000_NS6detail28radix_sort_block_sort_kernelINS1_36wrapped_radix_sort_block_sort_configINS0_13kernel_configILj256ELj4ELj4294967295EEEhN2at4cuda3cub6detail10OpaqueTypeILi8EEEEELb0EPKhPhPKSB_PSB_NS0_19identity_decomposerEEEvT1_T2_T3_T4_jT5_jj
    .private_segment_fixed_size: 0
    .sgpr_count:     48
    .sgpr_spill_count: 0
    .symbol:         _ZN7rocprim17ROCPRIM_304000_NS6detail28radix_sort_block_sort_kernelINS1_36wrapped_radix_sort_block_sort_configINS0_13kernel_configILj256ELj4ELj4294967295EEEhN2at4cuda3cub6detail10OpaqueTypeILi8EEEEELb0EPKhPhPKSB_PSB_NS0_19identity_decomposerEEEvT1_T2_T3_T4_jT5_jj.kd
    .uniform_work_group_size: 1
    .uses_dynamic_stack: false
    .vgpr_count:     52
    .vgpr_spill_count: 0
    .wavefront_size: 64
  - .args:
      - .address_space:  global
        .offset:         0
        .size:           8
        .value_kind:     global_buffer
      - .offset:         8
        .size:           4
        .value_kind:     by_value
      - .offset:         12
        .size:           4
        .value_kind:     by_value
      - .address_space:  global
        .offset:         16
        .size:           8
        .value_kind:     global_buffer
      - .offset:         24
        .size:           1
        .value_kind:     by_value
      - .offset:         28
        .size:           4
        .value_kind:     by_value
    .group_segment_fixed_size: 0
    .kernarg_segment_align: 8
    .kernarg_segment_size: 32
    .language:       OpenCL C
    .language_version:
      - 2
      - 0
    .max_flat_workgroup_size: 128
    .name:           _ZN7rocprim17ROCPRIM_304000_NS6detail45device_block_merge_mergepath_partition_kernelINS1_37wrapped_merge_sort_block_merge_configINS0_14default_configEhN2at4cuda3cub6detail10OpaqueTypeILi8EEEEEPhjNS1_19radix_merge_compareILb0ELb0EhNS0_19identity_decomposerEEEEEvT0_T1_jPSH_T2_SH_
    .private_segment_fixed_size: 0
    .sgpr_count:     11
    .sgpr_spill_count: 0
    .symbol:         _ZN7rocprim17ROCPRIM_304000_NS6detail45device_block_merge_mergepath_partition_kernelINS1_37wrapped_merge_sort_block_merge_configINS0_14default_configEhN2at4cuda3cub6detail10OpaqueTypeILi8EEEEEPhjNS1_19radix_merge_compareILb0ELb0EhNS0_19identity_decomposerEEEEEvT0_T1_jPSH_T2_SH_.kd
    .uniform_work_group_size: 1
    .uses_dynamic_stack: false
    .vgpr_count:     16
    .vgpr_spill_count: 0
    .wavefront_size: 64
  - .args:
      - .address_space:  global
        .offset:         0
        .size:           8
        .value_kind:     global_buffer
      - .address_space:  global
        .offset:         8
        .size:           8
        .value_kind:     global_buffer
      - .address_space:  global
        .offset:         16
        .size:           8
        .value_kind:     global_buffer
      - .address_space:  global
        .offset:         24
        .size:           8
        .value_kind:     global_buffer
      - .offset:         32
        .size:           4
        .value_kind:     by_value
      - .offset:         36
        .size:           4
        .value_kind:     by_value
      - .offset:         40
        .size:           4
        .value_kind:     by_value
      - .offset:         44
        .size:           1
        .value_kind:     by_value
      - .address_space:  global
        .offset:         48
        .size:           8
        .value_kind:     global_buffer
      - .address_space:  global
        .offset:         56
        .size:           8
        .value_kind:     global_buffer
      - .offset:         64
        .size:           4
        .value_kind:     hidden_block_count_x
      - .offset:         68
        .size:           4
        .value_kind:     hidden_block_count_y
      - .offset:         72
        .size:           4
        .value_kind:     hidden_block_count_z
      - .offset:         76
        .size:           2
        .value_kind:     hidden_group_size_x
      - .offset:         78
        .size:           2
        .value_kind:     hidden_group_size_y
      - .offset:         80
        .size:           2
        .value_kind:     hidden_group_size_z
      - .offset:         82
        .size:           2
        .value_kind:     hidden_remainder_x
      - .offset:         84
        .size:           2
        .value_kind:     hidden_remainder_y
      - .offset:         86
        .size:           2
        .value_kind:     hidden_remainder_z
      - .offset:         104
        .size:           8
        .value_kind:     hidden_global_offset_x
      - .offset:         112
        .size:           8
        .value_kind:     hidden_global_offset_y
      - .offset:         120
        .size:           8
        .value_kind:     hidden_global_offset_z
      - .offset:         128
        .size:           2
        .value_kind:     hidden_grid_dims
    .group_segment_fixed_size: 8208
    .kernarg_segment_align: 8
    .kernarg_segment_size: 320
    .language:       OpenCL C
    .language_version:
      - 2
      - 0
    .max_flat_workgroup_size: 128
    .name:           _ZN7rocprim17ROCPRIM_304000_NS6detail35device_block_merge_mergepath_kernelINS1_37wrapped_merge_sort_block_merge_configINS0_14default_configEhN2at4cuda3cub6detail10OpaqueTypeILi8EEEEEPhSC_PSA_SD_jNS1_19radix_merge_compareILb0ELb0EhNS0_19identity_decomposerEEEEEvT0_T1_T2_T3_T4_SL_jT5_PKSL_NS1_7vsmem_tE
    .private_segment_fixed_size: 0
    .sgpr_count:     40
    .sgpr_spill_count: 0
    .symbol:         _ZN7rocprim17ROCPRIM_304000_NS6detail35device_block_merge_mergepath_kernelINS1_37wrapped_merge_sort_block_merge_configINS0_14default_configEhN2at4cuda3cub6detail10OpaqueTypeILi8EEEEEPhSC_PSA_SD_jNS1_19radix_merge_compareILb0ELb0EhNS0_19identity_decomposerEEEEEvT0_T1_T2_T3_T4_SL_jT5_PKSL_NS1_7vsmem_tE.kd
    .uniform_work_group_size: 1
    .uses_dynamic_stack: false
    .vgpr_count:     31
    .vgpr_spill_count: 0
    .wavefront_size: 64
  - .args:
      - .address_space:  global
        .offset:         0
        .size:           8
        .value_kind:     global_buffer
      - .address_space:  global
        .offset:         8
        .size:           8
        .value_kind:     global_buffer
      - .address_space:  global
        .offset:         16
        .size:           8
        .value_kind:     global_buffer
      - .address_space:  global
        .offset:         24
        .size:           8
        .value_kind:     global_buffer
      - .offset:         32
        .size:           4
        .value_kind:     by_value
      - .offset:         36
        .size:           4
        .value_kind:     by_value
      - .offset:         40
        .size:           1
        .value_kind:     by_value
    .group_segment_fixed_size: 0
    .kernarg_segment_align: 8
    .kernarg_segment_size: 44
    .language:       OpenCL C
    .language_version:
      - 2
      - 0
    .max_flat_workgroup_size: 256
    .name:           _ZN7rocprim17ROCPRIM_304000_NS6detail33device_block_merge_oddeven_kernelINS1_37wrapped_merge_sort_block_merge_configINS0_14default_configEhN2at4cuda3cub6detail10OpaqueTypeILi8EEEEEPhSC_PSA_SD_jNS1_19radix_merge_compareILb0ELb0EhNS0_19identity_decomposerEEEEEvT0_T1_T2_T3_T4_SL_T5_
    .private_segment_fixed_size: 0
    .sgpr_count:     26
    .sgpr_spill_count: 0
    .symbol:         _ZN7rocprim17ROCPRIM_304000_NS6detail33device_block_merge_oddeven_kernelINS1_37wrapped_merge_sort_block_merge_configINS0_14default_configEhN2at4cuda3cub6detail10OpaqueTypeILi8EEEEEPhSC_PSA_SD_jNS1_19radix_merge_compareILb0ELb0EhNS0_19identity_decomposerEEEEEvT0_T1_T2_T3_T4_SL_T5_.kd
    .uniform_work_group_size: 1
    .uses_dynamic_stack: false
    .vgpr_count:     10
    .vgpr_spill_count: 0
    .wavefront_size: 64
  - .args:
      - .address_space:  global
        .offset:         0
        .size:           8
        .value_kind:     global_buffer
      - .offset:         8
        .size:           4
        .value_kind:     by_value
      - .offset:         12
        .size:           4
        .value_kind:     by_value
      - .address_space:  global
        .offset:         16
        .size:           8
        .value_kind:     global_buffer
      - .offset:         24
        .size:           1
        .value_kind:     by_value
      - .offset:         28
        .size:           4
        .value_kind:     by_value
    .group_segment_fixed_size: 0
    .kernarg_segment_align: 8
    .kernarg_segment_size: 32
    .language:       OpenCL C
    .language_version:
      - 2
      - 0
    .max_flat_workgroup_size: 128
    .name:           _ZN7rocprim17ROCPRIM_304000_NS6detail45device_block_merge_mergepath_partition_kernelINS1_37wrapped_merge_sort_block_merge_configINS0_14default_configEhN2at4cuda3cub6detail10OpaqueTypeILi8EEEEEPhjNS1_19radix_merge_compareILb0ELb1EhNS0_19identity_decomposerEEEEEvT0_T1_jPSH_T2_SH_
    .private_segment_fixed_size: 0
    .sgpr_count:     12
    .sgpr_spill_count: 0
    .symbol:         _ZN7rocprim17ROCPRIM_304000_NS6detail45device_block_merge_mergepath_partition_kernelINS1_37wrapped_merge_sort_block_merge_configINS0_14default_configEhN2at4cuda3cub6detail10OpaqueTypeILi8EEEEEPhjNS1_19radix_merge_compareILb0ELb1EhNS0_19identity_decomposerEEEEEvT0_T1_jPSH_T2_SH_.kd
    .uniform_work_group_size: 1
    .uses_dynamic_stack: false
    .vgpr_count:     16
    .vgpr_spill_count: 0
    .wavefront_size: 64
  - .args:
      - .address_space:  global
        .offset:         0
        .size:           8
        .value_kind:     global_buffer
      - .address_space:  global
        .offset:         8
        .size:           8
        .value_kind:     global_buffer
      - .address_space:  global
        .offset:         16
        .size:           8
        .value_kind:     global_buffer
      - .address_space:  global
        .offset:         24
        .size:           8
        .value_kind:     global_buffer
      - .offset:         32
        .size:           4
        .value_kind:     by_value
      - .offset:         36
        .size:           4
        .value_kind:     by_value
      - .offset:         40
        .size:           4
        .value_kind:     by_value
      - .offset:         44
        .size:           1
        .value_kind:     by_value
      - .address_space:  global
        .offset:         48
        .size:           8
        .value_kind:     global_buffer
      - .address_space:  global
        .offset:         56
        .size:           8
        .value_kind:     global_buffer
      - .offset:         64
        .size:           4
        .value_kind:     hidden_block_count_x
      - .offset:         68
        .size:           4
        .value_kind:     hidden_block_count_y
      - .offset:         72
        .size:           4
        .value_kind:     hidden_block_count_z
      - .offset:         76
        .size:           2
        .value_kind:     hidden_group_size_x
      - .offset:         78
        .size:           2
        .value_kind:     hidden_group_size_y
      - .offset:         80
        .size:           2
        .value_kind:     hidden_group_size_z
      - .offset:         82
        .size:           2
        .value_kind:     hidden_remainder_x
      - .offset:         84
        .size:           2
        .value_kind:     hidden_remainder_y
      - .offset:         86
        .size:           2
        .value_kind:     hidden_remainder_z
      - .offset:         104
        .size:           8
        .value_kind:     hidden_global_offset_x
      - .offset:         112
        .size:           8
        .value_kind:     hidden_global_offset_y
      - .offset:         120
        .size:           8
        .value_kind:     hidden_global_offset_z
      - .offset:         128
        .size:           2
        .value_kind:     hidden_grid_dims
    .group_segment_fixed_size: 8208
    .kernarg_segment_align: 8
    .kernarg_segment_size: 320
    .language:       OpenCL C
    .language_version:
      - 2
      - 0
    .max_flat_workgroup_size: 128
    .name:           _ZN7rocprim17ROCPRIM_304000_NS6detail35device_block_merge_mergepath_kernelINS1_37wrapped_merge_sort_block_merge_configINS0_14default_configEhN2at4cuda3cub6detail10OpaqueTypeILi8EEEEEPhSC_PSA_SD_jNS1_19radix_merge_compareILb0ELb1EhNS0_19identity_decomposerEEEEEvT0_T1_T2_T3_T4_SL_jT5_PKSL_NS1_7vsmem_tE
    .private_segment_fixed_size: 0
    .sgpr_count:     40
    .sgpr_spill_count: 0
    .symbol:         _ZN7rocprim17ROCPRIM_304000_NS6detail35device_block_merge_mergepath_kernelINS1_37wrapped_merge_sort_block_merge_configINS0_14default_configEhN2at4cuda3cub6detail10OpaqueTypeILi8EEEEEPhSC_PSA_SD_jNS1_19radix_merge_compareILb0ELb1EhNS0_19identity_decomposerEEEEEvT0_T1_T2_T3_T4_SL_jT5_PKSL_NS1_7vsmem_tE.kd
    .uniform_work_group_size: 1
    .uses_dynamic_stack: false
    .vgpr_count:     31
    .vgpr_spill_count: 0
    .wavefront_size: 64
  - .args:
      - .address_space:  global
        .offset:         0
        .size:           8
        .value_kind:     global_buffer
      - .address_space:  global
        .offset:         8
        .size:           8
        .value_kind:     global_buffer
      - .address_space:  global
        .offset:         16
        .size:           8
        .value_kind:     global_buffer
      - .address_space:  global
        .offset:         24
        .size:           8
        .value_kind:     global_buffer
      - .offset:         32
        .size:           4
        .value_kind:     by_value
      - .offset:         36
        .size:           4
        .value_kind:     by_value
      - .offset:         40
        .size:           1
        .value_kind:     by_value
    .group_segment_fixed_size: 0
    .kernarg_segment_align: 8
    .kernarg_segment_size: 44
    .language:       OpenCL C
    .language_version:
      - 2
      - 0
    .max_flat_workgroup_size: 256
    .name:           _ZN7rocprim17ROCPRIM_304000_NS6detail33device_block_merge_oddeven_kernelINS1_37wrapped_merge_sort_block_merge_configINS0_14default_configEhN2at4cuda3cub6detail10OpaqueTypeILi8EEEEEPhSC_PSA_SD_jNS1_19radix_merge_compareILb0ELb1EhNS0_19identity_decomposerEEEEEvT0_T1_T2_T3_T4_SL_T5_
    .private_segment_fixed_size: 0
    .sgpr_count:     28
    .sgpr_spill_count: 0
    .symbol:         _ZN7rocprim17ROCPRIM_304000_NS6detail33device_block_merge_oddeven_kernelINS1_37wrapped_merge_sort_block_merge_configINS0_14default_configEhN2at4cuda3cub6detail10OpaqueTypeILi8EEEEEPhSC_PSA_SD_jNS1_19radix_merge_compareILb0ELb1EhNS0_19identity_decomposerEEEEEvT0_T1_T2_T3_T4_SL_T5_.kd
    .uniform_work_group_size: 1
    .uses_dynamic_stack: false
    .vgpr_count:     11
    .vgpr_spill_count: 0
    .wavefront_size: 64
  - .args:
      - .address_space:  global
        .offset:         0
        .size:           8
        .value_kind:     global_buffer
      - .address_space:  global
        .offset:         8
        .size:           8
        .value_kind:     global_buffer
      - .offset:         16
        .size:           8
        .value_kind:     by_value
      - .offset:         24
        .size:           8
        .value_kind:     by_value
      - .offset:         32
        .size:           1
        .value_kind:     by_value
      - .offset:         36
        .size:           4
        .value_kind:     by_value
      - .offset:         40
        .size:           4
        .value_kind:     by_value
    .group_segment_fixed_size: 4096
    .kernarg_segment_align: 8
    .kernarg_segment_size: 44
    .language:       OpenCL C
    .language_version:
      - 2
      - 0
    .max_flat_workgroup_size: 512
    .name:           _ZN7rocprim17ROCPRIM_304000_NS6detail26onesweep_histograms_kernelINS1_34wrapped_radix_sort_onesweep_configINS0_14default_configEhN2at4cuda3cub6detail10OpaqueTypeILi8EEEEELb0EPKhmNS0_19identity_decomposerEEEvT1_PT2_SG_SG_T3_jj
    .private_segment_fixed_size: 0
    .sgpr_count:     30
    .sgpr_spill_count: 0
    .symbol:         _ZN7rocprim17ROCPRIM_304000_NS6detail26onesweep_histograms_kernelINS1_34wrapped_radix_sort_onesweep_configINS0_14default_configEhN2at4cuda3cub6detail10OpaqueTypeILi8EEEEELb0EPKhmNS0_19identity_decomposerEEEvT1_PT2_SG_SG_T3_jj.kd
    .uniform_work_group_size: 1
    .uses_dynamic_stack: false
    .vgpr_count:     18
    .vgpr_spill_count: 0
    .wavefront_size: 64
  - .args:
      - .address_space:  global
        .offset:         0
        .size:           8
        .value_kind:     global_buffer
      - .address_space:  global
        .offset:         8
        .size:           8
        .value_kind:     global_buffer
      - .address_space:  global
        .offset:         16
        .size:           8
        .value_kind:     global_buffer
      - .address_space:  global
        .offset:         24
        .size:           8
        .value_kind:     global_buffer
      - .offset:         32
        .size:           4
        .value_kind:     by_value
      - .address_space:  global
        .offset:         40
        .size:           8
        .value_kind:     global_buffer
      - .address_space:  global
        .offset:         48
        .size:           8
        .value_kind:     global_buffer
      - .address_space:  global
        .offset:         56
        .size:           8
        .value_kind:     global_buffer
      - .offset:         64
        .size:           1
        .value_kind:     by_value
      - .offset:         68
        .size:           4
        .value_kind:     by_value
      - .offset:         72
        .size:           4
        .value_kind:     by_value
      - .offset:         76
        .size:           4
        .value_kind:     by_value
      - .offset:         80
        .size:           4
        .value_kind:     hidden_block_count_x
      - .offset:         84
        .size:           4
        .value_kind:     hidden_block_count_y
      - .offset:         88
        .size:           4
        .value_kind:     hidden_block_count_z
      - .offset:         92
        .size:           2
        .value_kind:     hidden_group_size_x
      - .offset:         94
        .size:           2
        .value_kind:     hidden_group_size_y
      - .offset:         96
        .size:           2
        .value_kind:     hidden_group_size_z
      - .offset:         98
        .size:           2
        .value_kind:     hidden_remainder_x
      - .offset:         100
        .size:           2
        .value_kind:     hidden_remainder_y
      - .offset:         102
        .size:           2
        .value_kind:     hidden_remainder_z
      - .offset:         120
        .size:           8
        .value_kind:     hidden_global_offset_x
      - .offset:         128
        .size:           8
        .value_kind:     hidden_global_offset_y
      - .offset:         136
        .size:           8
        .value_kind:     hidden_global_offset_z
      - .offset:         144
        .size:           2
        .value_kind:     hidden_grid_dims
    .group_segment_fixed_size: 26624
    .kernarg_segment_align: 8
    .kernarg_segment_size: 336
    .language:       OpenCL C
    .language_version:
      - 2
      - 0
    .max_flat_workgroup_size: 512
    .name:           _ZN7rocprim17ROCPRIM_304000_NS6detail25onesweep_iteration_kernelINS1_34wrapped_radix_sort_onesweep_configINS0_14default_configEhN2at4cuda3cub6detail10OpaqueTypeILi8EEEEELb0EPKhPhPKSA_PSA_mNS0_19identity_decomposerEEEvT1_T2_T3_T4_jPT5_SO_PNS1_23onesweep_lookback_stateET6_jjj
    .private_segment_fixed_size: 0
    .sgpr_count:     56
    .sgpr_spill_count: 0
    .symbol:         _ZN7rocprim17ROCPRIM_304000_NS6detail25onesweep_iteration_kernelINS1_34wrapped_radix_sort_onesweep_configINS0_14default_configEhN2at4cuda3cub6detail10OpaqueTypeILi8EEEEELb0EPKhPhPKSA_PSA_mNS0_19identity_decomposerEEEvT1_T2_T3_T4_jPT5_SO_PNS1_23onesweep_lookback_stateET6_jjj.kd
    .uniform_work_group_size: 1
    .uses_dynamic_stack: false
    .vgpr_count:     40
    .vgpr_spill_count: 0
    .wavefront_size: 64
  - .args:
      - .address_space:  global
        .offset:         0
        .size:           8
        .value_kind:     global_buffer
      - .address_space:  global
        .offset:         8
        .size:           8
        .value_kind:     global_buffer
      - .address_space:  global
        .offset:         16
        .size:           8
        .value_kind:     global_buffer
      - .address_space:  global
        .offset:         24
        .size:           8
        .value_kind:     global_buffer
      - .offset:         32
        .size:           4
        .value_kind:     by_value
      - .address_space:  global
        .offset:         40
        .size:           8
        .value_kind:     global_buffer
      - .address_space:  global
        .offset:         48
        .size:           8
        .value_kind:     global_buffer
      - .address_space:  global
        .offset:         56
        .size:           8
        .value_kind:     global_buffer
      - .offset:         64
        .size:           1
        .value_kind:     by_value
      - .offset:         68
        .size:           4
        .value_kind:     by_value
      - .offset:         72
        .size:           4
        .value_kind:     by_value
      - .offset:         76
        .size:           4
        .value_kind:     by_value
      - .offset:         80
        .size:           4
        .value_kind:     hidden_block_count_x
      - .offset:         84
        .size:           4
        .value_kind:     hidden_block_count_y
      - .offset:         88
        .size:           4
        .value_kind:     hidden_block_count_z
      - .offset:         92
        .size:           2
        .value_kind:     hidden_group_size_x
      - .offset:         94
        .size:           2
        .value_kind:     hidden_group_size_y
      - .offset:         96
        .size:           2
        .value_kind:     hidden_group_size_z
      - .offset:         98
        .size:           2
        .value_kind:     hidden_remainder_x
      - .offset:         100
        .size:           2
        .value_kind:     hidden_remainder_y
      - .offset:         102
        .size:           2
        .value_kind:     hidden_remainder_z
      - .offset:         120
        .size:           8
        .value_kind:     hidden_global_offset_x
      - .offset:         128
        .size:           8
        .value_kind:     hidden_global_offset_y
      - .offset:         136
        .size:           8
        .value_kind:     hidden_global_offset_z
      - .offset:         144
        .size:           2
        .value_kind:     hidden_grid_dims
    .group_segment_fixed_size: 26624
    .kernarg_segment_align: 8
    .kernarg_segment_size: 336
    .language:       OpenCL C
    .language_version:
      - 2
      - 0
    .max_flat_workgroup_size: 512
    .name:           _ZN7rocprim17ROCPRIM_304000_NS6detail25onesweep_iteration_kernelINS1_34wrapped_radix_sort_onesweep_configINS0_14default_configEhN2at4cuda3cub6detail10OpaqueTypeILi8EEEEELb0EPhSC_PSA_SD_mNS0_19identity_decomposerEEEvT1_T2_T3_T4_jPT5_SK_PNS1_23onesweep_lookback_stateET6_jjj
    .private_segment_fixed_size: 0
    .sgpr_count:     56
    .sgpr_spill_count: 0
    .symbol:         _ZN7rocprim17ROCPRIM_304000_NS6detail25onesweep_iteration_kernelINS1_34wrapped_radix_sort_onesweep_configINS0_14default_configEhN2at4cuda3cub6detail10OpaqueTypeILi8EEEEELb0EPhSC_PSA_SD_mNS0_19identity_decomposerEEEvT1_T2_T3_T4_jPT5_SK_PNS1_23onesweep_lookback_stateET6_jjj.kd
    .uniform_work_group_size: 1
    .uses_dynamic_stack: false
    .vgpr_count:     40
    .vgpr_spill_count: 0
    .wavefront_size: 64
  - .args:
      - .address_space:  global
        .offset:         0
        .size:           8
        .value_kind:     global_buffer
      - .address_space:  global
        .offset:         8
        .size:           8
        .value_kind:     global_buffer
      - .address_space:  global
        .offset:         16
        .size:           8
        .value_kind:     global_buffer
      - .address_space:  global
        .offset:         24
        .size:           8
        .value_kind:     global_buffer
      - .offset:         32
        .size:           4
        .value_kind:     by_value
      - .offset:         36
        .size:           1
        .value_kind:     by_value
      - .offset:         40
        .size:           4
        .value_kind:     by_value
      - .offset:         44
        .size:           4
        .value_kind:     by_value
      - .offset:         48
        .size:           4
        .value_kind:     hidden_block_count_x
      - .offset:         52
        .size:           4
        .value_kind:     hidden_block_count_y
      - .offset:         56
        .size:           4
        .value_kind:     hidden_block_count_z
      - .offset:         60
        .size:           2
        .value_kind:     hidden_group_size_x
      - .offset:         62
        .size:           2
        .value_kind:     hidden_group_size_y
      - .offset:         64
        .size:           2
        .value_kind:     hidden_group_size_z
      - .offset:         66
        .size:           2
        .value_kind:     hidden_remainder_x
      - .offset:         68
        .size:           2
        .value_kind:     hidden_remainder_y
      - .offset:         70
        .size:           2
        .value_kind:     hidden_remainder_z
      - .offset:         88
        .size:           8
        .value_kind:     hidden_global_offset_x
      - .offset:         96
        .size:           8
        .value_kind:     hidden_global_offset_y
      - .offset:         104
        .size:           8
        .value_kind:     hidden_global_offset_z
      - .offset:         112
        .size:           2
        .value_kind:     hidden_grid_dims
    .group_segment_fixed_size: 8192
    .kernarg_segment_align: 8
    .kernarg_segment_size: 304
    .language:       OpenCL C
    .language_version:
      - 2
      - 0
    .max_flat_workgroup_size: 256
    .name:           _ZN7rocprim17ROCPRIM_304000_NS6detail28radix_sort_block_sort_kernelINS1_36wrapped_radix_sort_block_sort_configINS0_13kernel_configILj256ELj4ELj4294967295EEEaN2at4cuda3cub6detail10OpaqueTypeILi8EEEEELb1EPKaPaPKSB_PSB_NS0_19identity_decomposerEEEvT1_T2_T3_T4_jT5_jj
    .private_segment_fixed_size: 0
    .sgpr_count:     50
    .sgpr_spill_count: 0
    .symbol:         _ZN7rocprim17ROCPRIM_304000_NS6detail28radix_sort_block_sort_kernelINS1_36wrapped_radix_sort_block_sort_configINS0_13kernel_configILj256ELj4ELj4294967295EEEaN2at4cuda3cub6detail10OpaqueTypeILi8EEEEELb1EPKaPaPKSB_PSB_NS0_19identity_decomposerEEEvT1_T2_T3_T4_jT5_jj.kd
    .uniform_work_group_size: 1
    .uses_dynamic_stack: false
    .vgpr_count:     48
    .vgpr_spill_count: 0
    .wavefront_size: 64
  - .args:           []
    .group_segment_fixed_size: 0
    .kernarg_segment_align: 4
    .kernarg_segment_size: 0
    .language:       OpenCL C
    .language_version:
      - 2
      - 0
    .max_flat_workgroup_size: 1024
    .name:           _ZN7rocprim17ROCPRIM_304000_NS6detail39device_merge_sort_compile_time_verifierINS1_36wrapped_merge_sort_block_sort_configINS1_28merge_sort_block_sort_configILj256ELj4ELNS0_20block_sort_algorithmE0EEEaN2at4cuda3cub6detail10OpaqueTypeILi8EEEEENS1_37wrapped_merge_sort_block_merge_configINS0_14default_configEaSC_EEEEvv
    .private_segment_fixed_size: 0
    .sgpr_count:     4
    .sgpr_spill_count: 0
    .symbol:         _ZN7rocprim17ROCPRIM_304000_NS6detail39device_merge_sort_compile_time_verifierINS1_36wrapped_merge_sort_block_sort_configINS1_28merge_sort_block_sort_configILj256ELj4ELNS0_20block_sort_algorithmE0EEEaN2at4cuda3cub6detail10OpaqueTypeILi8EEEEENS1_37wrapped_merge_sort_block_merge_configINS0_14default_configEaSC_EEEEvv.kd
    .uniform_work_group_size: 1
    .uses_dynamic_stack: false
    .vgpr_count:     0
    .vgpr_spill_count: 0
    .wavefront_size: 64
  - .args:
      - .address_space:  global
        .offset:         0
        .size:           8
        .value_kind:     global_buffer
      - .offset:         8
        .size:           4
        .value_kind:     by_value
      - .offset:         12
        .size:           4
        .value_kind:     by_value
      - .address_space:  global
        .offset:         16
        .size:           8
        .value_kind:     global_buffer
      - .offset:         24
        .size:           1
        .value_kind:     by_value
      - .offset:         28
        .size:           4
        .value_kind:     by_value
    .group_segment_fixed_size: 0
    .kernarg_segment_align: 8
    .kernarg_segment_size: 32
    .language:       OpenCL C
    .language_version:
      - 2
      - 0
    .max_flat_workgroup_size: 128
    .name:           _ZN7rocprim17ROCPRIM_304000_NS6detail45device_block_merge_mergepath_partition_kernelINS1_37wrapped_merge_sort_block_merge_configINS0_14default_configEaN2at4cuda3cub6detail10OpaqueTypeILi8EEEEEPajNS1_19radix_merge_compareILb1ELb0EaNS0_19identity_decomposerEEEEEvT0_T1_jPSH_T2_SH_
    .private_segment_fixed_size: 0
    .sgpr_count:     11
    .sgpr_spill_count: 0
    .symbol:         _ZN7rocprim17ROCPRIM_304000_NS6detail45device_block_merge_mergepath_partition_kernelINS1_37wrapped_merge_sort_block_merge_configINS0_14default_configEaN2at4cuda3cub6detail10OpaqueTypeILi8EEEEEPajNS1_19radix_merge_compareILb1ELb0EaNS0_19identity_decomposerEEEEEvT0_T1_jPSH_T2_SH_.kd
    .uniform_work_group_size: 1
    .uses_dynamic_stack: false
    .vgpr_count:     16
    .vgpr_spill_count: 0
    .wavefront_size: 64
  - .args:
      - .address_space:  global
        .offset:         0
        .size:           8
        .value_kind:     global_buffer
      - .address_space:  global
        .offset:         8
        .size:           8
        .value_kind:     global_buffer
      - .address_space:  global
        .offset:         16
        .size:           8
        .value_kind:     global_buffer
      - .address_space:  global
        .offset:         24
        .size:           8
        .value_kind:     global_buffer
      - .offset:         32
        .size:           4
        .value_kind:     by_value
      - .offset:         36
        .size:           4
        .value_kind:     by_value
      - .offset:         40
        .size:           4
        .value_kind:     by_value
      - .offset:         44
        .size:           1
        .value_kind:     by_value
      - .address_space:  global
        .offset:         48
        .size:           8
        .value_kind:     global_buffer
      - .address_space:  global
        .offset:         56
        .size:           8
        .value_kind:     global_buffer
      - .offset:         64
        .size:           4
        .value_kind:     hidden_block_count_x
      - .offset:         68
        .size:           4
        .value_kind:     hidden_block_count_y
      - .offset:         72
        .size:           4
        .value_kind:     hidden_block_count_z
      - .offset:         76
        .size:           2
        .value_kind:     hidden_group_size_x
      - .offset:         78
        .size:           2
        .value_kind:     hidden_group_size_y
      - .offset:         80
        .size:           2
        .value_kind:     hidden_group_size_z
      - .offset:         82
        .size:           2
        .value_kind:     hidden_remainder_x
      - .offset:         84
        .size:           2
        .value_kind:     hidden_remainder_y
      - .offset:         86
        .size:           2
        .value_kind:     hidden_remainder_z
      - .offset:         104
        .size:           8
        .value_kind:     hidden_global_offset_x
      - .offset:         112
        .size:           8
        .value_kind:     hidden_global_offset_y
      - .offset:         120
        .size:           8
        .value_kind:     hidden_global_offset_z
      - .offset:         128
        .size:           2
        .value_kind:     hidden_grid_dims
    .group_segment_fixed_size: 8208
    .kernarg_segment_align: 8
    .kernarg_segment_size: 320
    .language:       OpenCL C
    .language_version:
      - 2
      - 0
    .max_flat_workgroup_size: 128
    .name:           _ZN7rocprim17ROCPRIM_304000_NS6detail35device_block_merge_mergepath_kernelINS1_37wrapped_merge_sort_block_merge_configINS0_14default_configEaN2at4cuda3cub6detail10OpaqueTypeILi8EEEEEPaSC_PSA_SD_jNS1_19radix_merge_compareILb1ELb0EaNS0_19identity_decomposerEEEEEvT0_T1_T2_T3_T4_SL_jT5_PKSL_NS1_7vsmem_tE
    .private_segment_fixed_size: 0
    .sgpr_count:     40
    .sgpr_spill_count: 0
    .symbol:         _ZN7rocprim17ROCPRIM_304000_NS6detail35device_block_merge_mergepath_kernelINS1_37wrapped_merge_sort_block_merge_configINS0_14default_configEaN2at4cuda3cub6detail10OpaqueTypeILi8EEEEEPaSC_PSA_SD_jNS1_19radix_merge_compareILb1ELb0EaNS0_19identity_decomposerEEEEEvT0_T1_T2_T3_T4_SL_jT5_PKSL_NS1_7vsmem_tE.kd
    .uniform_work_group_size: 1
    .uses_dynamic_stack: false
    .vgpr_count:     31
    .vgpr_spill_count: 0
    .wavefront_size: 64
  - .args:
      - .address_space:  global
        .offset:         0
        .size:           8
        .value_kind:     global_buffer
      - .address_space:  global
        .offset:         8
        .size:           8
        .value_kind:     global_buffer
      - .address_space:  global
        .offset:         16
        .size:           8
        .value_kind:     global_buffer
      - .address_space:  global
        .offset:         24
        .size:           8
        .value_kind:     global_buffer
      - .offset:         32
        .size:           4
        .value_kind:     by_value
      - .offset:         36
        .size:           4
        .value_kind:     by_value
      - .offset:         40
        .size:           1
        .value_kind:     by_value
    .group_segment_fixed_size: 0
    .kernarg_segment_align: 8
    .kernarg_segment_size: 44
    .language:       OpenCL C
    .language_version:
      - 2
      - 0
    .max_flat_workgroup_size: 256
    .name:           _ZN7rocprim17ROCPRIM_304000_NS6detail33device_block_merge_oddeven_kernelINS1_37wrapped_merge_sort_block_merge_configINS0_14default_configEaN2at4cuda3cub6detail10OpaqueTypeILi8EEEEEPaSC_PSA_SD_jNS1_19radix_merge_compareILb1ELb0EaNS0_19identity_decomposerEEEEEvT0_T1_T2_T3_T4_SL_T5_
    .private_segment_fixed_size: 0
    .sgpr_count:     26
    .sgpr_spill_count: 0
    .symbol:         _ZN7rocprim17ROCPRIM_304000_NS6detail33device_block_merge_oddeven_kernelINS1_37wrapped_merge_sort_block_merge_configINS0_14default_configEaN2at4cuda3cub6detail10OpaqueTypeILi8EEEEEPaSC_PSA_SD_jNS1_19radix_merge_compareILb1ELb0EaNS0_19identity_decomposerEEEEEvT0_T1_T2_T3_T4_SL_T5_.kd
    .uniform_work_group_size: 1
    .uses_dynamic_stack: false
    .vgpr_count:     10
    .vgpr_spill_count: 0
    .wavefront_size: 64
  - .args:
      - .address_space:  global
        .offset:         0
        .size:           8
        .value_kind:     global_buffer
      - .offset:         8
        .size:           8
        .value_kind:     by_value
      - .address_space:  global
        .offset:         16
        .size:           8
        .value_kind:     global_buffer
      - .offset:         24
        .size:           1
        .value_kind:     by_value
      - .offset:         32
        .size:           4
        .value_kind:     hidden_block_count_x
      - .offset:         36
        .size:           4
        .value_kind:     hidden_block_count_y
      - .offset:         40
        .size:           4
        .value_kind:     hidden_block_count_z
      - .offset:         44
        .size:           2
        .value_kind:     hidden_group_size_x
      - .offset:         46
        .size:           2
        .value_kind:     hidden_group_size_y
      - .offset:         48
        .size:           2
        .value_kind:     hidden_group_size_z
      - .offset:         50
        .size:           2
        .value_kind:     hidden_remainder_x
      - .offset:         52
        .size:           2
        .value_kind:     hidden_remainder_y
      - .offset:         54
        .size:           2
        .value_kind:     hidden_remainder_z
      - .offset:         72
        .size:           8
        .value_kind:     hidden_global_offset_x
      - .offset:         80
        .size:           8
        .value_kind:     hidden_global_offset_y
      - .offset:         88
        .size:           8
        .value_kind:     hidden_global_offset_z
      - .offset:         96
        .size:           2
        .value_kind:     hidden_grid_dims
    .group_segment_fixed_size: 0
    .kernarg_segment_align: 8
    .kernarg_segment_size: 288
    .language:       OpenCL C
    .language_version:
      - 2
      - 0
    .max_flat_workgroup_size: 64
    .name:           _ZN7rocprim17ROCPRIM_304000_NS6detail16transform_kernelINS1_24wrapped_transform_configINS0_14default_configEaEEaPaS6_NS0_8identityIaEEEEvT1_mT2_T3_
    .private_segment_fixed_size: 0
    .sgpr_count:     42
    .sgpr_spill_count: 0
    .symbol:         _ZN7rocprim17ROCPRIM_304000_NS6detail16transform_kernelINS1_24wrapped_transform_configINS0_14default_configEaEEaPaS6_NS0_8identityIaEEEEvT1_mT2_T3_.kd
    .uniform_work_group_size: 1
    .uses_dynamic_stack: false
    .vgpr_count:     27
    .vgpr_spill_count: 0
    .wavefront_size: 64
  - .args:
      - .address_space:  global
        .offset:         0
        .size:           8
        .value_kind:     global_buffer
      - .offset:         8
        .size:           4
        .value_kind:     by_value
      - .offset:         12
        .size:           4
        .value_kind:     by_value
      - .address_space:  global
        .offset:         16
        .size:           8
        .value_kind:     global_buffer
      - .offset:         24
        .size:           1
        .value_kind:     by_value
      - .offset:         28
        .size:           4
        .value_kind:     by_value
    .group_segment_fixed_size: 0
    .kernarg_segment_align: 8
    .kernarg_segment_size: 32
    .language:       OpenCL C
    .language_version:
      - 2
      - 0
    .max_flat_workgroup_size: 128
    .name:           _ZN7rocprim17ROCPRIM_304000_NS6detail45device_block_merge_mergepath_partition_kernelINS1_37wrapped_merge_sort_block_merge_configINS0_14default_configEaN2at4cuda3cub6detail10OpaqueTypeILi8EEEEEPajNS1_19radix_merge_compareILb1ELb1EaNS0_19identity_decomposerEEEEEvT0_T1_jPSH_T2_SH_
    .private_segment_fixed_size: 0
    .sgpr_count:     12
    .sgpr_spill_count: 0
    .symbol:         _ZN7rocprim17ROCPRIM_304000_NS6detail45device_block_merge_mergepath_partition_kernelINS1_37wrapped_merge_sort_block_merge_configINS0_14default_configEaN2at4cuda3cub6detail10OpaqueTypeILi8EEEEEPajNS1_19radix_merge_compareILb1ELb1EaNS0_19identity_decomposerEEEEEvT0_T1_jPSH_T2_SH_.kd
    .uniform_work_group_size: 1
    .uses_dynamic_stack: false
    .vgpr_count:     16
    .vgpr_spill_count: 0
    .wavefront_size: 64
  - .args:
      - .address_space:  global
        .offset:         0
        .size:           8
        .value_kind:     global_buffer
      - .address_space:  global
        .offset:         8
        .size:           8
        .value_kind:     global_buffer
      - .address_space:  global
        .offset:         16
        .size:           8
        .value_kind:     global_buffer
      - .address_space:  global
        .offset:         24
        .size:           8
        .value_kind:     global_buffer
      - .offset:         32
        .size:           4
        .value_kind:     by_value
      - .offset:         36
        .size:           4
        .value_kind:     by_value
      - .offset:         40
        .size:           4
        .value_kind:     by_value
      - .offset:         44
        .size:           1
        .value_kind:     by_value
      - .address_space:  global
        .offset:         48
        .size:           8
        .value_kind:     global_buffer
      - .address_space:  global
        .offset:         56
        .size:           8
        .value_kind:     global_buffer
      - .offset:         64
        .size:           4
        .value_kind:     hidden_block_count_x
      - .offset:         68
        .size:           4
        .value_kind:     hidden_block_count_y
      - .offset:         72
        .size:           4
        .value_kind:     hidden_block_count_z
      - .offset:         76
        .size:           2
        .value_kind:     hidden_group_size_x
      - .offset:         78
        .size:           2
        .value_kind:     hidden_group_size_y
      - .offset:         80
        .size:           2
        .value_kind:     hidden_group_size_z
      - .offset:         82
        .size:           2
        .value_kind:     hidden_remainder_x
      - .offset:         84
        .size:           2
        .value_kind:     hidden_remainder_y
      - .offset:         86
        .size:           2
        .value_kind:     hidden_remainder_z
      - .offset:         104
        .size:           8
        .value_kind:     hidden_global_offset_x
      - .offset:         112
        .size:           8
        .value_kind:     hidden_global_offset_y
      - .offset:         120
        .size:           8
        .value_kind:     hidden_global_offset_z
      - .offset:         128
        .size:           2
        .value_kind:     hidden_grid_dims
    .group_segment_fixed_size: 8208
    .kernarg_segment_align: 8
    .kernarg_segment_size: 320
    .language:       OpenCL C
    .language_version:
      - 2
      - 0
    .max_flat_workgroup_size: 128
    .name:           _ZN7rocprim17ROCPRIM_304000_NS6detail35device_block_merge_mergepath_kernelINS1_37wrapped_merge_sort_block_merge_configINS0_14default_configEaN2at4cuda3cub6detail10OpaqueTypeILi8EEEEEPaSC_PSA_SD_jNS1_19radix_merge_compareILb1ELb1EaNS0_19identity_decomposerEEEEEvT0_T1_T2_T3_T4_SL_jT5_PKSL_NS1_7vsmem_tE
    .private_segment_fixed_size: 0
    .sgpr_count:     40
    .sgpr_spill_count: 0
    .symbol:         _ZN7rocprim17ROCPRIM_304000_NS6detail35device_block_merge_mergepath_kernelINS1_37wrapped_merge_sort_block_merge_configINS0_14default_configEaN2at4cuda3cub6detail10OpaqueTypeILi8EEEEEPaSC_PSA_SD_jNS1_19radix_merge_compareILb1ELb1EaNS0_19identity_decomposerEEEEEvT0_T1_T2_T3_T4_SL_jT5_PKSL_NS1_7vsmem_tE.kd
    .uniform_work_group_size: 1
    .uses_dynamic_stack: false
    .vgpr_count:     31
    .vgpr_spill_count: 0
    .wavefront_size: 64
  - .args:
      - .address_space:  global
        .offset:         0
        .size:           8
        .value_kind:     global_buffer
      - .address_space:  global
        .offset:         8
        .size:           8
        .value_kind:     global_buffer
      - .address_space:  global
        .offset:         16
        .size:           8
        .value_kind:     global_buffer
      - .address_space:  global
        .offset:         24
        .size:           8
        .value_kind:     global_buffer
      - .offset:         32
        .size:           4
        .value_kind:     by_value
      - .offset:         36
        .size:           4
        .value_kind:     by_value
      - .offset:         40
        .size:           1
        .value_kind:     by_value
    .group_segment_fixed_size: 0
    .kernarg_segment_align: 8
    .kernarg_segment_size: 44
    .language:       OpenCL C
    .language_version:
      - 2
      - 0
    .max_flat_workgroup_size: 256
    .name:           _ZN7rocprim17ROCPRIM_304000_NS6detail33device_block_merge_oddeven_kernelINS1_37wrapped_merge_sort_block_merge_configINS0_14default_configEaN2at4cuda3cub6detail10OpaqueTypeILi8EEEEEPaSC_PSA_SD_jNS1_19radix_merge_compareILb1ELb1EaNS0_19identity_decomposerEEEEEvT0_T1_T2_T3_T4_SL_T5_
    .private_segment_fixed_size: 0
    .sgpr_count:     28
    .sgpr_spill_count: 0
    .symbol:         _ZN7rocprim17ROCPRIM_304000_NS6detail33device_block_merge_oddeven_kernelINS1_37wrapped_merge_sort_block_merge_configINS0_14default_configEaN2at4cuda3cub6detail10OpaqueTypeILi8EEEEEPaSC_PSA_SD_jNS1_19radix_merge_compareILb1ELb1EaNS0_19identity_decomposerEEEEEvT0_T1_T2_T3_T4_SL_T5_.kd
    .uniform_work_group_size: 1
    .uses_dynamic_stack: false
    .vgpr_count:     11
    .vgpr_spill_count: 0
    .wavefront_size: 64
  - .args:
      - .address_space:  global
        .offset:         0
        .size:           8
        .value_kind:     global_buffer
      - .address_space:  global
        .offset:         8
        .size:           8
        .value_kind:     global_buffer
      - .offset:         16
        .size:           8
        .value_kind:     by_value
      - .offset:         24
        .size:           8
        .value_kind:     by_value
      - .offset:         32
        .size:           1
        .value_kind:     by_value
      - .offset:         36
        .size:           4
        .value_kind:     by_value
      - .offset:         40
        .size:           4
        .value_kind:     by_value
    .group_segment_fixed_size: 4096
    .kernarg_segment_align: 8
    .kernarg_segment_size: 44
    .language:       OpenCL C
    .language_version:
      - 2
      - 0
    .max_flat_workgroup_size: 512
    .name:           _ZN7rocprim17ROCPRIM_304000_NS6detail26onesweep_histograms_kernelINS1_34wrapped_radix_sort_onesweep_configINS0_14default_configEaN2at4cuda3cub6detail10OpaqueTypeILi8EEEEELb1EPKamNS0_19identity_decomposerEEEvT1_PT2_SG_SG_T3_jj
    .private_segment_fixed_size: 0
    .sgpr_count:     30
    .sgpr_spill_count: 0
    .symbol:         _ZN7rocprim17ROCPRIM_304000_NS6detail26onesweep_histograms_kernelINS1_34wrapped_radix_sort_onesweep_configINS0_14default_configEaN2at4cuda3cub6detail10OpaqueTypeILi8EEEEELb1EPKamNS0_19identity_decomposerEEEvT1_PT2_SG_SG_T3_jj.kd
    .uniform_work_group_size: 1
    .uses_dynamic_stack: false
    .vgpr_count:     18
    .vgpr_spill_count: 0
    .wavefront_size: 64
  - .args:
      - .address_space:  global
        .offset:         0
        .size:           8
        .value_kind:     global_buffer
    .group_segment_fixed_size: 64
    .kernarg_segment_align: 8
    .kernarg_segment_size: 8
    .language:       OpenCL C
    .language_version:
      - 2
      - 0
    .max_flat_workgroup_size: 512
    .name:           _ZN7rocprim17ROCPRIM_304000_NS6detail31onesweep_scan_histograms_kernelINS1_34wrapped_radix_sort_onesweep_configINS0_14default_configEaN2at4cuda3cub6detail10OpaqueTypeILi8EEEEEmEEvPT0_
    .private_segment_fixed_size: 0
    .sgpr_count:     12
    .sgpr_spill_count: 0
    .symbol:         _ZN7rocprim17ROCPRIM_304000_NS6detail31onesweep_scan_histograms_kernelINS1_34wrapped_radix_sort_onesweep_configINS0_14default_configEaN2at4cuda3cub6detail10OpaqueTypeILi8EEEEEmEEvPT0_.kd
    .uniform_work_group_size: 1
    .uses_dynamic_stack: false
    .vgpr_count:     12
    .vgpr_spill_count: 0
    .wavefront_size: 64
  - .args:
      - .address_space:  global
        .offset:         0
        .size:           8
        .value_kind:     global_buffer
      - .offset:         8
        .size:           8
        .value_kind:     by_value
      - .address_space:  global
        .offset:         16
        .size:           8
        .value_kind:     global_buffer
      - .offset:         24
        .size:           1
        .value_kind:     by_value
      - .offset:         32
        .size:           4
        .value_kind:     hidden_block_count_x
      - .offset:         36
        .size:           4
        .value_kind:     hidden_block_count_y
      - .offset:         40
        .size:           4
        .value_kind:     hidden_block_count_z
      - .offset:         44
        .size:           2
        .value_kind:     hidden_group_size_x
      - .offset:         46
        .size:           2
        .value_kind:     hidden_group_size_y
      - .offset:         48
        .size:           2
        .value_kind:     hidden_group_size_z
      - .offset:         50
        .size:           2
        .value_kind:     hidden_remainder_x
      - .offset:         52
        .size:           2
        .value_kind:     hidden_remainder_y
      - .offset:         54
        .size:           2
        .value_kind:     hidden_remainder_z
      - .offset:         72
        .size:           8
        .value_kind:     hidden_global_offset_x
      - .offset:         80
        .size:           8
        .value_kind:     hidden_global_offset_y
      - .offset:         88
        .size:           8
        .value_kind:     hidden_global_offset_z
      - .offset:         96
        .size:           2
        .value_kind:     hidden_grid_dims
    .group_segment_fixed_size: 0
    .kernarg_segment_align: 8
    .kernarg_segment_size: 288
    .language:       OpenCL C
    .language_version:
      - 2
      - 0
    .max_flat_workgroup_size: 64
    .name:           _ZN7rocprim17ROCPRIM_304000_NS6detail16transform_kernelINS1_24wrapped_transform_configINS0_14default_configEaEEaPKaPaNS0_8identityIaEEEEvT1_mT2_T3_
    .private_segment_fixed_size: 0
    .sgpr_count:     42
    .sgpr_spill_count: 0
    .symbol:         _ZN7rocprim17ROCPRIM_304000_NS6detail16transform_kernelINS1_24wrapped_transform_configINS0_14default_configEaEEaPKaPaNS0_8identityIaEEEEvT1_mT2_T3_.kd
    .uniform_work_group_size: 1
    .uses_dynamic_stack: false
    .vgpr_count:     27
    .vgpr_spill_count: 0
    .wavefront_size: 64
  - .args:
      - .address_space:  global
        .offset:         0
        .size:           8
        .value_kind:     global_buffer
      - .address_space:  global
        .offset:         8
        .size:           8
        .value_kind:     global_buffer
      - .address_space:  global
        .offset:         16
        .size:           8
        .value_kind:     global_buffer
      - .address_space:  global
        .offset:         24
        .size:           8
        .value_kind:     global_buffer
      - .offset:         32
        .size:           4
        .value_kind:     by_value
      - .address_space:  global
        .offset:         40
        .size:           8
        .value_kind:     global_buffer
      - .address_space:  global
        .offset:         48
        .size:           8
        .value_kind:     global_buffer
      - .address_space:  global
        .offset:         56
        .size:           8
        .value_kind:     global_buffer
      - .offset:         64
        .size:           1
        .value_kind:     by_value
      - .offset:         68
        .size:           4
        .value_kind:     by_value
      - .offset:         72
        .size:           4
        .value_kind:     by_value
      - .offset:         76
        .size:           4
        .value_kind:     by_value
      - .offset:         80
        .size:           4
        .value_kind:     hidden_block_count_x
      - .offset:         84
        .size:           4
        .value_kind:     hidden_block_count_y
      - .offset:         88
        .size:           4
        .value_kind:     hidden_block_count_z
      - .offset:         92
        .size:           2
        .value_kind:     hidden_group_size_x
      - .offset:         94
        .size:           2
        .value_kind:     hidden_group_size_y
      - .offset:         96
        .size:           2
        .value_kind:     hidden_group_size_z
      - .offset:         98
        .size:           2
        .value_kind:     hidden_remainder_x
      - .offset:         100
        .size:           2
        .value_kind:     hidden_remainder_y
      - .offset:         102
        .size:           2
        .value_kind:     hidden_remainder_z
      - .offset:         120
        .size:           8
        .value_kind:     hidden_global_offset_x
      - .offset:         128
        .size:           8
        .value_kind:     hidden_global_offset_y
      - .offset:         136
        .size:           8
        .value_kind:     hidden_global_offset_z
      - .offset:         144
        .size:           2
        .value_kind:     hidden_grid_dims
    .group_segment_fixed_size: 26624
    .kernarg_segment_align: 8
    .kernarg_segment_size: 336
    .language:       OpenCL C
    .language_version:
      - 2
      - 0
    .max_flat_workgroup_size: 512
    .name:           _ZN7rocprim17ROCPRIM_304000_NS6detail25onesweep_iteration_kernelINS1_34wrapped_radix_sort_onesweep_configINS0_14default_configEaN2at4cuda3cub6detail10OpaqueTypeILi8EEEEELb1EPKaPaPKSA_PSA_mNS0_19identity_decomposerEEEvT1_T2_T3_T4_jPT5_SO_PNS1_23onesweep_lookback_stateET6_jjj
    .private_segment_fixed_size: 0
    .sgpr_count:     57
    .sgpr_spill_count: 0
    .symbol:         _ZN7rocprim17ROCPRIM_304000_NS6detail25onesweep_iteration_kernelINS1_34wrapped_radix_sort_onesweep_configINS0_14default_configEaN2at4cuda3cub6detail10OpaqueTypeILi8EEEEELb1EPKaPaPKSA_PSA_mNS0_19identity_decomposerEEEvT1_T2_T3_T4_jPT5_SO_PNS1_23onesweep_lookback_stateET6_jjj.kd
    .uniform_work_group_size: 1
    .uses_dynamic_stack: false
    .vgpr_count:     40
    .vgpr_spill_count: 0
    .wavefront_size: 64
  - .args:
      - .address_space:  global
        .offset:         0
        .size:           8
        .value_kind:     global_buffer
      - .address_space:  global
        .offset:         8
        .size:           8
        .value_kind:     global_buffer
      - .address_space:  global
        .offset:         16
        .size:           8
        .value_kind:     global_buffer
      - .address_space:  global
        .offset:         24
        .size:           8
        .value_kind:     global_buffer
      - .offset:         32
        .size:           4
        .value_kind:     by_value
      - .address_space:  global
        .offset:         40
        .size:           8
        .value_kind:     global_buffer
      - .address_space:  global
        .offset:         48
        .size:           8
        .value_kind:     global_buffer
      - .address_space:  global
        .offset:         56
        .size:           8
        .value_kind:     global_buffer
      - .offset:         64
        .size:           1
        .value_kind:     by_value
      - .offset:         68
        .size:           4
        .value_kind:     by_value
      - .offset:         72
        .size:           4
        .value_kind:     by_value
      - .offset:         76
        .size:           4
        .value_kind:     by_value
      - .offset:         80
        .size:           4
        .value_kind:     hidden_block_count_x
      - .offset:         84
        .size:           4
        .value_kind:     hidden_block_count_y
      - .offset:         88
        .size:           4
        .value_kind:     hidden_block_count_z
      - .offset:         92
        .size:           2
        .value_kind:     hidden_group_size_x
      - .offset:         94
        .size:           2
        .value_kind:     hidden_group_size_y
      - .offset:         96
        .size:           2
        .value_kind:     hidden_group_size_z
      - .offset:         98
        .size:           2
        .value_kind:     hidden_remainder_x
      - .offset:         100
        .size:           2
        .value_kind:     hidden_remainder_y
      - .offset:         102
        .size:           2
        .value_kind:     hidden_remainder_z
      - .offset:         120
        .size:           8
        .value_kind:     hidden_global_offset_x
      - .offset:         128
        .size:           8
        .value_kind:     hidden_global_offset_y
      - .offset:         136
        .size:           8
        .value_kind:     hidden_global_offset_z
      - .offset:         144
        .size:           2
        .value_kind:     hidden_grid_dims
    .group_segment_fixed_size: 26624
    .kernarg_segment_align: 8
    .kernarg_segment_size: 336
    .language:       OpenCL C
    .language_version:
      - 2
      - 0
    .max_flat_workgroup_size: 512
    .name:           _ZN7rocprim17ROCPRIM_304000_NS6detail25onesweep_iteration_kernelINS1_34wrapped_radix_sort_onesweep_configINS0_14default_configEaN2at4cuda3cub6detail10OpaqueTypeILi8EEEEELb1EPaSC_PSA_SD_mNS0_19identity_decomposerEEEvT1_T2_T3_T4_jPT5_SK_PNS1_23onesweep_lookback_stateET6_jjj
    .private_segment_fixed_size: 0
    .sgpr_count:     57
    .sgpr_spill_count: 0
    .symbol:         _ZN7rocprim17ROCPRIM_304000_NS6detail25onesweep_iteration_kernelINS1_34wrapped_radix_sort_onesweep_configINS0_14default_configEaN2at4cuda3cub6detail10OpaqueTypeILi8EEEEELb1EPaSC_PSA_SD_mNS0_19identity_decomposerEEEvT1_T2_T3_T4_jPT5_SK_PNS1_23onesweep_lookback_stateET6_jjj.kd
    .uniform_work_group_size: 1
    .uses_dynamic_stack: false
    .vgpr_count:     40
    .vgpr_spill_count: 0
    .wavefront_size: 64
  - .args:
      - .address_space:  global
        .offset:         0
        .size:           8
        .value_kind:     global_buffer
      - .address_space:  global
        .offset:         8
        .size:           8
        .value_kind:     global_buffer
      - .address_space:  global
        .offset:         16
        .size:           8
        .value_kind:     global_buffer
      - .address_space:  global
        .offset:         24
        .size:           8
        .value_kind:     global_buffer
      - .offset:         32
        .size:           4
        .value_kind:     by_value
      - .offset:         36
        .size:           1
        .value_kind:     by_value
      - .offset:         40
        .size:           4
        .value_kind:     by_value
      - .offset:         44
        .size:           4
        .value_kind:     by_value
      - .offset:         48
        .size:           4
        .value_kind:     hidden_block_count_x
      - .offset:         52
        .size:           4
        .value_kind:     hidden_block_count_y
      - .offset:         56
        .size:           4
        .value_kind:     hidden_block_count_z
      - .offset:         60
        .size:           2
        .value_kind:     hidden_group_size_x
      - .offset:         62
        .size:           2
        .value_kind:     hidden_group_size_y
      - .offset:         64
        .size:           2
        .value_kind:     hidden_group_size_z
      - .offset:         66
        .size:           2
        .value_kind:     hidden_remainder_x
      - .offset:         68
        .size:           2
        .value_kind:     hidden_remainder_y
      - .offset:         70
        .size:           2
        .value_kind:     hidden_remainder_z
      - .offset:         88
        .size:           8
        .value_kind:     hidden_global_offset_x
      - .offset:         96
        .size:           8
        .value_kind:     hidden_global_offset_y
      - .offset:         104
        .size:           8
        .value_kind:     hidden_global_offset_z
      - .offset:         112
        .size:           2
        .value_kind:     hidden_grid_dims
    .group_segment_fixed_size: 8192
    .kernarg_segment_align: 8
    .kernarg_segment_size: 304
    .language:       OpenCL C
    .language_version:
      - 2
      - 0
    .max_flat_workgroup_size: 256
    .name:           _ZN7rocprim17ROCPRIM_304000_NS6detail28radix_sort_block_sort_kernelINS1_36wrapped_radix_sort_block_sort_configINS0_13kernel_configILj256ELj4ELj4294967295EEEaN2at4cuda3cub6detail10OpaqueTypeILi8EEEEELb0EPKaPaPKSB_PSB_NS0_19identity_decomposerEEEvT1_T2_T3_T4_jT5_jj
    .private_segment_fixed_size: 0
    .sgpr_count:     50
    .sgpr_spill_count: 0
    .symbol:         _ZN7rocprim17ROCPRIM_304000_NS6detail28radix_sort_block_sort_kernelINS1_36wrapped_radix_sort_block_sort_configINS0_13kernel_configILj256ELj4ELj4294967295EEEaN2at4cuda3cub6detail10OpaqueTypeILi8EEEEELb0EPKaPaPKSB_PSB_NS0_19identity_decomposerEEEvT1_T2_T3_T4_jT5_jj.kd
    .uniform_work_group_size: 1
    .uses_dynamic_stack: false
    .vgpr_count:     48
    .vgpr_spill_count: 0
    .wavefront_size: 64
  - .args:
      - .address_space:  global
        .offset:         0
        .size:           8
        .value_kind:     global_buffer
      - .offset:         8
        .size:           4
        .value_kind:     by_value
      - .offset:         12
        .size:           4
        .value_kind:     by_value
      - .address_space:  global
        .offset:         16
        .size:           8
        .value_kind:     global_buffer
      - .offset:         24
        .size:           1
        .value_kind:     by_value
      - .offset:         28
        .size:           4
        .value_kind:     by_value
    .group_segment_fixed_size: 0
    .kernarg_segment_align: 8
    .kernarg_segment_size: 32
    .language:       OpenCL C
    .language_version:
      - 2
      - 0
    .max_flat_workgroup_size: 128
    .name:           _ZN7rocprim17ROCPRIM_304000_NS6detail45device_block_merge_mergepath_partition_kernelINS1_37wrapped_merge_sort_block_merge_configINS0_14default_configEaN2at4cuda3cub6detail10OpaqueTypeILi8EEEEEPajNS1_19radix_merge_compareILb0ELb0EaNS0_19identity_decomposerEEEEEvT0_T1_jPSH_T2_SH_
    .private_segment_fixed_size: 0
    .sgpr_count:     11
    .sgpr_spill_count: 0
    .symbol:         _ZN7rocprim17ROCPRIM_304000_NS6detail45device_block_merge_mergepath_partition_kernelINS1_37wrapped_merge_sort_block_merge_configINS0_14default_configEaN2at4cuda3cub6detail10OpaqueTypeILi8EEEEEPajNS1_19radix_merge_compareILb0ELb0EaNS0_19identity_decomposerEEEEEvT0_T1_jPSH_T2_SH_.kd
    .uniform_work_group_size: 1
    .uses_dynamic_stack: false
    .vgpr_count:     16
    .vgpr_spill_count: 0
    .wavefront_size: 64
  - .args:
      - .address_space:  global
        .offset:         0
        .size:           8
        .value_kind:     global_buffer
      - .address_space:  global
        .offset:         8
        .size:           8
        .value_kind:     global_buffer
      - .address_space:  global
        .offset:         16
        .size:           8
        .value_kind:     global_buffer
      - .address_space:  global
        .offset:         24
        .size:           8
        .value_kind:     global_buffer
      - .offset:         32
        .size:           4
        .value_kind:     by_value
      - .offset:         36
        .size:           4
        .value_kind:     by_value
      - .offset:         40
        .size:           4
        .value_kind:     by_value
      - .offset:         44
        .size:           1
        .value_kind:     by_value
      - .address_space:  global
        .offset:         48
        .size:           8
        .value_kind:     global_buffer
      - .address_space:  global
        .offset:         56
        .size:           8
        .value_kind:     global_buffer
      - .offset:         64
        .size:           4
        .value_kind:     hidden_block_count_x
      - .offset:         68
        .size:           4
        .value_kind:     hidden_block_count_y
      - .offset:         72
        .size:           4
        .value_kind:     hidden_block_count_z
      - .offset:         76
        .size:           2
        .value_kind:     hidden_group_size_x
      - .offset:         78
        .size:           2
        .value_kind:     hidden_group_size_y
      - .offset:         80
        .size:           2
        .value_kind:     hidden_group_size_z
      - .offset:         82
        .size:           2
        .value_kind:     hidden_remainder_x
      - .offset:         84
        .size:           2
        .value_kind:     hidden_remainder_y
      - .offset:         86
        .size:           2
        .value_kind:     hidden_remainder_z
      - .offset:         104
        .size:           8
        .value_kind:     hidden_global_offset_x
      - .offset:         112
        .size:           8
        .value_kind:     hidden_global_offset_y
      - .offset:         120
        .size:           8
        .value_kind:     hidden_global_offset_z
      - .offset:         128
        .size:           2
        .value_kind:     hidden_grid_dims
    .group_segment_fixed_size: 8208
    .kernarg_segment_align: 8
    .kernarg_segment_size: 320
    .language:       OpenCL C
    .language_version:
      - 2
      - 0
    .max_flat_workgroup_size: 128
    .name:           _ZN7rocprim17ROCPRIM_304000_NS6detail35device_block_merge_mergepath_kernelINS1_37wrapped_merge_sort_block_merge_configINS0_14default_configEaN2at4cuda3cub6detail10OpaqueTypeILi8EEEEEPaSC_PSA_SD_jNS1_19radix_merge_compareILb0ELb0EaNS0_19identity_decomposerEEEEEvT0_T1_T2_T3_T4_SL_jT5_PKSL_NS1_7vsmem_tE
    .private_segment_fixed_size: 0
    .sgpr_count:     40
    .sgpr_spill_count: 0
    .symbol:         _ZN7rocprim17ROCPRIM_304000_NS6detail35device_block_merge_mergepath_kernelINS1_37wrapped_merge_sort_block_merge_configINS0_14default_configEaN2at4cuda3cub6detail10OpaqueTypeILi8EEEEEPaSC_PSA_SD_jNS1_19radix_merge_compareILb0ELb0EaNS0_19identity_decomposerEEEEEvT0_T1_T2_T3_T4_SL_jT5_PKSL_NS1_7vsmem_tE.kd
    .uniform_work_group_size: 1
    .uses_dynamic_stack: false
    .vgpr_count:     31
    .vgpr_spill_count: 0
    .wavefront_size: 64
  - .args:
      - .address_space:  global
        .offset:         0
        .size:           8
        .value_kind:     global_buffer
      - .address_space:  global
        .offset:         8
        .size:           8
        .value_kind:     global_buffer
      - .address_space:  global
        .offset:         16
        .size:           8
        .value_kind:     global_buffer
      - .address_space:  global
        .offset:         24
        .size:           8
        .value_kind:     global_buffer
      - .offset:         32
        .size:           4
        .value_kind:     by_value
      - .offset:         36
        .size:           4
        .value_kind:     by_value
      - .offset:         40
        .size:           1
        .value_kind:     by_value
    .group_segment_fixed_size: 0
    .kernarg_segment_align: 8
    .kernarg_segment_size: 44
    .language:       OpenCL C
    .language_version:
      - 2
      - 0
    .max_flat_workgroup_size: 256
    .name:           _ZN7rocprim17ROCPRIM_304000_NS6detail33device_block_merge_oddeven_kernelINS1_37wrapped_merge_sort_block_merge_configINS0_14default_configEaN2at4cuda3cub6detail10OpaqueTypeILi8EEEEEPaSC_PSA_SD_jNS1_19radix_merge_compareILb0ELb0EaNS0_19identity_decomposerEEEEEvT0_T1_T2_T3_T4_SL_T5_
    .private_segment_fixed_size: 0
    .sgpr_count:     26
    .sgpr_spill_count: 0
    .symbol:         _ZN7rocprim17ROCPRIM_304000_NS6detail33device_block_merge_oddeven_kernelINS1_37wrapped_merge_sort_block_merge_configINS0_14default_configEaN2at4cuda3cub6detail10OpaqueTypeILi8EEEEEPaSC_PSA_SD_jNS1_19radix_merge_compareILb0ELb0EaNS0_19identity_decomposerEEEEEvT0_T1_T2_T3_T4_SL_T5_.kd
    .uniform_work_group_size: 1
    .uses_dynamic_stack: false
    .vgpr_count:     10
    .vgpr_spill_count: 0
    .wavefront_size: 64
  - .args:
      - .address_space:  global
        .offset:         0
        .size:           8
        .value_kind:     global_buffer
      - .offset:         8
        .size:           4
        .value_kind:     by_value
      - .offset:         12
        .size:           4
        .value_kind:     by_value
      - .address_space:  global
        .offset:         16
        .size:           8
        .value_kind:     global_buffer
      - .offset:         24
        .size:           1
        .value_kind:     by_value
      - .offset:         28
        .size:           4
        .value_kind:     by_value
    .group_segment_fixed_size: 0
    .kernarg_segment_align: 8
    .kernarg_segment_size: 32
    .language:       OpenCL C
    .language_version:
      - 2
      - 0
    .max_flat_workgroup_size: 128
    .name:           _ZN7rocprim17ROCPRIM_304000_NS6detail45device_block_merge_mergepath_partition_kernelINS1_37wrapped_merge_sort_block_merge_configINS0_14default_configEaN2at4cuda3cub6detail10OpaqueTypeILi8EEEEEPajNS1_19radix_merge_compareILb0ELb1EaNS0_19identity_decomposerEEEEEvT0_T1_jPSH_T2_SH_
    .private_segment_fixed_size: 0
    .sgpr_count:     12
    .sgpr_spill_count: 0
    .symbol:         _ZN7rocprim17ROCPRIM_304000_NS6detail45device_block_merge_mergepath_partition_kernelINS1_37wrapped_merge_sort_block_merge_configINS0_14default_configEaN2at4cuda3cub6detail10OpaqueTypeILi8EEEEEPajNS1_19radix_merge_compareILb0ELb1EaNS0_19identity_decomposerEEEEEvT0_T1_jPSH_T2_SH_.kd
    .uniform_work_group_size: 1
    .uses_dynamic_stack: false
    .vgpr_count:     16
    .vgpr_spill_count: 0
    .wavefront_size: 64
  - .args:
      - .address_space:  global
        .offset:         0
        .size:           8
        .value_kind:     global_buffer
      - .address_space:  global
        .offset:         8
        .size:           8
        .value_kind:     global_buffer
      - .address_space:  global
        .offset:         16
        .size:           8
        .value_kind:     global_buffer
      - .address_space:  global
        .offset:         24
        .size:           8
        .value_kind:     global_buffer
      - .offset:         32
        .size:           4
        .value_kind:     by_value
      - .offset:         36
        .size:           4
        .value_kind:     by_value
      - .offset:         40
        .size:           4
        .value_kind:     by_value
      - .offset:         44
        .size:           1
        .value_kind:     by_value
      - .address_space:  global
        .offset:         48
        .size:           8
        .value_kind:     global_buffer
      - .address_space:  global
        .offset:         56
        .size:           8
        .value_kind:     global_buffer
      - .offset:         64
        .size:           4
        .value_kind:     hidden_block_count_x
      - .offset:         68
        .size:           4
        .value_kind:     hidden_block_count_y
      - .offset:         72
        .size:           4
        .value_kind:     hidden_block_count_z
      - .offset:         76
        .size:           2
        .value_kind:     hidden_group_size_x
      - .offset:         78
        .size:           2
        .value_kind:     hidden_group_size_y
      - .offset:         80
        .size:           2
        .value_kind:     hidden_group_size_z
      - .offset:         82
        .size:           2
        .value_kind:     hidden_remainder_x
      - .offset:         84
        .size:           2
        .value_kind:     hidden_remainder_y
      - .offset:         86
        .size:           2
        .value_kind:     hidden_remainder_z
      - .offset:         104
        .size:           8
        .value_kind:     hidden_global_offset_x
      - .offset:         112
        .size:           8
        .value_kind:     hidden_global_offset_y
      - .offset:         120
        .size:           8
        .value_kind:     hidden_global_offset_z
      - .offset:         128
        .size:           2
        .value_kind:     hidden_grid_dims
    .group_segment_fixed_size: 8208
    .kernarg_segment_align: 8
    .kernarg_segment_size: 320
    .language:       OpenCL C
    .language_version:
      - 2
      - 0
    .max_flat_workgroup_size: 128
    .name:           _ZN7rocprim17ROCPRIM_304000_NS6detail35device_block_merge_mergepath_kernelINS1_37wrapped_merge_sort_block_merge_configINS0_14default_configEaN2at4cuda3cub6detail10OpaqueTypeILi8EEEEEPaSC_PSA_SD_jNS1_19radix_merge_compareILb0ELb1EaNS0_19identity_decomposerEEEEEvT0_T1_T2_T3_T4_SL_jT5_PKSL_NS1_7vsmem_tE
    .private_segment_fixed_size: 0
    .sgpr_count:     40
    .sgpr_spill_count: 0
    .symbol:         _ZN7rocprim17ROCPRIM_304000_NS6detail35device_block_merge_mergepath_kernelINS1_37wrapped_merge_sort_block_merge_configINS0_14default_configEaN2at4cuda3cub6detail10OpaqueTypeILi8EEEEEPaSC_PSA_SD_jNS1_19radix_merge_compareILb0ELb1EaNS0_19identity_decomposerEEEEEvT0_T1_T2_T3_T4_SL_jT5_PKSL_NS1_7vsmem_tE.kd
    .uniform_work_group_size: 1
    .uses_dynamic_stack: false
    .vgpr_count:     31
    .vgpr_spill_count: 0
    .wavefront_size: 64
  - .args:
      - .address_space:  global
        .offset:         0
        .size:           8
        .value_kind:     global_buffer
      - .address_space:  global
        .offset:         8
        .size:           8
        .value_kind:     global_buffer
      - .address_space:  global
        .offset:         16
        .size:           8
        .value_kind:     global_buffer
      - .address_space:  global
        .offset:         24
        .size:           8
        .value_kind:     global_buffer
      - .offset:         32
        .size:           4
        .value_kind:     by_value
      - .offset:         36
        .size:           4
        .value_kind:     by_value
      - .offset:         40
        .size:           1
        .value_kind:     by_value
    .group_segment_fixed_size: 0
    .kernarg_segment_align: 8
    .kernarg_segment_size: 44
    .language:       OpenCL C
    .language_version:
      - 2
      - 0
    .max_flat_workgroup_size: 256
    .name:           _ZN7rocprim17ROCPRIM_304000_NS6detail33device_block_merge_oddeven_kernelINS1_37wrapped_merge_sort_block_merge_configINS0_14default_configEaN2at4cuda3cub6detail10OpaqueTypeILi8EEEEEPaSC_PSA_SD_jNS1_19radix_merge_compareILb0ELb1EaNS0_19identity_decomposerEEEEEvT0_T1_T2_T3_T4_SL_T5_
    .private_segment_fixed_size: 0
    .sgpr_count:     28
    .sgpr_spill_count: 0
    .symbol:         _ZN7rocprim17ROCPRIM_304000_NS6detail33device_block_merge_oddeven_kernelINS1_37wrapped_merge_sort_block_merge_configINS0_14default_configEaN2at4cuda3cub6detail10OpaqueTypeILi8EEEEEPaSC_PSA_SD_jNS1_19radix_merge_compareILb0ELb1EaNS0_19identity_decomposerEEEEEvT0_T1_T2_T3_T4_SL_T5_.kd
    .uniform_work_group_size: 1
    .uses_dynamic_stack: false
    .vgpr_count:     11
    .vgpr_spill_count: 0
    .wavefront_size: 64
  - .args:
      - .address_space:  global
        .offset:         0
        .size:           8
        .value_kind:     global_buffer
      - .address_space:  global
        .offset:         8
        .size:           8
        .value_kind:     global_buffer
      - .offset:         16
        .size:           8
        .value_kind:     by_value
      - .offset:         24
        .size:           8
        .value_kind:     by_value
      - .offset:         32
        .size:           1
        .value_kind:     by_value
      - .offset:         36
        .size:           4
        .value_kind:     by_value
      - .offset:         40
        .size:           4
        .value_kind:     by_value
    .group_segment_fixed_size: 4096
    .kernarg_segment_align: 8
    .kernarg_segment_size: 44
    .language:       OpenCL C
    .language_version:
      - 2
      - 0
    .max_flat_workgroup_size: 512
    .name:           _ZN7rocprim17ROCPRIM_304000_NS6detail26onesweep_histograms_kernelINS1_34wrapped_radix_sort_onesweep_configINS0_14default_configEaN2at4cuda3cub6detail10OpaqueTypeILi8EEEEELb0EPKamNS0_19identity_decomposerEEEvT1_PT2_SG_SG_T3_jj
    .private_segment_fixed_size: 0
    .sgpr_count:     30
    .sgpr_spill_count: 0
    .symbol:         _ZN7rocprim17ROCPRIM_304000_NS6detail26onesweep_histograms_kernelINS1_34wrapped_radix_sort_onesweep_configINS0_14default_configEaN2at4cuda3cub6detail10OpaqueTypeILi8EEEEELb0EPKamNS0_19identity_decomposerEEEvT1_PT2_SG_SG_T3_jj.kd
    .uniform_work_group_size: 1
    .uses_dynamic_stack: false
    .vgpr_count:     18
    .vgpr_spill_count: 0
    .wavefront_size: 64
  - .args:
      - .address_space:  global
        .offset:         0
        .size:           8
        .value_kind:     global_buffer
      - .address_space:  global
        .offset:         8
        .size:           8
        .value_kind:     global_buffer
      - .address_space:  global
        .offset:         16
        .size:           8
        .value_kind:     global_buffer
      - .address_space:  global
        .offset:         24
        .size:           8
        .value_kind:     global_buffer
      - .offset:         32
        .size:           4
        .value_kind:     by_value
      - .address_space:  global
        .offset:         40
        .size:           8
        .value_kind:     global_buffer
      - .address_space:  global
        .offset:         48
        .size:           8
        .value_kind:     global_buffer
      - .address_space:  global
        .offset:         56
        .size:           8
        .value_kind:     global_buffer
      - .offset:         64
        .size:           1
        .value_kind:     by_value
      - .offset:         68
        .size:           4
        .value_kind:     by_value
      - .offset:         72
        .size:           4
        .value_kind:     by_value
      - .offset:         76
        .size:           4
        .value_kind:     by_value
      - .offset:         80
        .size:           4
        .value_kind:     hidden_block_count_x
      - .offset:         84
        .size:           4
        .value_kind:     hidden_block_count_y
      - .offset:         88
        .size:           4
        .value_kind:     hidden_block_count_z
      - .offset:         92
        .size:           2
        .value_kind:     hidden_group_size_x
      - .offset:         94
        .size:           2
        .value_kind:     hidden_group_size_y
      - .offset:         96
        .size:           2
        .value_kind:     hidden_group_size_z
      - .offset:         98
        .size:           2
        .value_kind:     hidden_remainder_x
      - .offset:         100
        .size:           2
        .value_kind:     hidden_remainder_y
      - .offset:         102
        .size:           2
        .value_kind:     hidden_remainder_z
      - .offset:         120
        .size:           8
        .value_kind:     hidden_global_offset_x
      - .offset:         128
        .size:           8
        .value_kind:     hidden_global_offset_y
      - .offset:         136
        .size:           8
        .value_kind:     hidden_global_offset_z
      - .offset:         144
        .size:           2
        .value_kind:     hidden_grid_dims
    .group_segment_fixed_size: 26624
    .kernarg_segment_align: 8
    .kernarg_segment_size: 336
    .language:       OpenCL C
    .language_version:
      - 2
      - 0
    .max_flat_workgroup_size: 512
    .name:           _ZN7rocprim17ROCPRIM_304000_NS6detail25onesweep_iteration_kernelINS1_34wrapped_radix_sort_onesweep_configINS0_14default_configEaN2at4cuda3cub6detail10OpaqueTypeILi8EEEEELb0EPKaPaPKSA_PSA_mNS0_19identity_decomposerEEEvT1_T2_T3_T4_jPT5_SO_PNS1_23onesweep_lookback_stateET6_jjj
    .private_segment_fixed_size: 0
    .sgpr_count:     57
    .sgpr_spill_count: 0
    .symbol:         _ZN7rocprim17ROCPRIM_304000_NS6detail25onesweep_iteration_kernelINS1_34wrapped_radix_sort_onesweep_configINS0_14default_configEaN2at4cuda3cub6detail10OpaqueTypeILi8EEEEELb0EPKaPaPKSA_PSA_mNS0_19identity_decomposerEEEvT1_T2_T3_T4_jPT5_SO_PNS1_23onesweep_lookback_stateET6_jjj.kd
    .uniform_work_group_size: 1
    .uses_dynamic_stack: false
    .vgpr_count:     40
    .vgpr_spill_count: 0
    .wavefront_size: 64
  - .args:
      - .address_space:  global
        .offset:         0
        .size:           8
        .value_kind:     global_buffer
      - .address_space:  global
        .offset:         8
        .size:           8
        .value_kind:     global_buffer
      - .address_space:  global
        .offset:         16
        .size:           8
        .value_kind:     global_buffer
      - .address_space:  global
        .offset:         24
        .size:           8
        .value_kind:     global_buffer
      - .offset:         32
        .size:           4
        .value_kind:     by_value
      - .address_space:  global
        .offset:         40
        .size:           8
        .value_kind:     global_buffer
      - .address_space:  global
        .offset:         48
        .size:           8
        .value_kind:     global_buffer
      - .address_space:  global
        .offset:         56
        .size:           8
        .value_kind:     global_buffer
      - .offset:         64
        .size:           1
        .value_kind:     by_value
      - .offset:         68
        .size:           4
        .value_kind:     by_value
      - .offset:         72
        .size:           4
        .value_kind:     by_value
      - .offset:         76
        .size:           4
        .value_kind:     by_value
      - .offset:         80
        .size:           4
        .value_kind:     hidden_block_count_x
      - .offset:         84
        .size:           4
        .value_kind:     hidden_block_count_y
      - .offset:         88
        .size:           4
        .value_kind:     hidden_block_count_z
      - .offset:         92
        .size:           2
        .value_kind:     hidden_group_size_x
      - .offset:         94
        .size:           2
        .value_kind:     hidden_group_size_y
      - .offset:         96
        .size:           2
        .value_kind:     hidden_group_size_z
      - .offset:         98
        .size:           2
        .value_kind:     hidden_remainder_x
      - .offset:         100
        .size:           2
        .value_kind:     hidden_remainder_y
      - .offset:         102
        .size:           2
        .value_kind:     hidden_remainder_z
      - .offset:         120
        .size:           8
        .value_kind:     hidden_global_offset_x
      - .offset:         128
        .size:           8
        .value_kind:     hidden_global_offset_y
      - .offset:         136
        .size:           8
        .value_kind:     hidden_global_offset_z
      - .offset:         144
        .size:           2
        .value_kind:     hidden_grid_dims
    .group_segment_fixed_size: 26624
    .kernarg_segment_align: 8
    .kernarg_segment_size: 336
    .language:       OpenCL C
    .language_version:
      - 2
      - 0
    .max_flat_workgroup_size: 512
    .name:           _ZN7rocprim17ROCPRIM_304000_NS6detail25onesweep_iteration_kernelINS1_34wrapped_radix_sort_onesweep_configINS0_14default_configEaN2at4cuda3cub6detail10OpaqueTypeILi8EEEEELb0EPaSC_PSA_SD_mNS0_19identity_decomposerEEEvT1_T2_T3_T4_jPT5_SK_PNS1_23onesweep_lookback_stateET6_jjj
    .private_segment_fixed_size: 0
    .sgpr_count:     57
    .sgpr_spill_count: 0
    .symbol:         _ZN7rocprim17ROCPRIM_304000_NS6detail25onesweep_iteration_kernelINS1_34wrapped_radix_sort_onesweep_configINS0_14default_configEaN2at4cuda3cub6detail10OpaqueTypeILi8EEEEELb0EPaSC_PSA_SD_mNS0_19identity_decomposerEEEvT1_T2_T3_T4_jPT5_SK_PNS1_23onesweep_lookback_stateET6_jjj.kd
    .uniform_work_group_size: 1
    .uses_dynamic_stack: false
    .vgpr_count:     40
    .vgpr_spill_count: 0
    .wavefront_size: 64
  - .args:
      - .address_space:  global
        .offset:         0
        .size:           8
        .value_kind:     global_buffer
      - .address_space:  global
        .offset:         8
        .size:           8
        .value_kind:     global_buffer
      - .address_space:  global
        .offset:         16
        .size:           8
        .value_kind:     global_buffer
      - .address_space:  global
        .offset:         24
        .size:           8
        .value_kind:     global_buffer
      - .offset:         32
        .size:           4
        .value_kind:     by_value
      - .offset:         36
        .size:           1
        .value_kind:     by_value
      - .offset:         40
        .size:           4
        .value_kind:     by_value
      - .offset:         44
        .size:           4
        .value_kind:     by_value
      - .offset:         48
        .size:           4
        .value_kind:     hidden_block_count_x
      - .offset:         52
        .size:           4
        .value_kind:     hidden_block_count_y
      - .offset:         56
        .size:           4
        .value_kind:     hidden_block_count_z
      - .offset:         60
        .size:           2
        .value_kind:     hidden_group_size_x
      - .offset:         62
        .size:           2
        .value_kind:     hidden_group_size_y
      - .offset:         64
        .size:           2
        .value_kind:     hidden_group_size_z
      - .offset:         66
        .size:           2
        .value_kind:     hidden_remainder_x
      - .offset:         68
        .size:           2
        .value_kind:     hidden_remainder_y
      - .offset:         70
        .size:           2
        .value_kind:     hidden_remainder_z
      - .offset:         88
        .size:           8
        .value_kind:     hidden_global_offset_x
      - .offset:         96
        .size:           8
        .value_kind:     hidden_global_offset_y
      - .offset:         104
        .size:           8
        .value_kind:     hidden_global_offset_z
      - .offset:         112
        .size:           2
        .value_kind:     hidden_grid_dims
    .group_segment_fixed_size: 8192
    .kernarg_segment_align: 8
    .kernarg_segment_size: 304
    .language:       OpenCL C
    .language_version:
      - 2
      - 0
    .max_flat_workgroup_size: 256
    .name:           _ZN7rocprim17ROCPRIM_304000_NS6detail28radix_sort_block_sort_kernelINS1_36wrapped_radix_sort_block_sort_configINS0_13kernel_configILj256ELj4ELj4294967295EEEsN2at4cuda3cub6detail10OpaqueTypeILi8EEEEELb1EPKsPsPKSB_PSB_NS0_19identity_decomposerEEEvT1_T2_T3_T4_jT5_jj
    .private_segment_fixed_size: 0
    .sgpr_count:     52
    .sgpr_spill_count: 0
    .symbol:         _ZN7rocprim17ROCPRIM_304000_NS6detail28radix_sort_block_sort_kernelINS1_36wrapped_radix_sort_block_sort_configINS0_13kernel_configILj256ELj4ELj4294967295EEEsN2at4cuda3cub6detail10OpaqueTypeILi8EEEEELb1EPKsPsPKSB_PSB_NS0_19identity_decomposerEEEvT1_T2_T3_T4_jT5_jj.kd
    .uniform_work_group_size: 1
    .uses_dynamic_stack: false
    .vgpr_count:     52
    .vgpr_spill_count: 0
    .wavefront_size: 64
  - .args:           []
    .group_segment_fixed_size: 0
    .kernarg_segment_align: 4
    .kernarg_segment_size: 0
    .language:       OpenCL C
    .language_version:
      - 2
      - 0
    .max_flat_workgroup_size: 1024
    .name:           _ZN7rocprim17ROCPRIM_304000_NS6detail39device_merge_sort_compile_time_verifierINS1_36wrapped_merge_sort_block_sort_configINS1_28merge_sort_block_sort_configILj256ELj4ELNS0_20block_sort_algorithmE0EEEsN2at4cuda3cub6detail10OpaqueTypeILi8EEEEENS1_37wrapped_merge_sort_block_merge_configINS0_14default_configEsSC_EEEEvv
    .private_segment_fixed_size: 0
    .sgpr_count:     4
    .sgpr_spill_count: 0
    .symbol:         _ZN7rocprim17ROCPRIM_304000_NS6detail39device_merge_sort_compile_time_verifierINS1_36wrapped_merge_sort_block_sort_configINS1_28merge_sort_block_sort_configILj256ELj4ELNS0_20block_sort_algorithmE0EEEsN2at4cuda3cub6detail10OpaqueTypeILi8EEEEENS1_37wrapped_merge_sort_block_merge_configINS0_14default_configEsSC_EEEEvv.kd
    .uniform_work_group_size: 1
    .uses_dynamic_stack: false
    .vgpr_count:     0
    .vgpr_spill_count: 0
    .wavefront_size: 64
  - .args:
      - .address_space:  global
        .offset:         0
        .size:           8
        .value_kind:     global_buffer
      - .offset:         8
        .size:           4
        .value_kind:     by_value
      - .offset:         12
        .size:           4
        .value_kind:     by_value
      - .address_space:  global
        .offset:         16
        .size:           8
        .value_kind:     global_buffer
      - .offset:         24
        .size:           1
        .value_kind:     by_value
      - .offset:         28
        .size:           4
        .value_kind:     by_value
    .group_segment_fixed_size: 0
    .kernarg_segment_align: 8
    .kernarg_segment_size: 32
    .language:       OpenCL C
    .language_version:
      - 2
      - 0
    .max_flat_workgroup_size: 128
    .name:           _ZN7rocprim17ROCPRIM_304000_NS6detail45device_block_merge_mergepath_partition_kernelINS1_37wrapped_merge_sort_block_merge_configINS0_14default_configEsN2at4cuda3cub6detail10OpaqueTypeILi8EEEEEPsjNS1_19radix_merge_compareILb1ELb0EsNS0_19identity_decomposerEEEEEvT0_T1_jPSH_T2_SH_
    .private_segment_fixed_size: 0
    .sgpr_count:     11
    .sgpr_spill_count: 0
    .symbol:         _ZN7rocprim17ROCPRIM_304000_NS6detail45device_block_merge_mergepath_partition_kernelINS1_37wrapped_merge_sort_block_merge_configINS0_14default_configEsN2at4cuda3cub6detail10OpaqueTypeILi8EEEEEPsjNS1_19radix_merge_compareILb1ELb0EsNS0_19identity_decomposerEEEEEvT0_T1_jPSH_T2_SH_.kd
    .uniform_work_group_size: 1
    .uses_dynamic_stack: false
    .vgpr_count:     15
    .vgpr_spill_count: 0
    .wavefront_size: 64
  - .args:
      - .address_space:  global
        .offset:         0
        .size:           8
        .value_kind:     global_buffer
      - .address_space:  global
        .offset:         8
        .size:           8
        .value_kind:     global_buffer
      - .address_space:  global
        .offset:         16
        .size:           8
        .value_kind:     global_buffer
      - .address_space:  global
        .offset:         24
        .size:           8
        .value_kind:     global_buffer
      - .offset:         32
        .size:           4
        .value_kind:     by_value
      - .offset:         36
        .size:           4
        .value_kind:     by_value
      - .offset:         40
        .size:           4
        .value_kind:     by_value
      - .offset:         44
        .size:           1
        .value_kind:     by_value
      - .address_space:  global
        .offset:         48
        .size:           8
        .value_kind:     global_buffer
      - .address_space:  global
        .offset:         56
        .size:           8
        .value_kind:     global_buffer
      - .offset:         64
        .size:           4
        .value_kind:     hidden_block_count_x
      - .offset:         68
        .size:           4
        .value_kind:     hidden_block_count_y
      - .offset:         72
        .size:           4
        .value_kind:     hidden_block_count_z
      - .offset:         76
        .size:           2
        .value_kind:     hidden_group_size_x
      - .offset:         78
        .size:           2
        .value_kind:     hidden_group_size_y
      - .offset:         80
        .size:           2
        .value_kind:     hidden_group_size_z
      - .offset:         82
        .size:           2
        .value_kind:     hidden_remainder_x
      - .offset:         84
        .size:           2
        .value_kind:     hidden_remainder_y
      - .offset:         86
        .size:           2
        .value_kind:     hidden_remainder_z
      - .offset:         104
        .size:           8
        .value_kind:     hidden_global_offset_x
      - .offset:         112
        .size:           8
        .value_kind:     hidden_global_offset_y
      - .offset:         120
        .size:           8
        .value_kind:     hidden_global_offset_z
      - .offset:         128
        .size:           2
        .value_kind:     hidden_grid_dims
    .group_segment_fixed_size: 8208
    .kernarg_segment_align: 8
    .kernarg_segment_size: 320
    .language:       OpenCL C
    .language_version:
      - 2
      - 0
    .max_flat_workgroup_size: 128
    .name:           _ZN7rocprim17ROCPRIM_304000_NS6detail35device_block_merge_mergepath_kernelINS1_37wrapped_merge_sort_block_merge_configINS0_14default_configEsN2at4cuda3cub6detail10OpaqueTypeILi8EEEEEPsSC_PSA_SD_jNS1_19radix_merge_compareILb1ELb0EsNS0_19identity_decomposerEEEEEvT0_T1_T2_T3_T4_SL_jT5_PKSL_NS1_7vsmem_tE
    .private_segment_fixed_size: 0
    .sgpr_count:     38
    .sgpr_spill_count: 0
    .symbol:         _ZN7rocprim17ROCPRIM_304000_NS6detail35device_block_merge_mergepath_kernelINS1_37wrapped_merge_sort_block_merge_configINS0_14default_configEsN2at4cuda3cub6detail10OpaqueTypeILi8EEEEEPsSC_PSA_SD_jNS1_19radix_merge_compareILb1ELb0EsNS0_19identity_decomposerEEEEEvT0_T1_T2_T3_T4_SL_jT5_PKSL_NS1_7vsmem_tE.kd
    .uniform_work_group_size: 1
    .uses_dynamic_stack: false
    .vgpr_count:     34
    .vgpr_spill_count: 0
    .wavefront_size: 64
  - .args:
      - .address_space:  global
        .offset:         0
        .size:           8
        .value_kind:     global_buffer
      - .address_space:  global
        .offset:         8
        .size:           8
        .value_kind:     global_buffer
      - .address_space:  global
        .offset:         16
        .size:           8
        .value_kind:     global_buffer
      - .address_space:  global
        .offset:         24
        .size:           8
        .value_kind:     global_buffer
      - .offset:         32
        .size:           4
        .value_kind:     by_value
      - .offset:         36
        .size:           4
        .value_kind:     by_value
      - .offset:         40
        .size:           1
        .value_kind:     by_value
    .group_segment_fixed_size: 0
    .kernarg_segment_align: 8
    .kernarg_segment_size: 44
    .language:       OpenCL C
    .language_version:
      - 2
      - 0
    .max_flat_workgroup_size: 256
    .name:           _ZN7rocprim17ROCPRIM_304000_NS6detail33device_block_merge_oddeven_kernelINS1_37wrapped_merge_sort_block_merge_configINS0_14default_configEsN2at4cuda3cub6detail10OpaqueTypeILi8EEEEEPsSC_PSA_SD_jNS1_19radix_merge_compareILb1ELb0EsNS0_19identity_decomposerEEEEEvT0_T1_T2_T3_T4_SL_T5_
    .private_segment_fixed_size: 0
    .sgpr_count:     26
    .sgpr_spill_count: 0
    .symbol:         _ZN7rocprim17ROCPRIM_304000_NS6detail33device_block_merge_oddeven_kernelINS1_37wrapped_merge_sort_block_merge_configINS0_14default_configEsN2at4cuda3cub6detail10OpaqueTypeILi8EEEEEPsSC_PSA_SD_jNS1_19radix_merge_compareILb1ELb0EsNS0_19identity_decomposerEEEEEvT0_T1_T2_T3_T4_SL_T5_.kd
    .uniform_work_group_size: 1
    .uses_dynamic_stack: false
    .vgpr_count:     10
    .vgpr_spill_count: 0
    .wavefront_size: 64
  - .args:
      - .address_space:  global
        .offset:         0
        .size:           8
        .value_kind:     global_buffer
      - .offset:         8
        .size:           8
        .value_kind:     by_value
      - .address_space:  global
        .offset:         16
        .size:           8
        .value_kind:     global_buffer
      - .offset:         24
        .size:           1
        .value_kind:     by_value
      - .offset:         32
        .size:           4
        .value_kind:     hidden_block_count_x
      - .offset:         36
        .size:           4
        .value_kind:     hidden_block_count_y
      - .offset:         40
        .size:           4
        .value_kind:     hidden_block_count_z
      - .offset:         44
        .size:           2
        .value_kind:     hidden_group_size_x
      - .offset:         46
        .size:           2
        .value_kind:     hidden_group_size_y
      - .offset:         48
        .size:           2
        .value_kind:     hidden_group_size_z
      - .offset:         50
        .size:           2
        .value_kind:     hidden_remainder_x
      - .offset:         52
        .size:           2
        .value_kind:     hidden_remainder_y
      - .offset:         54
        .size:           2
        .value_kind:     hidden_remainder_z
      - .offset:         72
        .size:           8
        .value_kind:     hidden_global_offset_x
      - .offset:         80
        .size:           8
        .value_kind:     hidden_global_offset_y
      - .offset:         88
        .size:           8
        .value_kind:     hidden_global_offset_z
      - .offset:         96
        .size:           2
        .value_kind:     hidden_grid_dims
    .group_segment_fixed_size: 0
    .kernarg_segment_align: 8
    .kernarg_segment_size: 288
    .language:       OpenCL C
    .language_version:
      - 2
      - 0
    .max_flat_workgroup_size: 512
    .name:           _ZN7rocprim17ROCPRIM_304000_NS6detail16transform_kernelINS1_24wrapped_transform_configINS0_14default_configEsEEsPsS6_NS0_8identityIsEEEEvT1_mT2_T3_
    .private_segment_fixed_size: 0
    .sgpr_count:     19
    .sgpr_spill_count: 0
    .symbol:         _ZN7rocprim17ROCPRIM_304000_NS6detail16transform_kernelINS1_24wrapped_transform_configINS0_14default_configEsEEsPsS6_NS0_8identityIsEEEEvT1_mT2_T3_.kd
    .uniform_work_group_size: 1
    .uses_dynamic_stack: false
    .vgpr_count:     8
    .vgpr_spill_count: 0
    .wavefront_size: 64
  - .args:
      - .address_space:  global
        .offset:         0
        .size:           8
        .value_kind:     global_buffer
      - .offset:         8
        .size:           4
        .value_kind:     by_value
      - .offset:         12
        .size:           4
        .value_kind:     by_value
      - .address_space:  global
        .offset:         16
        .size:           8
        .value_kind:     global_buffer
      - .offset:         24
        .size:           2
        .value_kind:     by_value
      - .offset:         28
        .size:           4
        .value_kind:     by_value
    .group_segment_fixed_size: 0
    .kernarg_segment_align: 8
    .kernarg_segment_size: 32
    .language:       OpenCL C
    .language_version:
      - 2
      - 0
    .max_flat_workgroup_size: 128
    .name:           _ZN7rocprim17ROCPRIM_304000_NS6detail45device_block_merge_mergepath_partition_kernelINS1_37wrapped_merge_sort_block_merge_configINS0_14default_configEsN2at4cuda3cub6detail10OpaqueTypeILi8EEEEEPsjNS1_19radix_merge_compareILb1ELb1EsNS0_19identity_decomposerEEEEEvT0_T1_jPSH_T2_SH_
    .private_segment_fixed_size: 0
    .sgpr_count:     12
    .sgpr_spill_count: 0
    .symbol:         _ZN7rocprim17ROCPRIM_304000_NS6detail45device_block_merge_mergepath_partition_kernelINS1_37wrapped_merge_sort_block_merge_configINS0_14default_configEsN2at4cuda3cub6detail10OpaqueTypeILi8EEEEEPsjNS1_19radix_merge_compareILb1ELb1EsNS0_19identity_decomposerEEEEEvT0_T1_jPSH_T2_SH_.kd
    .uniform_work_group_size: 1
    .uses_dynamic_stack: false
    .vgpr_count:     15
    .vgpr_spill_count: 0
    .wavefront_size: 64
  - .args:
      - .address_space:  global
        .offset:         0
        .size:           8
        .value_kind:     global_buffer
      - .address_space:  global
        .offset:         8
        .size:           8
        .value_kind:     global_buffer
      - .address_space:  global
        .offset:         16
        .size:           8
        .value_kind:     global_buffer
      - .address_space:  global
        .offset:         24
        .size:           8
        .value_kind:     global_buffer
      - .offset:         32
        .size:           4
        .value_kind:     by_value
      - .offset:         36
        .size:           4
        .value_kind:     by_value
      - .offset:         40
        .size:           4
        .value_kind:     by_value
      - .offset:         44
        .size:           2
        .value_kind:     by_value
      - .address_space:  global
        .offset:         48
        .size:           8
        .value_kind:     global_buffer
      - .address_space:  global
        .offset:         56
        .size:           8
        .value_kind:     global_buffer
      - .offset:         64
        .size:           4
        .value_kind:     hidden_block_count_x
      - .offset:         68
        .size:           4
        .value_kind:     hidden_block_count_y
      - .offset:         72
        .size:           4
        .value_kind:     hidden_block_count_z
      - .offset:         76
        .size:           2
        .value_kind:     hidden_group_size_x
      - .offset:         78
        .size:           2
        .value_kind:     hidden_group_size_y
      - .offset:         80
        .size:           2
        .value_kind:     hidden_group_size_z
      - .offset:         82
        .size:           2
        .value_kind:     hidden_remainder_x
      - .offset:         84
        .size:           2
        .value_kind:     hidden_remainder_y
      - .offset:         86
        .size:           2
        .value_kind:     hidden_remainder_z
      - .offset:         104
        .size:           8
        .value_kind:     hidden_global_offset_x
      - .offset:         112
        .size:           8
        .value_kind:     hidden_global_offset_y
      - .offset:         120
        .size:           8
        .value_kind:     hidden_global_offset_z
      - .offset:         128
        .size:           2
        .value_kind:     hidden_grid_dims
    .group_segment_fixed_size: 8208
    .kernarg_segment_align: 8
    .kernarg_segment_size: 320
    .language:       OpenCL C
    .language_version:
      - 2
      - 0
    .max_flat_workgroup_size: 128
    .name:           _ZN7rocprim17ROCPRIM_304000_NS6detail35device_block_merge_mergepath_kernelINS1_37wrapped_merge_sort_block_merge_configINS0_14default_configEsN2at4cuda3cub6detail10OpaqueTypeILi8EEEEEPsSC_PSA_SD_jNS1_19radix_merge_compareILb1ELb1EsNS0_19identity_decomposerEEEEEvT0_T1_T2_T3_T4_SL_jT5_PKSL_NS1_7vsmem_tE
    .private_segment_fixed_size: 0
    .sgpr_count:     39
    .sgpr_spill_count: 0
    .symbol:         _ZN7rocprim17ROCPRIM_304000_NS6detail35device_block_merge_mergepath_kernelINS1_37wrapped_merge_sort_block_merge_configINS0_14default_configEsN2at4cuda3cub6detail10OpaqueTypeILi8EEEEEPsSC_PSA_SD_jNS1_19radix_merge_compareILb1ELb1EsNS0_19identity_decomposerEEEEEvT0_T1_T2_T3_T4_SL_jT5_PKSL_NS1_7vsmem_tE.kd
    .uniform_work_group_size: 1
    .uses_dynamic_stack: false
    .vgpr_count:     34
    .vgpr_spill_count: 0
    .wavefront_size: 64
  - .args:
      - .address_space:  global
        .offset:         0
        .size:           8
        .value_kind:     global_buffer
      - .address_space:  global
        .offset:         8
        .size:           8
        .value_kind:     global_buffer
      - .address_space:  global
        .offset:         16
        .size:           8
        .value_kind:     global_buffer
      - .address_space:  global
        .offset:         24
        .size:           8
        .value_kind:     global_buffer
      - .offset:         32
        .size:           4
        .value_kind:     by_value
      - .offset:         36
        .size:           4
        .value_kind:     by_value
      - .offset:         40
        .size:           2
        .value_kind:     by_value
    .group_segment_fixed_size: 0
    .kernarg_segment_align: 8
    .kernarg_segment_size: 44
    .language:       OpenCL C
    .language_version:
      - 2
      - 0
    .max_flat_workgroup_size: 256
    .name:           _ZN7rocprim17ROCPRIM_304000_NS6detail33device_block_merge_oddeven_kernelINS1_37wrapped_merge_sort_block_merge_configINS0_14default_configEsN2at4cuda3cub6detail10OpaqueTypeILi8EEEEEPsSC_PSA_SD_jNS1_19radix_merge_compareILb1ELb1EsNS0_19identity_decomposerEEEEEvT0_T1_T2_T3_T4_SL_T5_
    .private_segment_fixed_size: 0
    .sgpr_count:     28
    .sgpr_spill_count: 0
    .symbol:         _ZN7rocprim17ROCPRIM_304000_NS6detail33device_block_merge_oddeven_kernelINS1_37wrapped_merge_sort_block_merge_configINS0_14default_configEsN2at4cuda3cub6detail10OpaqueTypeILi8EEEEEPsSC_PSA_SD_jNS1_19radix_merge_compareILb1ELb1EsNS0_19identity_decomposerEEEEEvT0_T1_T2_T3_T4_SL_T5_.kd
    .uniform_work_group_size: 1
    .uses_dynamic_stack: false
    .vgpr_count:     11
    .vgpr_spill_count: 0
    .wavefront_size: 64
  - .args:
      - .address_space:  global
        .offset:         0
        .size:           8
        .value_kind:     global_buffer
      - .address_space:  global
        .offset:         8
        .size:           8
        .value_kind:     global_buffer
      - .offset:         16
        .size:           8
        .value_kind:     by_value
      - .offset:         24
        .size:           8
        .value_kind:     by_value
      - .offset:         32
        .size:           1
        .value_kind:     by_value
      - .offset:         36
        .size:           4
        .value_kind:     by_value
      - .offset:         40
        .size:           4
        .value_kind:     by_value
    .group_segment_fixed_size: 8192
    .kernarg_segment_align: 8
    .kernarg_segment_size: 44
    .language:       OpenCL C
    .language_version:
      - 2
      - 0
    .max_flat_workgroup_size: 256
    .name:           _ZN7rocprim17ROCPRIM_304000_NS6detail26onesweep_histograms_kernelINS1_34wrapped_radix_sort_onesweep_configINS0_14default_configEsN2at4cuda3cub6detail10OpaqueTypeILi8EEEEELb1EPKsmNS0_19identity_decomposerEEEvT1_PT2_SG_SG_T3_jj
    .private_segment_fixed_size: 0
    .sgpr_count:     43
    .sgpr_spill_count: 0
    .symbol:         _ZN7rocprim17ROCPRIM_304000_NS6detail26onesweep_histograms_kernelINS1_34wrapped_radix_sort_onesweep_configINS0_14default_configEsN2at4cuda3cub6detail10OpaqueTypeILi8EEEEELb1EPKsmNS0_19identity_decomposerEEEvT1_PT2_SG_SG_T3_jj.kd
    .uniform_work_group_size: 1
    .uses_dynamic_stack: false
    .vgpr_count:     24
    .vgpr_spill_count: 0
    .wavefront_size: 64
  - .args:
      - .address_space:  global
        .offset:         0
        .size:           8
        .value_kind:     global_buffer
    .group_segment_fixed_size: 32
    .kernarg_segment_align: 8
    .kernarg_segment_size: 8
    .language:       OpenCL C
    .language_version:
      - 2
      - 0
    .max_flat_workgroup_size: 256
    .name:           _ZN7rocprim17ROCPRIM_304000_NS6detail31onesweep_scan_histograms_kernelINS1_34wrapped_radix_sort_onesweep_configINS0_14default_configEsN2at4cuda3cub6detail10OpaqueTypeILi8EEEEEmEEvPT0_
    .private_segment_fixed_size: 0
    .sgpr_count:     12
    .sgpr_spill_count: 0
    .symbol:         _ZN7rocprim17ROCPRIM_304000_NS6detail31onesweep_scan_histograms_kernelINS1_34wrapped_radix_sort_onesweep_configINS0_14default_configEsN2at4cuda3cub6detail10OpaqueTypeILi8EEEEEmEEvPT0_.kd
    .uniform_work_group_size: 1
    .uses_dynamic_stack: false
    .vgpr_count:     12
    .vgpr_spill_count: 0
    .wavefront_size: 64
  - .args:
      - .address_space:  global
        .offset:         0
        .size:           8
        .value_kind:     global_buffer
      - .offset:         8
        .size:           8
        .value_kind:     by_value
      - .address_space:  global
        .offset:         16
        .size:           8
        .value_kind:     global_buffer
      - .offset:         24
        .size:           1
        .value_kind:     by_value
      - .offset:         32
        .size:           4
        .value_kind:     hidden_block_count_x
      - .offset:         36
        .size:           4
        .value_kind:     hidden_block_count_y
      - .offset:         40
        .size:           4
        .value_kind:     hidden_block_count_z
      - .offset:         44
        .size:           2
        .value_kind:     hidden_group_size_x
      - .offset:         46
        .size:           2
        .value_kind:     hidden_group_size_y
      - .offset:         48
        .size:           2
        .value_kind:     hidden_group_size_z
      - .offset:         50
        .size:           2
        .value_kind:     hidden_remainder_x
      - .offset:         52
        .size:           2
        .value_kind:     hidden_remainder_y
      - .offset:         54
        .size:           2
        .value_kind:     hidden_remainder_z
      - .offset:         72
        .size:           8
        .value_kind:     hidden_global_offset_x
      - .offset:         80
        .size:           8
        .value_kind:     hidden_global_offset_y
      - .offset:         88
        .size:           8
        .value_kind:     hidden_global_offset_z
      - .offset:         96
        .size:           2
        .value_kind:     hidden_grid_dims
    .group_segment_fixed_size: 0
    .kernarg_segment_align: 8
    .kernarg_segment_size: 288
    .language:       OpenCL C
    .language_version:
      - 2
      - 0
    .max_flat_workgroup_size: 512
    .name:           _ZN7rocprim17ROCPRIM_304000_NS6detail16transform_kernelINS1_24wrapped_transform_configINS0_14default_configEsEEsPKsPsNS0_8identityIsEEEEvT1_mT2_T3_
    .private_segment_fixed_size: 0
    .sgpr_count:     19
    .sgpr_spill_count: 0
    .symbol:         _ZN7rocprim17ROCPRIM_304000_NS6detail16transform_kernelINS1_24wrapped_transform_configINS0_14default_configEsEEsPKsPsNS0_8identityIsEEEEvT1_mT2_T3_.kd
    .uniform_work_group_size: 1
    .uses_dynamic_stack: false
    .vgpr_count:     8
    .vgpr_spill_count: 0
    .wavefront_size: 64
  - .args:
      - .address_space:  global
        .offset:         0
        .size:           8
        .value_kind:     global_buffer
      - .address_space:  global
        .offset:         8
        .size:           8
        .value_kind:     global_buffer
      - .address_space:  global
        .offset:         16
        .size:           8
        .value_kind:     global_buffer
      - .address_space:  global
        .offset:         24
        .size:           8
        .value_kind:     global_buffer
      - .offset:         32
        .size:           4
        .value_kind:     by_value
      - .address_space:  global
        .offset:         40
        .size:           8
        .value_kind:     global_buffer
      - .address_space:  global
        .offset:         48
        .size:           8
        .value_kind:     global_buffer
      - .address_space:  global
        .offset:         56
        .size:           8
        .value_kind:     global_buffer
      - .offset:         64
        .size:           1
        .value_kind:     by_value
      - .offset:         68
        .size:           4
        .value_kind:     by_value
      - .offset:         72
        .size:           4
        .value_kind:     by_value
      - .offset:         76
        .size:           4
        .value_kind:     by_value
      - .offset:         80
        .size:           4
        .value_kind:     hidden_block_count_x
      - .offset:         84
        .size:           4
        .value_kind:     hidden_block_count_y
      - .offset:         88
        .size:           4
        .value_kind:     hidden_block_count_z
      - .offset:         92
        .size:           2
        .value_kind:     hidden_group_size_x
      - .offset:         94
        .size:           2
        .value_kind:     hidden_group_size_y
      - .offset:         96
        .size:           2
        .value_kind:     hidden_group_size_z
      - .offset:         98
        .size:           2
        .value_kind:     hidden_remainder_x
      - .offset:         100
        .size:           2
        .value_kind:     hidden_remainder_y
      - .offset:         102
        .size:           2
        .value_kind:     hidden_remainder_z
      - .offset:         120
        .size:           8
        .value_kind:     hidden_global_offset_x
      - .offset:         128
        .size:           8
        .value_kind:     hidden_global_offset_y
      - .offset:         136
        .size:           8
        .value_kind:     hidden_global_offset_z
      - .offset:         144
        .size:           2
        .value_kind:     hidden_grid_dims
    .group_segment_fixed_size: 26624
    .kernarg_segment_align: 8
    .kernarg_segment_size: 336
    .language:       OpenCL C
    .language_version:
      - 2
      - 0
    .max_flat_workgroup_size: 256
    .name:           _ZN7rocprim17ROCPRIM_304000_NS6detail25onesweep_iteration_kernelINS1_34wrapped_radix_sort_onesweep_configINS0_14default_configEsN2at4cuda3cub6detail10OpaqueTypeILi8EEEEELb1EPKsPsPKSA_PSA_mNS0_19identity_decomposerEEEvT1_T2_T3_T4_jPT5_SO_PNS1_23onesweep_lookback_stateET6_jjj
    .private_segment_fixed_size: 0
    .sgpr_count:     79
    .sgpr_spill_count: 0
    .symbol:         _ZN7rocprim17ROCPRIM_304000_NS6detail25onesweep_iteration_kernelINS1_34wrapped_radix_sort_onesweep_configINS0_14default_configEsN2at4cuda3cub6detail10OpaqueTypeILi8EEEEELb1EPKsPsPKSA_PSA_mNS0_19identity_decomposerEEEvT1_T2_T3_T4_jPT5_SO_PNS1_23onesweep_lookback_stateET6_jjj.kd
    .uniform_work_group_size: 1
    .uses_dynamic_stack: false
    .vgpr_count:     66
    .vgpr_spill_count: 0
    .wavefront_size: 64
  - .args:
      - .address_space:  global
        .offset:         0
        .size:           8
        .value_kind:     global_buffer
      - .address_space:  global
        .offset:         8
        .size:           8
        .value_kind:     global_buffer
      - .address_space:  global
        .offset:         16
        .size:           8
        .value_kind:     global_buffer
      - .address_space:  global
        .offset:         24
        .size:           8
        .value_kind:     global_buffer
      - .offset:         32
        .size:           4
        .value_kind:     by_value
      - .address_space:  global
        .offset:         40
        .size:           8
        .value_kind:     global_buffer
      - .address_space:  global
        .offset:         48
        .size:           8
        .value_kind:     global_buffer
      - .address_space:  global
        .offset:         56
        .size:           8
        .value_kind:     global_buffer
      - .offset:         64
        .size:           1
        .value_kind:     by_value
      - .offset:         68
        .size:           4
        .value_kind:     by_value
      - .offset:         72
        .size:           4
        .value_kind:     by_value
      - .offset:         76
        .size:           4
        .value_kind:     by_value
      - .offset:         80
        .size:           4
        .value_kind:     hidden_block_count_x
      - .offset:         84
        .size:           4
        .value_kind:     hidden_block_count_y
      - .offset:         88
        .size:           4
        .value_kind:     hidden_block_count_z
      - .offset:         92
        .size:           2
        .value_kind:     hidden_group_size_x
      - .offset:         94
        .size:           2
        .value_kind:     hidden_group_size_y
      - .offset:         96
        .size:           2
        .value_kind:     hidden_group_size_z
      - .offset:         98
        .size:           2
        .value_kind:     hidden_remainder_x
      - .offset:         100
        .size:           2
        .value_kind:     hidden_remainder_y
      - .offset:         102
        .size:           2
        .value_kind:     hidden_remainder_z
      - .offset:         120
        .size:           8
        .value_kind:     hidden_global_offset_x
      - .offset:         128
        .size:           8
        .value_kind:     hidden_global_offset_y
      - .offset:         136
        .size:           8
        .value_kind:     hidden_global_offset_z
      - .offset:         144
        .size:           2
        .value_kind:     hidden_grid_dims
    .group_segment_fixed_size: 26624
    .kernarg_segment_align: 8
    .kernarg_segment_size: 336
    .language:       OpenCL C
    .language_version:
      - 2
      - 0
    .max_flat_workgroup_size: 256
    .name:           _ZN7rocprim17ROCPRIM_304000_NS6detail25onesweep_iteration_kernelINS1_34wrapped_radix_sort_onesweep_configINS0_14default_configEsN2at4cuda3cub6detail10OpaqueTypeILi8EEEEELb1EPsSC_PSA_SD_mNS0_19identity_decomposerEEEvT1_T2_T3_T4_jPT5_SK_PNS1_23onesweep_lookback_stateET6_jjj
    .private_segment_fixed_size: 0
    .sgpr_count:     79
    .sgpr_spill_count: 0
    .symbol:         _ZN7rocprim17ROCPRIM_304000_NS6detail25onesweep_iteration_kernelINS1_34wrapped_radix_sort_onesweep_configINS0_14default_configEsN2at4cuda3cub6detail10OpaqueTypeILi8EEEEELb1EPsSC_PSA_SD_mNS0_19identity_decomposerEEEvT1_T2_T3_T4_jPT5_SK_PNS1_23onesweep_lookback_stateET6_jjj.kd
    .uniform_work_group_size: 1
    .uses_dynamic_stack: false
    .vgpr_count:     66
    .vgpr_spill_count: 0
    .wavefront_size: 64
  - .args:
      - .address_space:  global
        .offset:         0
        .size:           8
        .value_kind:     global_buffer
      - .address_space:  global
        .offset:         8
        .size:           8
        .value_kind:     global_buffer
      - .address_space:  global
        .offset:         16
        .size:           8
        .value_kind:     global_buffer
      - .address_space:  global
        .offset:         24
        .size:           8
        .value_kind:     global_buffer
      - .offset:         32
        .size:           4
        .value_kind:     by_value
      - .offset:         36
        .size:           1
        .value_kind:     by_value
      - .offset:         40
        .size:           4
        .value_kind:     by_value
      - .offset:         44
        .size:           4
        .value_kind:     by_value
      - .offset:         48
        .size:           4
        .value_kind:     hidden_block_count_x
      - .offset:         52
        .size:           4
        .value_kind:     hidden_block_count_y
      - .offset:         56
        .size:           4
        .value_kind:     hidden_block_count_z
      - .offset:         60
        .size:           2
        .value_kind:     hidden_group_size_x
      - .offset:         62
        .size:           2
        .value_kind:     hidden_group_size_y
      - .offset:         64
        .size:           2
        .value_kind:     hidden_group_size_z
      - .offset:         66
        .size:           2
        .value_kind:     hidden_remainder_x
      - .offset:         68
        .size:           2
        .value_kind:     hidden_remainder_y
      - .offset:         70
        .size:           2
        .value_kind:     hidden_remainder_z
      - .offset:         88
        .size:           8
        .value_kind:     hidden_global_offset_x
      - .offset:         96
        .size:           8
        .value_kind:     hidden_global_offset_y
      - .offset:         104
        .size:           8
        .value_kind:     hidden_global_offset_z
      - .offset:         112
        .size:           2
        .value_kind:     hidden_grid_dims
    .group_segment_fixed_size: 8192
    .kernarg_segment_align: 8
    .kernarg_segment_size: 304
    .language:       OpenCL C
    .language_version:
      - 2
      - 0
    .max_flat_workgroup_size: 256
    .name:           _ZN7rocprim17ROCPRIM_304000_NS6detail28radix_sort_block_sort_kernelINS1_36wrapped_radix_sort_block_sort_configINS0_13kernel_configILj256ELj4ELj4294967295EEEsN2at4cuda3cub6detail10OpaqueTypeILi8EEEEELb0EPKsPsPKSB_PSB_NS0_19identity_decomposerEEEvT1_T2_T3_T4_jT5_jj
    .private_segment_fixed_size: 0
    .sgpr_count:     52
    .sgpr_spill_count: 0
    .symbol:         _ZN7rocprim17ROCPRIM_304000_NS6detail28radix_sort_block_sort_kernelINS1_36wrapped_radix_sort_block_sort_configINS0_13kernel_configILj256ELj4ELj4294967295EEEsN2at4cuda3cub6detail10OpaqueTypeILi8EEEEELb0EPKsPsPKSB_PSB_NS0_19identity_decomposerEEEvT1_T2_T3_T4_jT5_jj.kd
    .uniform_work_group_size: 1
    .uses_dynamic_stack: false
    .vgpr_count:     52
    .vgpr_spill_count: 0
    .wavefront_size: 64
  - .args:
      - .address_space:  global
        .offset:         0
        .size:           8
        .value_kind:     global_buffer
      - .offset:         8
        .size:           4
        .value_kind:     by_value
      - .offset:         12
        .size:           4
        .value_kind:     by_value
      - .address_space:  global
        .offset:         16
        .size:           8
        .value_kind:     global_buffer
      - .offset:         24
        .size:           1
        .value_kind:     by_value
      - .offset:         28
        .size:           4
        .value_kind:     by_value
    .group_segment_fixed_size: 0
    .kernarg_segment_align: 8
    .kernarg_segment_size: 32
    .language:       OpenCL C
    .language_version:
      - 2
      - 0
    .max_flat_workgroup_size: 128
    .name:           _ZN7rocprim17ROCPRIM_304000_NS6detail45device_block_merge_mergepath_partition_kernelINS1_37wrapped_merge_sort_block_merge_configINS0_14default_configEsN2at4cuda3cub6detail10OpaqueTypeILi8EEEEEPsjNS1_19radix_merge_compareILb0ELb0EsNS0_19identity_decomposerEEEEEvT0_T1_jPSH_T2_SH_
    .private_segment_fixed_size: 0
    .sgpr_count:     11
    .sgpr_spill_count: 0
    .symbol:         _ZN7rocprim17ROCPRIM_304000_NS6detail45device_block_merge_mergepath_partition_kernelINS1_37wrapped_merge_sort_block_merge_configINS0_14default_configEsN2at4cuda3cub6detail10OpaqueTypeILi8EEEEEPsjNS1_19radix_merge_compareILb0ELb0EsNS0_19identity_decomposerEEEEEvT0_T1_jPSH_T2_SH_.kd
    .uniform_work_group_size: 1
    .uses_dynamic_stack: false
    .vgpr_count:     15
    .vgpr_spill_count: 0
    .wavefront_size: 64
  - .args:
      - .address_space:  global
        .offset:         0
        .size:           8
        .value_kind:     global_buffer
      - .address_space:  global
        .offset:         8
        .size:           8
        .value_kind:     global_buffer
      - .address_space:  global
        .offset:         16
        .size:           8
        .value_kind:     global_buffer
      - .address_space:  global
        .offset:         24
        .size:           8
        .value_kind:     global_buffer
      - .offset:         32
        .size:           4
        .value_kind:     by_value
      - .offset:         36
        .size:           4
        .value_kind:     by_value
      - .offset:         40
        .size:           4
        .value_kind:     by_value
      - .offset:         44
        .size:           1
        .value_kind:     by_value
      - .address_space:  global
        .offset:         48
        .size:           8
        .value_kind:     global_buffer
      - .address_space:  global
        .offset:         56
        .size:           8
        .value_kind:     global_buffer
      - .offset:         64
        .size:           4
        .value_kind:     hidden_block_count_x
      - .offset:         68
        .size:           4
        .value_kind:     hidden_block_count_y
      - .offset:         72
        .size:           4
        .value_kind:     hidden_block_count_z
      - .offset:         76
        .size:           2
        .value_kind:     hidden_group_size_x
      - .offset:         78
        .size:           2
        .value_kind:     hidden_group_size_y
      - .offset:         80
        .size:           2
        .value_kind:     hidden_group_size_z
      - .offset:         82
        .size:           2
        .value_kind:     hidden_remainder_x
      - .offset:         84
        .size:           2
        .value_kind:     hidden_remainder_y
      - .offset:         86
        .size:           2
        .value_kind:     hidden_remainder_z
      - .offset:         104
        .size:           8
        .value_kind:     hidden_global_offset_x
      - .offset:         112
        .size:           8
        .value_kind:     hidden_global_offset_y
      - .offset:         120
        .size:           8
        .value_kind:     hidden_global_offset_z
      - .offset:         128
        .size:           2
        .value_kind:     hidden_grid_dims
    .group_segment_fixed_size: 8208
    .kernarg_segment_align: 8
    .kernarg_segment_size: 320
    .language:       OpenCL C
    .language_version:
      - 2
      - 0
    .max_flat_workgroup_size: 128
    .name:           _ZN7rocprim17ROCPRIM_304000_NS6detail35device_block_merge_mergepath_kernelINS1_37wrapped_merge_sort_block_merge_configINS0_14default_configEsN2at4cuda3cub6detail10OpaqueTypeILi8EEEEEPsSC_PSA_SD_jNS1_19radix_merge_compareILb0ELb0EsNS0_19identity_decomposerEEEEEvT0_T1_T2_T3_T4_SL_jT5_PKSL_NS1_7vsmem_tE
    .private_segment_fixed_size: 0
    .sgpr_count:     38
    .sgpr_spill_count: 0
    .symbol:         _ZN7rocprim17ROCPRIM_304000_NS6detail35device_block_merge_mergepath_kernelINS1_37wrapped_merge_sort_block_merge_configINS0_14default_configEsN2at4cuda3cub6detail10OpaqueTypeILi8EEEEEPsSC_PSA_SD_jNS1_19radix_merge_compareILb0ELb0EsNS0_19identity_decomposerEEEEEvT0_T1_T2_T3_T4_SL_jT5_PKSL_NS1_7vsmem_tE.kd
    .uniform_work_group_size: 1
    .uses_dynamic_stack: false
    .vgpr_count:     34
    .vgpr_spill_count: 0
    .wavefront_size: 64
  - .args:
      - .address_space:  global
        .offset:         0
        .size:           8
        .value_kind:     global_buffer
      - .address_space:  global
        .offset:         8
        .size:           8
        .value_kind:     global_buffer
      - .address_space:  global
        .offset:         16
        .size:           8
        .value_kind:     global_buffer
      - .address_space:  global
        .offset:         24
        .size:           8
        .value_kind:     global_buffer
      - .offset:         32
        .size:           4
        .value_kind:     by_value
      - .offset:         36
        .size:           4
        .value_kind:     by_value
      - .offset:         40
        .size:           1
        .value_kind:     by_value
    .group_segment_fixed_size: 0
    .kernarg_segment_align: 8
    .kernarg_segment_size: 44
    .language:       OpenCL C
    .language_version:
      - 2
      - 0
    .max_flat_workgroup_size: 256
    .name:           _ZN7rocprim17ROCPRIM_304000_NS6detail33device_block_merge_oddeven_kernelINS1_37wrapped_merge_sort_block_merge_configINS0_14default_configEsN2at4cuda3cub6detail10OpaqueTypeILi8EEEEEPsSC_PSA_SD_jNS1_19radix_merge_compareILb0ELb0EsNS0_19identity_decomposerEEEEEvT0_T1_T2_T3_T4_SL_T5_
    .private_segment_fixed_size: 0
    .sgpr_count:     26
    .sgpr_spill_count: 0
    .symbol:         _ZN7rocprim17ROCPRIM_304000_NS6detail33device_block_merge_oddeven_kernelINS1_37wrapped_merge_sort_block_merge_configINS0_14default_configEsN2at4cuda3cub6detail10OpaqueTypeILi8EEEEEPsSC_PSA_SD_jNS1_19radix_merge_compareILb0ELb0EsNS0_19identity_decomposerEEEEEvT0_T1_T2_T3_T4_SL_T5_.kd
    .uniform_work_group_size: 1
    .uses_dynamic_stack: false
    .vgpr_count:     10
    .vgpr_spill_count: 0
    .wavefront_size: 64
  - .args:
      - .address_space:  global
        .offset:         0
        .size:           8
        .value_kind:     global_buffer
      - .offset:         8
        .size:           4
        .value_kind:     by_value
      - .offset:         12
        .size:           4
        .value_kind:     by_value
      - .address_space:  global
        .offset:         16
        .size:           8
        .value_kind:     global_buffer
      - .offset:         24
        .size:           2
        .value_kind:     by_value
      - .offset:         28
        .size:           4
        .value_kind:     by_value
    .group_segment_fixed_size: 0
    .kernarg_segment_align: 8
    .kernarg_segment_size: 32
    .language:       OpenCL C
    .language_version:
      - 2
      - 0
    .max_flat_workgroup_size: 128
    .name:           _ZN7rocprim17ROCPRIM_304000_NS6detail45device_block_merge_mergepath_partition_kernelINS1_37wrapped_merge_sort_block_merge_configINS0_14default_configEsN2at4cuda3cub6detail10OpaqueTypeILi8EEEEEPsjNS1_19radix_merge_compareILb0ELb1EsNS0_19identity_decomposerEEEEEvT0_T1_jPSH_T2_SH_
    .private_segment_fixed_size: 0
    .sgpr_count:     12
    .sgpr_spill_count: 0
    .symbol:         _ZN7rocprim17ROCPRIM_304000_NS6detail45device_block_merge_mergepath_partition_kernelINS1_37wrapped_merge_sort_block_merge_configINS0_14default_configEsN2at4cuda3cub6detail10OpaqueTypeILi8EEEEEPsjNS1_19radix_merge_compareILb0ELb1EsNS0_19identity_decomposerEEEEEvT0_T1_jPSH_T2_SH_.kd
    .uniform_work_group_size: 1
    .uses_dynamic_stack: false
    .vgpr_count:     15
    .vgpr_spill_count: 0
    .wavefront_size: 64
  - .args:
      - .address_space:  global
        .offset:         0
        .size:           8
        .value_kind:     global_buffer
      - .address_space:  global
        .offset:         8
        .size:           8
        .value_kind:     global_buffer
      - .address_space:  global
        .offset:         16
        .size:           8
        .value_kind:     global_buffer
      - .address_space:  global
        .offset:         24
        .size:           8
        .value_kind:     global_buffer
      - .offset:         32
        .size:           4
        .value_kind:     by_value
      - .offset:         36
        .size:           4
        .value_kind:     by_value
      - .offset:         40
        .size:           4
        .value_kind:     by_value
      - .offset:         44
        .size:           2
        .value_kind:     by_value
      - .address_space:  global
        .offset:         48
        .size:           8
        .value_kind:     global_buffer
      - .address_space:  global
        .offset:         56
        .size:           8
        .value_kind:     global_buffer
      - .offset:         64
        .size:           4
        .value_kind:     hidden_block_count_x
      - .offset:         68
        .size:           4
        .value_kind:     hidden_block_count_y
      - .offset:         72
        .size:           4
        .value_kind:     hidden_block_count_z
      - .offset:         76
        .size:           2
        .value_kind:     hidden_group_size_x
      - .offset:         78
        .size:           2
        .value_kind:     hidden_group_size_y
      - .offset:         80
        .size:           2
        .value_kind:     hidden_group_size_z
      - .offset:         82
        .size:           2
        .value_kind:     hidden_remainder_x
      - .offset:         84
        .size:           2
        .value_kind:     hidden_remainder_y
      - .offset:         86
        .size:           2
        .value_kind:     hidden_remainder_z
      - .offset:         104
        .size:           8
        .value_kind:     hidden_global_offset_x
      - .offset:         112
        .size:           8
        .value_kind:     hidden_global_offset_y
      - .offset:         120
        .size:           8
        .value_kind:     hidden_global_offset_z
      - .offset:         128
        .size:           2
        .value_kind:     hidden_grid_dims
    .group_segment_fixed_size: 8208
    .kernarg_segment_align: 8
    .kernarg_segment_size: 320
    .language:       OpenCL C
    .language_version:
      - 2
      - 0
    .max_flat_workgroup_size: 128
    .name:           _ZN7rocprim17ROCPRIM_304000_NS6detail35device_block_merge_mergepath_kernelINS1_37wrapped_merge_sort_block_merge_configINS0_14default_configEsN2at4cuda3cub6detail10OpaqueTypeILi8EEEEEPsSC_PSA_SD_jNS1_19radix_merge_compareILb0ELb1EsNS0_19identity_decomposerEEEEEvT0_T1_T2_T3_T4_SL_jT5_PKSL_NS1_7vsmem_tE
    .private_segment_fixed_size: 0
    .sgpr_count:     39
    .sgpr_spill_count: 0
    .symbol:         _ZN7rocprim17ROCPRIM_304000_NS6detail35device_block_merge_mergepath_kernelINS1_37wrapped_merge_sort_block_merge_configINS0_14default_configEsN2at4cuda3cub6detail10OpaqueTypeILi8EEEEEPsSC_PSA_SD_jNS1_19radix_merge_compareILb0ELb1EsNS0_19identity_decomposerEEEEEvT0_T1_T2_T3_T4_SL_jT5_PKSL_NS1_7vsmem_tE.kd
    .uniform_work_group_size: 1
    .uses_dynamic_stack: false
    .vgpr_count:     34
    .vgpr_spill_count: 0
    .wavefront_size: 64
  - .args:
      - .address_space:  global
        .offset:         0
        .size:           8
        .value_kind:     global_buffer
      - .address_space:  global
        .offset:         8
        .size:           8
        .value_kind:     global_buffer
      - .address_space:  global
        .offset:         16
        .size:           8
        .value_kind:     global_buffer
      - .address_space:  global
        .offset:         24
        .size:           8
        .value_kind:     global_buffer
      - .offset:         32
        .size:           4
        .value_kind:     by_value
      - .offset:         36
        .size:           4
        .value_kind:     by_value
      - .offset:         40
        .size:           2
        .value_kind:     by_value
    .group_segment_fixed_size: 0
    .kernarg_segment_align: 8
    .kernarg_segment_size: 44
    .language:       OpenCL C
    .language_version:
      - 2
      - 0
    .max_flat_workgroup_size: 256
    .name:           _ZN7rocprim17ROCPRIM_304000_NS6detail33device_block_merge_oddeven_kernelINS1_37wrapped_merge_sort_block_merge_configINS0_14default_configEsN2at4cuda3cub6detail10OpaqueTypeILi8EEEEEPsSC_PSA_SD_jNS1_19radix_merge_compareILb0ELb1EsNS0_19identity_decomposerEEEEEvT0_T1_T2_T3_T4_SL_T5_
    .private_segment_fixed_size: 0
    .sgpr_count:     28
    .sgpr_spill_count: 0
    .symbol:         _ZN7rocprim17ROCPRIM_304000_NS6detail33device_block_merge_oddeven_kernelINS1_37wrapped_merge_sort_block_merge_configINS0_14default_configEsN2at4cuda3cub6detail10OpaqueTypeILi8EEEEEPsSC_PSA_SD_jNS1_19radix_merge_compareILb0ELb1EsNS0_19identity_decomposerEEEEEvT0_T1_T2_T3_T4_SL_T5_.kd
    .uniform_work_group_size: 1
    .uses_dynamic_stack: false
    .vgpr_count:     11
    .vgpr_spill_count: 0
    .wavefront_size: 64
  - .args:
      - .address_space:  global
        .offset:         0
        .size:           8
        .value_kind:     global_buffer
      - .address_space:  global
        .offset:         8
        .size:           8
        .value_kind:     global_buffer
      - .offset:         16
        .size:           8
        .value_kind:     by_value
      - .offset:         24
        .size:           8
        .value_kind:     by_value
      - .offset:         32
        .size:           1
        .value_kind:     by_value
      - .offset:         36
        .size:           4
        .value_kind:     by_value
      - .offset:         40
        .size:           4
        .value_kind:     by_value
    .group_segment_fixed_size: 8192
    .kernarg_segment_align: 8
    .kernarg_segment_size: 44
    .language:       OpenCL C
    .language_version:
      - 2
      - 0
    .max_flat_workgroup_size: 256
    .name:           _ZN7rocprim17ROCPRIM_304000_NS6detail26onesweep_histograms_kernelINS1_34wrapped_radix_sort_onesweep_configINS0_14default_configEsN2at4cuda3cub6detail10OpaqueTypeILi8EEEEELb0EPKsmNS0_19identity_decomposerEEEvT1_PT2_SG_SG_T3_jj
    .private_segment_fixed_size: 0
    .sgpr_count:     43
    .sgpr_spill_count: 0
    .symbol:         _ZN7rocprim17ROCPRIM_304000_NS6detail26onesweep_histograms_kernelINS1_34wrapped_radix_sort_onesweep_configINS0_14default_configEsN2at4cuda3cub6detail10OpaqueTypeILi8EEEEELb0EPKsmNS0_19identity_decomposerEEEvT1_PT2_SG_SG_T3_jj.kd
    .uniform_work_group_size: 1
    .uses_dynamic_stack: false
    .vgpr_count:     24
    .vgpr_spill_count: 0
    .wavefront_size: 64
  - .args:
      - .address_space:  global
        .offset:         0
        .size:           8
        .value_kind:     global_buffer
      - .address_space:  global
        .offset:         8
        .size:           8
        .value_kind:     global_buffer
      - .address_space:  global
        .offset:         16
        .size:           8
        .value_kind:     global_buffer
      - .address_space:  global
        .offset:         24
        .size:           8
        .value_kind:     global_buffer
      - .offset:         32
        .size:           4
        .value_kind:     by_value
      - .address_space:  global
        .offset:         40
        .size:           8
        .value_kind:     global_buffer
      - .address_space:  global
        .offset:         48
        .size:           8
        .value_kind:     global_buffer
      - .address_space:  global
        .offset:         56
        .size:           8
        .value_kind:     global_buffer
      - .offset:         64
        .size:           1
        .value_kind:     by_value
      - .offset:         68
        .size:           4
        .value_kind:     by_value
      - .offset:         72
        .size:           4
        .value_kind:     by_value
      - .offset:         76
        .size:           4
        .value_kind:     by_value
      - .offset:         80
        .size:           4
        .value_kind:     hidden_block_count_x
      - .offset:         84
        .size:           4
        .value_kind:     hidden_block_count_y
      - .offset:         88
        .size:           4
        .value_kind:     hidden_block_count_z
      - .offset:         92
        .size:           2
        .value_kind:     hidden_group_size_x
      - .offset:         94
        .size:           2
        .value_kind:     hidden_group_size_y
      - .offset:         96
        .size:           2
        .value_kind:     hidden_group_size_z
      - .offset:         98
        .size:           2
        .value_kind:     hidden_remainder_x
      - .offset:         100
        .size:           2
        .value_kind:     hidden_remainder_y
      - .offset:         102
        .size:           2
        .value_kind:     hidden_remainder_z
      - .offset:         120
        .size:           8
        .value_kind:     hidden_global_offset_x
      - .offset:         128
        .size:           8
        .value_kind:     hidden_global_offset_y
      - .offset:         136
        .size:           8
        .value_kind:     hidden_global_offset_z
      - .offset:         144
        .size:           2
        .value_kind:     hidden_grid_dims
    .group_segment_fixed_size: 26624
    .kernarg_segment_align: 8
    .kernarg_segment_size: 336
    .language:       OpenCL C
    .language_version:
      - 2
      - 0
    .max_flat_workgroup_size: 256
    .name:           _ZN7rocprim17ROCPRIM_304000_NS6detail25onesweep_iteration_kernelINS1_34wrapped_radix_sort_onesweep_configINS0_14default_configEsN2at4cuda3cub6detail10OpaqueTypeILi8EEEEELb0EPKsPsPKSA_PSA_mNS0_19identity_decomposerEEEvT1_T2_T3_T4_jPT5_SO_PNS1_23onesweep_lookback_stateET6_jjj
    .private_segment_fixed_size: 0
    .sgpr_count:     79
    .sgpr_spill_count: 0
    .symbol:         _ZN7rocprim17ROCPRIM_304000_NS6detail25onesweep_iteration_kernelINS1_34wrapped_radix_sort_onesweep_configINS0_14default_configEsN2at4cuda3cub6detail10OpaqueTypeILi8EEEEELb0EPKsPsPKSA_PSA_mNS0_19identity_decomposerEEEvT1_T2_T3_T4_jPT5_SO_PNS1_23onesweep_lookback_stateET6_jjj.kd
    .uniform_work_group_size: 1
    .uses_dynamic_stack: false
    .vgpr_count:     66
    .vgpr_spill_count: 0
    .wavefront_size: 64
  - .args:
      - .address_space:  global
        .offset:         0
        .size:           8
        .value_kind:     global_buffer
      - .address_space:  global
        .offset:         8
        .size:           8
        .value_kind:     global_buffer
      - .address_space:  global
        .offset:         16
        .size:           8
        .value_kind:     global_buffer
      - .address_space:  global
        .offset:         24
        .size:           8
        .value_kind:     global_buffer
      - .offset:         32
        .size:           4
        .value_kind:     by_value
      - .address_space:  global
        .offset:         40
        .size:           8
        .value_kind:     global_buffer
      - .address_space:  global
        .offset:         48
        .size:           8
        .value_kind:     global_buffer
      - .address_space:  global
        .offset:         56
        .size:           8
        .value_kind:     global_buffer
      - .offset:         64
        .size:           1
        .value_kind:     by_value
      - .offset:         68
        .size:           4
        .value_kind:     by_value
      - .offset:         72
        .size:           4
        .value_kind:     by_value
      - .offset:         76
        .size:           4
        .value_kind:     by_value
      - .offset:         80
        .size:           4
        .value_kind:     hidden_block_count_x
      - .offset:         84
        .size:           4
        .value_kind:     hidden_block_count_y
      - .offset:         88
        .size:           4
        .value_kind:     hidden_block_count_z
      - .offset:         92
        .size:           2
        .value_kind:     hidden_group_size_x
      - .offset:         94
        .size:           2
        .value_kind:     hidden_group_size_y
      - .offset:         96
        .size:           2
        .value_kind:     hidden_group_size_z
      - .offset:         98
        .size:           2
        .value_kind:     hidden_remainder_x
      - .offset:         100
        .size:           2
        .value_kind:     hidden_remainder_y
      - .offset:         102
        .size:           2
        .value_kind:     hidden_remainder_z
      - .offset:         120
        .size:           8
        .value_kind:     hidden_global_offset_x
      - .offset:         128
        .size:           8
        .value_kind:     hidden_global_offset_y
      - .offset:         136
        .size:           8
        .value_kind:     hidden_global_offset_z
      - .offset:         144
        .size:           2
        .value_kind:     hidden_grid_dims
    .group_segment_fixed_size: 26624
    .kernarg_segment_align: 8
    .kernarg_segment_size: 336
    .language:       OpenCL C
    .language_version:
      - 2
      - 0
    .max_flat_workgroup_size: 256
    .name:           _ZN7rocprim17ROCPRIM_304000_NS6detail25onesweep_iteration_kernelINS1_34wrapped_radix_sort_onesweep_configINS0_14default_configEsN2at4cuda3cub6detail10OpaqueTypeILi8EEEEELb0EPsSC_PSA_SD_mNS0_19identity_decomposerEEEvT1_T2_T3_T4_jPT5_SK_PNS1_23onesweep_lookback_stateET6_jjj
    .private_segment_fixed_size: 0
    .sgpr_count:     79
    .sgpr_spill_count: 0
    .symbol:         _ZN7rocprim17ROCPRIM_304000_NS6detail25onesweep_iteration_kernelINS1_34wrapped_radix_sort_onesweep_configINS0_14default_configEsN2at4cuda3cub6detail10OpaqueTypeILi8EEEEELb0EPsSC_PSA_SD_mNS0_19identity_decomposerEEEvT1_T2_T3_T4_jPT5_SK_PNS1_23onesweep_lookback_stateET6_jjj.kd
    .uniform_work_group_size: 1
    .uses_dynamic_stack: false
    .vgpr_count:     66
    .vgpr_spill_count: 0
    .wavefront_size: 64
  - .args:
      - .address_space:  global
        .offset:         0
        .size:           8
        .value_kind:     global_buffer
      - .address_space:  global
        .offset:         8
        .size:           8
        .value_kind:     global_buffer
      - .address_space:  global
        .offset:         16
        .size:           8
        .value_kind:     global_buffer
      - .address_space:  global
        .offset:         24
        .size:           8
        .value_kind:     global_buffer
      - .offset:         32
        .size:           4
        .value_kind:     by_value
      - .offset:         36
        .size:           1
        .value_kind:     by_value
      - .offset:         40
        .size:           4
        .value_kind:     by_value
      - .offset:         44
        .size:           4
        .value_kind:     by_value
      - .offset:         48
        .size:           4
        .value_kind:     hidden_block_count_x
      - .offset:         52
        .size:           4
        .value_kind:     hidden_block_count_y
      - .offset:         56
        .size:           4
        .value_kind:     hidden_block_count_z
      - .offset:         60
        .size:           2
        .value_kind:     hidden_group_size_x
      - .offset:         62
        .size:           2
        .value_kind:     hidden_group_size_y
      - .offset:         64
        .size:           2
        .value_kind:     hidden_group_size_z
      - .offset:         66
        .size:           2
        .value_kind:     hidden_remainder_x
      - .offset:         68
        .size:           2
        .value_kind:     hidden_remainder_y
      - .offset:         70
        .size:           2
        .value_kind:     hidden_remainder_z
      - .offset:         88
        .size:           8
        .value_kind:     hidden_global_offset_x
      - .offset:         96
        .size:           8
        .value_kind:     hidden_global_offset_y
      - .offset:         104
        .size:           8
        .value_kind:     hidden_global_offset_z
      - .offset:         112
        .size:           2
        .value_kind:     hidden_grid_dims
    .group_segment_fixed_size: 8192
    .kernarg_segment_align: 8
    .kernarg_segment_size: 304
    .language:       OpenCL C
    .language_version:
      - 2
      - 0
    .max_flat_workgroup_size: 256
    .name:           _ZN7rocprim17ROCPRIM_304000_NS6detail28radix_sort_block_sort_kernelINS1_36wrapped_radix_sort_block_sort_configINS0_13kernel_configILj256ELj4ELj4294967295EEEiN2at4cuda3cub6detail10OpaqueTypeILi8EEEEELb1EPKiPiPKSB_PSB_NS0_19identity_decomposerEEEvT1_T2_T3_T4_jT5_jj
    .private_segment_fixed_size: 0
    .sgpr_count:     50
    .sgpr_spill_count: 0
    .symbol:         _ZN7rocprim17ROCPRIM_304000_NS6detail28radix_sort_block_sort_kernelINS1_36wrapped_radix_sort_block_sort_configINS0_13kernel_configILj256ELj4ELj4294967295EEEiN2at4cuda3cub6detail10OpaqueTypeILi8EEEEELb1EPKiPiPKSB_PSB_NS0_19identity_decomposerEEEvT1_T2_T3_T4_jT5_jj.kd
    .uniform_work_group_size: 1
    .uses_dynamic_stack: false
    .vgpr_count:     53
    .vgpr_spill_count: 0
    .wavefront_size: 64
  - .args:           []
    .group_segment_fixed_size: 0
    .kernarg_segment_align: 4
    .kernarg_segment_size: 0
    .language:       OpenCL C
    .language_version:
      - 2
      - 0
    .max_flat_workgroup_size: 1024
    .name:           _ZN7rocprim17ROCPRIM_304000_NS6detail39device_merge_sort_compile_time_verifierINS1_36wrapped_merge_sort_block_sort_configINS1_28merge_sort_block_sort_configILj256ELj4ELNS0_20block_sort_algorithmE0EEEiN2at4cuda3cub6detail10OpaqueTypeILi8EEEEENS1_37wrapped_merge_sort_block_merge_configINS0_14default_configEiSC_EEEEvv
    .private_segment_fixed_size: 0
    .sgpr_count:     4
    .sgpr_spill_count: 0
    .symbol:         _ZN7rocprim17ROCPRIM_304000_NS6detail39device_merge_sort_compile_time_verifierINS1_36wrapped_merge_sort_block_sort_configINS1_28merge_sort_block_sort_configILj256ELj4ELNS0_20block_sort_algorithmE0EEEiN2at4cuda3cub6detail10OpaqueTypeILi8EEEEENS1_37wrapped_merge_sort_block_merge_configINS0_14default_configEiSC_EEEEvv.kd
    .uniform_work_group_size: 1
    .uses_dynamic_stack: false
    .vgpr_count:     0
    .vgpr_spill_count: 0
    .wavefront_size: 64
  - .args:
      - .address_space:  global
        .offset:         0
        .size:           8
        .value_kind:     global_buffer
      - .offset:         8
        .size:           4
        .value_kind:     by_value
      - .offset:         12
        .size:           4
        .value_kind:     by_value
      - .address_space:  global
        .offset:         16
        .size:           8
        .value_kind:     global_buffer
      - .offset:         24
        .size:           1
        .value_kind:     by_value
      - .offset:         28
        .size:           4
        .value_kind:     by_value
    .group_segment_fixed_size: 0
    .kernarg_segment_align: 8
    .kernarg_segment_size: 32
    .language:       OpenCL C
    .language_version:
      - 2
      - 0
    .max_flat_workgroup_size: 128
    .name:           _ZN7rocprim17ROCPRIM_304000_NS6detail45device_block_merge_mergepath_partition_kernelINS1_37wrapped_merge_sort_block_merge_configINS0_14default_configEiN2at4cuda3cub6detail10OpaqueTypeILi8EEEEEPijNS1_19radix_merge_compareILb1ELb0EiNS0_19identity_decomposerEEEEEvT0_T1_jPSH_T2_SH_
    .private_segment_fixed_size: 0
    .sgpr_count:     11
    .sgpr_spill_count: 0
    .symbol:         _ZN7rocprim17ROCPRIM_304000_NS6detail45device_block_merge_mergepath_partition_kernelINS1_37wrapped_merge_sort_block_merge_configINS0_14default_configEiN2at4cuda3cub6detail10OpaqueTypeILi8EEEEEPijNS1_19radix_merge_compareILb1ELb0EiNS0_19identity_decomposerEEEEEvT0_T1_jPSH_T2_SH_.kd
    .uniform_work_group_size: 1
    .uses_dynamic_stack: false
    .vgpr_count:     17
    .vgpr_spill_count: 0
    .wavefront_size: 64
  - .args:
      - .address_space:  global
        .offset:         0
        .size:           8
        .value_kind:     global_buffer
      - .address_space:  global
        .offset:         8
        .size:           8
        .value_kind:     global_buffer
      - .address_space:  global
        .offset:         16
        .size:           8
        .value_kind:     global_buffer
      - .address_space:  global
        .offset:         24
        .size:           8
        .value_kind:     global_buffer
      - .offset:         32
        .size:           4
        .value_kind:     by_value
      - .offset:         36
        .size:           4
        .value_kind:     by_value
      - .offset:         40
        .size:           4
        .value_kind:     by_value
      - .offset:         44
        .size:           1
        .value_kind:     by_value
      - .address_space:  global
        .offset:         48
        .size:           8
        .value_kind:     global_buffer
      - .address_space:  global
        .offset:         56
        .size:           8
        .value_kind:     global_buffer
      - .offset:         64
        .size:           4
        .value_kind:     hidden_block_count_x
      - .offset:         68
        .size:           4
        .value_kind:     hidden_block_count_y
      - .offset:         72
        .size:           4
        .value_kind:     hidden_block_count_z
      - .offset:         76
        .size:           2
        .value_kind:     hidden_group_size_x
      - .offset:         78
        .size:           2
        .value_kind:     hidden_group_size_y
      - .offset:         80
        .size:           2
        .value_kind:     hidden_group_size_z
      - .offset:         82
        .size:           2
        .value_kind:     hidden_remainder_x
      - .offset:         84
        .size:           2
        .value_kind:     hidden_remainder_y
      - .offset:         86
        .size:           2
        .value_kind:     hidden_remainder_z
      - .offset:         104
        .size:           8
        .value_kind:     hidden_global_offset_x
      - .offset:         112
        .size:           8
        .value_kind:     hidden_global_offset_y
      - .offset:         120
        .size:           8
        .value_kind:     hidden_global_offset_z
      - .offset:         128
        .size:           2
        .value_kind:     hidden_grid_dims
    .group_segment_fixed_size: 4112
    .kernarg_segment_align: 8
    .kernarg_segment_size: 320
    .language:       OpenCL C
    .language_version:
      - 2
      - 0
    .max_flat_workgroup_size: 128
    .name:           _ZN7rocprim17ROCPRIM_304000_NS6detail35device_block_merge_mergepath_kernelINS1_37wrapped_merge_sort_block_merge_configINS0_14default_configEiN2at4cuda3cub6detail10OpaqueTypeILi8EEEEEPiSC_PSA_SD_jNS1_19radix_merge_compareILb1ELb0EiNS0_19identity_decomposerEEEEEvT0_T1_T2_T3_T4_SL_jT5_PKSL_NS1_7vsmem_tE
    .private_segment_fixed_size: 0
    .sgpr_count:     36
    .sgpr_spill_count: 0
    .symbol:         _ZN7rocprim17ROCPRIM_304000_NS6detail35device_block_merge_mergepath_kernelINS1_37wrapped_merge_sort_block_merge_configINS0_14default_configEiN2at4cuda3cub6detail10OpaqueTypeILi8EEEEEPiSC_PSA_SD_jNS1_19radix_merge_compareILb1ELb0EiNS0_19identity_decomposerEEEEEvT0_T1_T2_T3_T4_SL_jT5_PKSL_NS1_7vsmem_tE.kd
    .uniform_work_group_size: 1
    .uses_dynamic_stack: false
    .vgpr_count:     24
    .vgpr_spill_count: 0
    .wavefront_size: 64
  - .args:
      - .address_space:  global
        .offset:         0
        .size:           8
        .value_kind:     global_buffer
      - .address_space:  global
        .offset:         8
        .size:           8
        .value_kind:     global_buffer
      - .address_space:  global
        .offset:         16
        .size:           8
        .value_kind:     global_buffer
      - .address_space:  global
        .offset:         24
        .size:           8
        .value_kind:     global_buffer
      - .offset:         32
        .size:           4
        .value_kind:     by_value
      - .offset:         36
        .size:           4
        .value_kind:     by_value
      - .offset:         40
        .size:           1
        .value_kind:     by_value
    .group_segment_fixed_size: 0
    .kernarg_segment_align: 8
    .kernarg_segment_size: 44
    .language:       OpenCL C
    .language_version:
      - 2
      - 0
    .max_flat_workgroup_size: 128
    .name:           _ZN7rocprim17ROCPRIM_304000_NS6detail33device_block_merge_oddeven_kernelINS1_37wrapped_merge_sort_block_merge_configINS0_14default_configEiN2at4cuda3cub6detail10OpaqueTypeILi8EEEEEPiSC_PSA_SD_jNS1_19radix_merge_compareILb1ELb0EiNS0_19identity_decomposerEEEEEvT0_T1_T2_T3_T4_SL_T5_
    .private_segment_fixed_size: 0
    .sgpr_count:     26
    .sgpr_spill_count: 0
    .symbol:         _ZN7rocprim17ROCPRIM_304000_NS6detail33device_block_merge_oddeven_kernelINS1_37wrapped_merge_sort_block_merge_configINS0_14default_configEiN2at4cuda3cub6detail10OpaqueTypeILi8EEEEEPiSC_PSA_SD_jNS1_19radix_merge_compareILb1ELb0EiNS0_19identity_decomposerEEEEEvT0_T1_T2_T3_T4_SL_T5_.kd
    .uniform_work_group_size: 1
    .uses_dynamic_stack: false
    .vgpr_count:     12
    .vgpr_spill_count: 0
    .wavefront_size: 64
  - .args:
      - .address_space:  global
        .offset:         0
        .size:           8
        .value_kind:     global_buffer
      - .offset:         8
        .size:           8
        .value_kind:     by_value
      - .address_space:  global
        .offset:         16
        .size:           8
        .value_kind:     global_buffer
      - .offset:         24
        .size:           1
        .value_kind:     by_value
      - .offset:         32
        .size:           4
        .value_kind:     hidden_block_count_x
      - .offset:         36
        .size:           4
        .value_kind:     hidden_block_count_y
      - .offset:         40
        .size:           4
        .value_kind:     hidden_block_count_z
      - .offset:         44
        .size:           2
        .value_kind:     hidden_group_size_x
      - .offset:         46
        .size:           2
        .value_kind:     hidden_group_size_y
      - .offset:         48
        .size:           2
        .value_kind:     hidden_group_size_z
      - .offset:         50
        .size:           2
        .value_kind:     hidden_remainder_x
      - .offset:         52
        .size:           2
        .value_kind:     hidden_remainder_y
      - .offset:         54
        .size:           2
        .value_kind:     hidden_remainder_z
      - .offset:         72
        .size:           8
        .value_kind:     hidden_global_offset_x
      - .offset:         80
        .size:           8
        .value_kind:     hidden_global_offset_y
      - .offset:         88
        .size:           8
        .value_kind:     hidden_global_offset_z
      - .offset:         96
        .size:           2
        .value_kind:     hidden_grid_dims
    .group_segment_fixed_size: 0
    .kernarg_segment_align: 8
    .kernarg_segment_size: 288
    .language:       OpenCL C
    .language_version:
      - 2
      - 0
    .max_flat_workgroup_size: 1024
    .name:           _ZN7rocprim17ROCPRIM_304000_NS6detail16transform_kernelINS1_24wrapped_transform_configINS0_14default_configEiEEiPiS6_NS0_8identityIiEEEEvT1_mT2_T3_
    .private_segment_fixed_size: 0
    .sgpr_count:     16
    .sgpr_spill_count: 0
    .symbol:         _ZN7rocprim17ROCPRIM_304000_NS6detail16transform_kernelINS1_24wrapped_transform_configINS0_14default_configEiEEiPiS6_NS0_8identityIiEEEEvT1_mT2_T3_.kd
    .uniform_work_group_size: 1
    .uses_dynamic_stack: false
    .vgpr_count:     8
    .vgpr_spill_count: 0
    .wavefront_size: 64
  - .args:
      - .address_space:  global
        .offset:         0
        .size:           8
        .value_kind:     global_buffer
      - .offset:         8
        .size:           4
        .value_kind:     by_value
      - .offset:         12
        .size:           4
        .value_kind:     by_value
      - .address_space:  global
        .offset:         16
        .size:           8
        .value_kind:     global_buffer
      - .offset:         24
        .size:           4
        .value_kind:     by_value
      - .offset:         28
        .size:           4
        .value_kind:     by_value
    .group_segment_fixed_size: 0
    .kernarg_segment_align: 8
    .kernarg_segment_size: 32
    .language:       OpenCL C
    .language_version:
      - 2
      - 0
    .max_flat_workgroup_size: 128
    .name:           _ZN7rocprim17ROCPRIM_304000_NS6detail45device_block_merge_mergepath_partition_kernelINS1_37wrapped_merge_sort_block_merge_configINS0_14default_configEiN2at4cuda3cub6detail10OpaqueTypeILi8EEEEEPijNS1_19radix_merge_compareILb1ELb1EiNS0_19identity_decomposerEEEEEvT0_T1_jPSH_T2_SH_
    .private_segment_fixed_size: 0
    .sgpr_count:     12
    .sgpr_spill_count: 0
    .symbol:         _ZN7rocprim17ROCPRIM_304000_NS6detail45device_block_merge_mergepath_partition_kernelINS1_37wrapped_merge_sort_block_merge_configINS0_14default_configEiN2at4cuda3cub6detail10OpaqueTypeILi8EEEEEPijNS1_19radix_merge_compareILb1ELb1EiNS0_19identity_decomposerEEEEEvT0_T1_jPSH_T2_SH_.kd
    .uniform_work_group_size: 1
    .uses_dynamic_stack: false
    .vgpr_count:     17
    .vgpr_spill_count: 0
    .wavefront_size: 64
  - .args:
      - .address_space:  global
        .offset:         0
        .size:           8
        .value_kind:     global_buffer
      - .address_space:  global
        .offset:         8
        .size:           8
        .value_kind:     global_buffer
      - .address_space:  global
        .offset:         16
        .size:           8
        .value_kind:     global_buffer
      - .address_space:  global
        .offset:         24
        .size:           8
        .value_kind:     global_buffer
      - .offset:         32
        .size:           4
        .value_kind:     by_value
      - .offset:         36
        .size:           4
        .value_kind:     by_value
      - .offset:         40
        .size:           4
        .value_kind:     by_value
      - .offset:         44
        .size:           4
        .value_kind:     by_value
      - .address_space:  global
        .offset:         48
        .size:           8
        .value_kind:     global_buffer
      - .address_space:  global
        .offset:         56
        .size:           8
        .value_kind:     global_buffer
      - .offset:         64
        .size:           4
        .value_kind:     hidden_block_count_x
      - .offset:         68
        .size:           4
        .value_kind:     hidden_block_count_y
      - .offset:         72
        .size:           4
        .value_kind:     hidden_block_count_z
      - .offset:         76
        .size:           2
        .value_kind:     hidden_group_size_x
      - .offset:         78
        .size:           2
        .value_kind:     hidden_group_size_y
      - .offset:         80
        .size:           2
        .value_kind:     hidden_group_size_z
      - .offset:         82
        .size:           2
        .value_kind:     hidden_remainder_x
      - .offset:         84
        .size:           2
        .value_kind:     hidden_remainder_y
      - .offset:         86
        .size:           2
        .value_kind:     hidden_remainder_z
      - .offset:         104
        .size:           8
        .value_kind:     hidden_global_offset_x
      - .offset:         112
        .size:           8
        .value_kind:     hidden_global_offset_y
      - .offset:         120
        .size:           8
        .value_kind:     hidden_global_offset_z
      - .offset:         128
        .size:           2
        .value_kind:     hidden_grid_dims
    .group_segment_fixed_size: 4112
    .kernarg_segment_align: 8
    .kernarg_segment_size: 320
    .language:       OpenCL C
    .language_version:
      - 2
      - 0
    .max_flat_workgroup_size: 128
    .name:           _ZN7rocprim17ROCPRIM_304000_NS6detail35device_block_merge_mergepath_kernelINS1_37wrapped_merge_sort_block_merge_configINS0_14default_configEiN2at4cuda3cub6detail10OpaqueTypeILi8EEEEEPiSC_PSA_SD_jNS1_19radix_merge_compareILb1ELb1EiNS0_19identity_decomposerEEEEEvT0_T1_T2_T3_T4_SL_jT5_PKSL_NS1_7vsmem_tE
    .private_segment_fixed_size: 0
    .sgpr_count:     36
    .sgpr_spill_count: 0
    .symbol:         _ZN7rocprim17ROCPRIM_304000_NS6detail35device_block_merge_mergepath_kernelINS1_37wrapped_merge_sort_block_merge_configINS0_14default_configEiN2at4cuda3cub6detail10OpaqueTypeILi8EEEEEPiSC_PSA_SD_jNS1_19radix_merge_compareILb1ELb1EiNS0_19identity_decomposerEEEEEvT0_T1_T2_T3_T4_SL_jT5_PKSL_NS1_7vsmem_tE.kd
    .uniform_work_group_size: 1
    .uses_dynamic_stack: false
    .vgpr_count:     24
    .vgpr_spill_count: 0
    .wavefront_size: 64
  - .args:
      - .address_space:  global
        .offset:         0
        .size:           8
        .value_kind:     global_buffer
      - .address_space:  global
        .offset:         8
        .size:           8
        .value_kind:     global_buffer
      - .address_space:  global
        .offset:         16
        .size:           8
        .value_kind:     global_buffer
      - .address_space:  global
        .offset:         24
        .size:           8
        .value_kind:     global_buffer
      - .offset:         32
        .size:           4
        .value_kind:     by_value
      - .offset:         36
        .size:           4
        .value_kind:     by_value
      - .offset:         40
        .size:           4
        .value_kind:     by_value
    .group_segment_fixed_size: 0
    .kernarg_segment_align: 8
    .kernarg_segment_size: 44
    .language:       OpenCL C
    .language_version:
      - 2
      - 0
    .max_flat_workgroup_size: 128
    .name:           _ZN7rocprim17ROCPRIM_304000_NS6detail33device_block_merge_oddeven_kernelINS1_37wrapped_merge_sort_block_merge_configINS0_14default_configEiN2at4cuda3cub6detail10OpaqueTypeILi8EEEEEPiSC_PSA_SD_jNS1_19radix_merge_compareILb1ELb1EiNS0_19identity_decomposerEEEEEvT0_T1_T2_T3_T4_SL_T5_
    .private_segment_fixed_size: 0
    .sgpr_count:     28
    .sgpr_spill_count: 0
    .symbol:         _ZN7rocprim17ROCPRIM_304000_NS6detail33device_block_merge_oddeven_kernelINS1_37wrapped_merge_sort_block_merge_configINS0_14default_configEiN2at4cuda3cub6detail10OpaqueTypeILi8EEEEEPiSC_PSA_SD_jNS1_19radix_merge_compareILb1ELb1EiNS0_19identity_decomposerEEEEEvT0_T1_T2_T3_T4_SL_T5_.kd
    .uniform_work_group_size: 1
    .uses_dynamic_stack: false
    .vgpr_count:     13
    .vgpr_spill_count: 0
    .wavefront_size: 64
  - .args:
      - .address_space:  global
        .offset:         0
        .size:           8
        .value_kind:     global_buffer
      - .address_space:  global
        .offset:         8
        .size:           8
        .value_kind:     global_buffer
      - .offset:         16
        .size:           8
        .value_kind:     by_value
      - .offset:         24
        .size:           8
        .value_kind:     by_value
      - .offset:         32
        .size:           1
        .value_kind:     by_value
      - .offset:         36
        .size:           4
        .value_kind:     by_value
      - .offset:         40
        .size:           4
        .value_kind:     by_value
    .group_segment_fixed_size: 16384
    .kernarg_segment_align: 8
    .kernarg_segment_size: 44
    .language:       OpenCL C
    .language_version:
      - 2
      - 0
    .max_flat_workgroup_size: 256
    .name:           _ZN7rocprim17ROCPRIM_304000_NS6detail26onesweep_histograms_kernelINS1_34wrapped_radix_sort_onesweep_configINS0_14default_configEiN2at4cuda3cub6detail10OpaqueTypeILi8EEEEELb1EPKimNS0_19identity_decomposerEEEvT1_PT2_SG_SG_T3_jj
    .private_segment_fixed_size: 0
    .sgpr_count:     43
    .sgpr_spill_count: 0
    .symbol:         _ZN7rocprim17ROCPRIM_304000_NS6detail26onesweep_histograms_kernelINS1_34wrapped_radix_sort_onesweep_configINS0_14default_configEiN2at4cuda3cub6detail10OpaqueTypeILi8EEEEELb1EPKimNS0_19identity_decomposerEEEvT1_PT2_SG_SG_T3_jj.kd
    .uniform_work_group_size: 1
    .uses_dynamic_stack: false
    .vgpr_count:     23
    .vgpr_spill_count: 0
    .wavefront_size: 64
  - .args:
      - .address_space:  global
        .offset:         0
        .size:           8
        .value_kind:     global_buffer
    .group_segment_fixed_size: 32
    .kernarg_segment_align: 8
    .kernarg_segment_size: 8
    .language:       OpenCL C
    .language_version:
      - 2
      - 0
    .max_flat_workgroup_size: 256
    .name:           _ZN7rocprim17ROCPRIM_304000_NS6detail31onesweep_scan_histograms_kernelINS1_34wrapped_radix_sort_onesweep_configINS0_14default_configEiN2at4cuda3cub6detail10OpaqueTypeILi8EEEEEmEEvPT0_
    .private_segment_fixed_size: 0
    .sgpr_count:     12
    .sgpr_spill_count: 0
    .symbol:         _ZN7rocprim17ROCPRIM_304000_NS6detail31onesweep_scan_histograms_kernelINS1_34wrapped_radix_sort_onesweep_configINS0_14default_configEiN2at4cuda3cub6detail10OpaqueTypeILi8EEEEEmEEvPT0_.kd
    .uniform_work_group_size: 1
    .uses_dynamic_stack: false
    .vgpr_count:     12
    .vgpr_spill_count: 0
    .wavefront_size: 64
  - .args:
      - .address_space:  global
        .offset:         0
        .size:           8
        .value_kind:     global_buffer
      - .offset:         8
        .size:           8
        .value_kind:     by_value
      - .address_space:  global
        .offset:         16
        .size:           8
        .value_kind:     global_buffer
      - .offset:         24
        .size:           1
        .value_kind:     by_value
      - .offset:         32
        .size:           4
        .value_kind:     hidden_block_count_x
      - .offset:         36
        .size:           4
        .value_kind:     hidden_block_count_y
      - .offset:         40
        .size:           4
        .value_kind:     hidden_block_count_z
      - .offset:         44
        .size:           2
        .value_kind:     hidden_group_size_x
      - .offset:         46
        .size:           2
        .value_kind:     hidden_group_size_y
      - .offset:         48
        .size:           2
        .value_kind:     hidden_group_size_z
      - .offset:         50
        .size:           2
        .value_kind:     hidden_remainder_x
      - .offset:         52
        .size:           2
        .value_kind:     hidden_remainder_y
      - .offset:         54
        .size:           2
        .value_kind:     hidden_remainder_z
      - .offset:         72
        .size:           8
        .value_kind:     hidden_global_offset_x
      - .offset:         80
        .size:           8
        .value_kind:     hidden_global_offset_y
      - .offset:         88
        .size:           8
        .value_kind:     hidden_global_offset_z
      - .offset:         96
        .size:           2
        .value_kind:     hidden_grid_dims
    .group_segment_fixed_size: 0
    .kernarg_segment_align: 8
    .kernarg_segment_size: 288
    .language:       OpenCL C
    .language_version:
      - 2
      - 0
    .max_flat_workgroup_size: 1024
    .name:           _ZN7rocprim17ROCPRIM_304000_NS6detail16transform_kernelINS1_24wrapped_transform_configINS0_14default_configEiEEiPKiPiNS0_8identityIiEEEEvT1_mT2_T3_
    .private_segment_fixed_size: 0
    .sgpr_count:     16
    .sgpr_spill_count: 0
    .symbol:         _ZN7rocprim17ROCPRIM_304000_NS6detail16transform_kernelINS1_24wrapped_transform_configINS0_14default_configEiEEiPKiPiNS0_8identityIiEEEEvT1_mT2_T3_.kd
    .uniform_work_group_size: 1
    .uses_dynamic_stack: false
    .vgpr_count:     8
    .vgpr_spill_count: 0
    .wavefront_size: 64
  - .args:
      - .address_space:  global
        .offset:         0
        .size:           8
        .value_kind:     global_buffer
      - .address_space:  global
        .offset:         8
        .size:           8
        .value_kind:     global_buffer
      - .address_space:  global
        .offset:         16
        .size:           8
        .value_kind:     global_buffer
      - .address_space:  global
        .offset:         24
        .size:           8
        .value_kind:     global_buffer
      - .offset:         32
        .size:           4
        .value_kind:     by_value
      - .address_space:  global
        .offset:         40
        .size:           8
        .value_kind:     global_buffer
      - .address_space:  global
        .offset:         48
        .size:           8
        .value_kind:     global_buffer
      - .address_space:  global
        .offset:         56
        .size:           8
        .value_kind:     global_buffer
      - .offset:         64
        .size:           1
        .value_kind:     by_value
      - .offset:         68
        .size:           4
        .value_kind:     by_value
      - .offset:         72
        .size:           4
        .value_kind:     by_value
      - .offset:         76
        .size:           4
        .value_kind:     by_value
      - .offset:         80
        .size:           4
        .value_kind:     hidden_block_count_x
      - .offset:         84
        .size:           4
        .value_kind:     hidden_block_count_y
      - .offset:         88
        .size:           4
        .value_kind:     hidden_block_count_z
      - .offset:         92
        .size:           2
        .value_kind:     hidden_group_size_x
      - .offset:         94
        .size:           2
        .value_kind:     hidden_group_size_y
      - .offset:         96
        .size:           2
        .value_kind:     hidden_group_size_z
      - .offset:         98
        .size:           2
        .value_kind:     hidden_remainder_x
      - .offset:         100
        .size:           2
        .value_kind:     hidden_remainder_y
      - .offset:         102
        .size:           2
        .value_kind:     hidden_remainder_z
      - .offset:         120
        .size:           8
        .value_kind:     hidden_global_offset_x
      - .offset:         128
        .size:           8
        .value_kind:     hidden_global_offset_y
      - .offset:         136
        .size:           8
        .value_kind:     hidden_global_offset_z
      - .offset:         144
        .size:           2
        .value_kind:     hidden_grid_dims
    .group_segment_fixed_size: 26624
    .kernarg_segment_align: 8
    .kernarg_segment_size: 336
    .language:       OpenCL C
    .language_version:
      - 2
      - 0
    .max_flat_workgroup_size: 256
    .name:           _ZN7rocprim17ROCPRIM_304000_NS6detail25onesweep_iteration_kernelINS1_34wrapped_radix_sort_onesweep_configINS0_14default_configEiN2at4cuda3cub6detail10OpaqueTypeILi8EEEEELb1EPKiPiPKSA_PSA_mNS0_19identity_decomposerEEEvT1_T2_T3_T4_jPT5_SO_PNS1_23onesweep_lookback_stateET6_jjj
    .private_segment_fixed_size: 0
    .sgpr_count:     79
    .sgpr_spill_count: 0
    .symbol:         _ZN7rocprim17ROCPRIM_304000_NS6detail25onesweep_iteration_kernelINS1_34wrapped_radix_sort_onesweep_configINS0_14default_configEiN2at4cuda3cub6detail10OpaqueTypeILi8EEEEELb1EPKiPiPKSA_PSA_mNS0_19identity_decomposerEEEvT1_T2_T3_T4_jPT5_SO_PNS1_23onesweep_lookback_stateET6_jjj.kd
    .uniform_work_group_size: 1
    .uses_dynamic_stack: false
    .vgpr_count:     71
    .vgpr_spill_count: 0
    .wavefront_size: 64
  - .args:
      - .address_space:  global
        .offset:         0
        .size:           8
        .value_kind:     global_buffer
      - .address_space:  global
        .offset:         8
        .size:           8
        .value_kind:     global_buffer
      - .address_space:  global
        .offset:         16
        .size:           8
        .value_kind:     global_buffer
      - .address_space:  global
        .offset:         24
        .size:           8
        .value_kind:     global_buffer
      - .offset:         32
        .size:           4
        .value_kind:     by_value
      - .address_space:  global
        .offset:         40
        .size:           8
        .value_kind:     global_buffer
      - .address_space:  global
        .offset:         48
        .size:           8
        .value_kind:     global_buffer
      - .address_space:  global
        .offset:         56
        .size:           8
        .value_kind:     global_buffer
      - .offset:         64
        .size:           1
        .value_kind:     by_value
      - .offset:         68
        .size:           4
        .value_kind:     by_value
      - .offset:         72
        .size:           4
        .value_kind:     by_value
      - .offset:         76
        .size:           4
        .value_kind:     by_value
      - .offset:         80
        .size:           4
        .value_kind:     hidden_block_count_x
      - .offset:         84
        .size:           4
        .value_kind:     hidden_block_count_y
      - .offset:         88
        .size:           4
        .value_kind:     hidden_block_count_z
      - .offset:         92
        .size:           2
        .value_kind:     hidden_group_size_x
      - .offset:         94
        .size:           2
        .value_kind:     hidden_group_size_y
      - .offset:         96
        .size:           2
        .value_kind:     hidden_group_size_z
      - .offset:         98
        .size:           2
        .value_kind:     hidden_remainder_x
      - .offset:         100
        .size:           2
        .value_kind:     hidden_remainder_y
      - .offset:         102
        .size:           2
        .value_kind:     hidden_remainder_z
      - .offset:         120
        .size:           8
        .value_kind:     hidden_global_offset_x
      - .offset:         128
        .size:           8
        .value_kind:     hidden_global_offset_y
      - .offset:         136
        .size:           8
        .value_kind:     hidden_global_offset_z
      - .offset:         144
        .size:           2
        .value_kind:     hidden_grid_dims
    .group_segment_fixed_size: 26624
    .kernarg_segment_align: 8
    .kernarg_segment_size: 336
    .language:       OpenCL C
    .language_version:
      - 2
      - 0
    .max_flat_workgroup_size: 256
    .name:           _ZN7rocprim17ROCPRIM_304000_NS6detail25onesweep_iteration_kernelINS1_34wrapped_radix_sort_onesweep_configINS0_14default_configEiN2at4cuda3cub6detail10OpaqueTypeILi8EEEEELb1EPiSC_PSA_SD_mNS0_19identity_decomposerEEEvT1_T2_T3_T4_jPT5_SK_PNS1_23onesweep_lookback_stateET6_jjj
    .private_segment_fixed_size: 0
    .sgpr_count:     79
    .sgpr_spill_count: 0
    .symbol:         _ZN7rocprim17ROCPRIM_304000_NS6detail25onesweep_iteration_kernelINS1_34wrapped_radix_sort_onesweep_configINS0_14default_configEiN2at4cuda3cub6detail10OpaqueTypeILi8EEEEELb1EPiSC_PSA_SD_mNS0_19identity_decomposerEEEvT1_T2_T3_T4_jPT5_SK_PNS1_23onesweep_lookback_stateET6_jjj.kd
    .uniform_work_group_size: 1
    .uses_dynamic_stack: false
    .vgpr_count:     71
    .vgpr_spill_count: 0
    .wavefront_size: 64
  - .args:
      - .address_space:  global
        .offset:         0
        .size:           8
        .value_kind:     global_buffer
      - .address_space:  global
        .offset:         8
        .size:           8
        .value_kind:     global_buffer
      - .address_space:  global
        .offset:         16
        .size:           8
        .value_kind:     global_buffer
      - .address_space:  global
        .offset:         24
        .size:           8
        .value_kind:     global_buffer
      - .offset:         32
        .size:           4
        .value_kind:     by_value
      - .offset:         36
        .size:           1
        .value_kind:     by_value
      - .offset:         40
        .size:           4
        .value_kind:     by_value
      - .offset:         44
        .size:           4
        .value_kind:     by_value
      - .offset:         48
        .size:           4
        .value_kind:     hidden_block_count_x
      - .offset:         52
        .size:           4
        .value_kind:     hidden_block_count_y
      - .offset:         56
        .size:           4
        .value_kind:     hidden_block_count_z
      - .offset:         60
        .size:           2
        .value_kind:     hidden_group_size_x
      - .offset:         62
        .size:           2
        .value_kind:     hidden_group_size_y
      - .offset:         64
        .size:           2
        .value_kind:     hidden_group_size_z
      - .offset:         66
        .size:           2
        .value_kind:     hidden_remainder_x
      - .offset:         68
        .size:           2
        .value_kind:     hidden_remainder_y
      - .offset:         70
        .size:           2
        .value_kind:     hidden_remainder_z
      - .offset:         88
        .size:           8
        .value_kind:     hidden_global_offset_x
      - .offset:         96
        .size:           8
        .value_kind:     hidden_global_offset_y
      - .offset:         104
        .size:           8
        .value_kind:     hidden_global_offset_z
      - .offset:         112
        .size:           2
        .value_kind:     hidden_grid_dims
    .group_segment_fixed_size: 8192
    .kernarg_segment_align: 8
    .kernarg_segment_size: 304
    .language:       OpenCL C
    .language_version:
      - 2
      - 0
    .max_flat_workgroup_size: 256
    .name:           _ZN7rocprim17ROCPRIM_304000_NS6detail28radix_sort_block_sort_kernelINS1_36wrapped_radix_sort_block_sort_configINS0_13kernel_configILj256ELj4ELj4294967295EEEiN2at4cuda3cub6detail10OpaqueTypeILi8EEEEELb0EPKiPiPKSB_PSB_NS0_19identity_decomposerEEEvT1_T2_T3_T4_jT5_jj
    .private_segment_fixed_size: 0
    .sgpr_count:     50
    .sgpr_spill_count: 0
    .symbol:         _ZN7rocprim17ROCPRIM_304000_NS6detail28radix_sort_block_sort_kernelINS1_36wrapped_radix_sort_block_sort_configINS0_13kernel_configILj256ELj4ELj4294967295EEEiN2at4cuda3cub6detail10OpaqueTypeILi8EEEEELb0EPKiPiPKSB_PSB_NS0_19identity_decomposerEEEvT1_T2_T3_T4_jT5_jj.kd
    .uniform_work_group_size: 1
    .uses_dynamic_stack: false
    .vgpr_count:     53
    .vgpr_spill_count: 0
    .wavefront_size: 64
  - .args:
      - .address_space:  global
        .offset:         0
        .size:           8
        .value_kind:     global_buffer
      - .offset:         8
        .size:           4
        .value_kind:     by_value
      - .offset:         12
        .size:           4
        .value_kind:     by_value
      - .address_space:  global
        .offset:         16
        .size:           8
        .value_kind:     global_buffer
      - .offset:         24
        .size:           1
        .value_kind:     by_value
      - .offset:         28
        .size:           4
        .value_kind:     by_value
    .group_segment_fixed_size: 0
    .kernarg_segment_align: 8
    .kernarg_segment_size: 32
    .language:       OpenCL C
    .language_version:
      - 2
      - 0
    .max_flat_workgroup_size: 128
    .name:           _ZN7rocprim17ROCPRIM_304000_NS6detail45device_block_merge_mergepath_partition_kernelINS1_37wrapped_merge_sort_block_merge_configINS0_14default_configEiN2at4cuda3cub6detail10OpaqueTypeILi8EEEEEPijNS1_19radix_merge_compareILb0ELb0EiNS0_19identity_decomposerEEEEEvT0_T1_jPSH_T2_SH_
    .private_segment_fixed_size: 0
    .sgpr_count:     11
    .sgpr_spill_count: 0
    .symbol:         _ZN7rocprim17ROCPRIM_304000_NS6detail45device_block_merge_mergepath_partition_kernelINS1_37wrapped_merge_sort_block_merge_configINS0_14default_configEiN2at4cuda3cub6detail10OpaqueTypeILi8EEEEEPijNS1_19radix_merge_compareILb0ELb0EiNS0_19identity_decomposerEEEEEvT0_T1_jPSH_T2_SH_.kd
    .uniform_work_group_size: 1
    .uses_dynamic_stack: false
    .vgpr_count:     17
    .vgpr_spill_count: 0
    .wavefront_size: 64
  - .args:
      - .address_space:  global
        .offset:         0
        .size:           8
        .value_kind:     global_buffer
      - .address_space:  global
        .offset:         8
        .size:           8
        .value_kind:     global_buffer
      - .address_space:  global
        .offset:         16
        .size:           8
        .value_kind:     global_buffer
      - .address_space:  global
        .offset:         24
        .size:           8
        .value_kind:     global_buffer
      - .offset:         32
        .size:           4
        .value_kind:     by_value
      - .offset:         36
        .size:           4
        .value_kind:     by_value
      - .offset:         40
        .size:           4
        .value_kind:     by_value
      - .offset:         44
        .size:           1
        .value_kind:     by_value
      - .address_space:  global
        .offset:         48
        .size:           8
        .value_kind:     global_buffer
      - .address_space:  global
        .offset:         56
        .size:           8
        .value_kind:     global_buffer
      - .offset:         64
        .size:           4
        .value_kind:     hidden_block_count_x
      - .offset:         68
        .size:           4
        .value_kind:     hidden_block_count_y
      - .offset:         72
        .size:           4
        .value_kind:     hidden_block_count_z
      - .offset:         76
        .size:           2
        .value_kind:     hidden_group_size_x
      - .offset:         78
        .size:           2
        .value_kind:     hidden_group_size_y
      - .offset:         80
        .size:           2
        .value_kind:     hidden_group_size_z
      - .offset:         82
        .size:           2
        .value_kind:     hidden_remainder_x
      - .offset:         84
        .size:           2
        .value_kind:     hidden_remainder_y
      - .offset:         86
        .size:           2
        .value_kind:     hidden_remainder_z
      - .offset:         104
        .size:           8
        .value_kind:     hidden_global_offset_x
      - .offset:         112
        .size:           8
        .value_kind:     hidden_global_offset_y
      - .offset:         120
        .size:           8
        .value_kind:     hidden_global_offset_z
      - .offset:         128
        .size:           2
        .value_kind:     hidden_grid_dims
    .group_segment_fixed_size: 4112
    .kernarg_segment_align: 8
    .kernarg_segment_size: 320
    .language:       OpenCL C
    .language_version:
      - 2
      - 0
    .max_flat_workgroup_size: 128
    .name:           _ZN7rocprim17ROCPRIM_304000_NS6detail35device_block_merge_mergepath_kernelINS1_37wrapped_merge_sort_block_merge_configINS0_14default_configEiN2at4cuda3cub6detail10OpaqueTypeILi8EEEEEPiSC_PSA_SD_jNS1_19radix_merge_compareILb0ELb0EiNS0_19identity_decomposerEEEEEvT0_T1_T2_T3_T4_SL_jT5_PKSL_NS1_7vsmem_tE
    .private_segment_fixed_size: 0
    .sgpr_count:     36
    .sgpr_spill_count: 0
    .symbol:         _ZN7rocprim17ROCPRIM_304000_NS6detail35device_block_merge_mergepath_kernelINS1_37wrapped_merge_sort_block_merge_configINS0_14default_configEiN2at4cuda3cub6detail10OpaqueTypeILi8EEEEEPiSC_PSA_SD_jNS1_19radix_merge_compareILb0ELb0EiNS0_19identity_decomposerEEEEEvT0_T1_T2_T3_T4_SL_jT5_PKSL_NS1_7vsmem_tE.kd
    .uniform_work_group_size: 1
    .uses_dynamic_stack: false
    .vgpr_count:     24
    .vgpr_spill_count: 0
    .wavefront_size: 64
  - .args:
      - .address_space:  global
        .offset:         0
        .size:           8
        .value_kind:     global_buffer
      - .address_space:  global
        .offset:         8
        .size:           8
        .value_kind:     global_buffer
      - .address_space:  global
        .offset:         16
        .size:           8
        .value_kind:     global_buffer
      - .address_space:  global
        .offset:         24
        .size:           8
        .value_kind:     global_buffer
      - .offset:         32
        .size:           4
        .value_kind:     by_value
      - .offset:         36
        .size:           4
        .value_kind:     by_value
      - .offset:         40
        .size:           1
        .value_kind:     by_value
    .group_segment_fixed_size: 0
    .kernarg_segment_align: 8
    .kernarg_segment_size: 44
    .language:       OpenCL C
    .language_version:
      - 2
      - 0
    .max_flat_workgroup_size: 128
    .name:           _ZN7rocprim17ROCPRIM_304000_NS6detail33device_block_merge_oddeven_kernelINS1_37wrapped_merge_sort_block_merge_configINS0_14default_configEiN2at4cuda3cub6detail10OpaqueTypeILi8EEEEEPiSC_PSA_SD_jNS1_19radix_merge_compareILb0ELb0EiNS0_19identity_decomposerEEEEEvT0_T1_T2_T3_T4_SL_T5_
    .private_segment_fixed_size: 0
    .sgpr_count:     26
    .sgpr_spill_count: 0
    .symbol:         _ZN7rocprim17ROCPRIM_304000_NS6detail33device_block_merge_oddeven_kernelINS1_37wrapped_merge_sort_block_merge_configINS0_14default_configEiN2at4cuda3cub6detail10OpaqueTypeILi8EEEEEPiSC_PSA_SD_jNS1_19radix_merge_compareILb0ELb0EiNS0_19identity_decomposerEEEEEvT0_T1_T2_T3_T4_SL_T5_.kd
    .uniform_work_group_size: 1
    .uses_dynamic_stack: false
    .vgpr_count:     12
    .vgpr_spill_count: 0
    .wavefront_size: 64
  - .args:
      - .address_space:  global
        .offset:         0
        .size:           8
        .value_kind:     global_buffer
      - .offset:         8
        .size:           4
        .value_kind:     by_value
      - .offset:         12
        .size:           4
        .value_kind:     by_value
      - .address_space:  global
        .offset:         16
        .size:           8
        .value_kind:     global_buffer
      - .offset:         24
        .size:           4
        .value_kind:     by_value
      - .offset:         28
        .size:           4
        .value_kind:     by_value
    .group_segment_fixed_size: 0
    .kernarg_segment_align: 8
    .kernarg_segment_size: 32
    .language:       OpenCL C
    .language_version:
      - 2
      - 0
    .max_flat_workgroup_size: 128
    .name:           _ZN7rocprim17ROCPRIM_304000_NS6detail45device_block_merge_mergepath_partition_kernelINS1_37wrapped_merge_sort_block_merge_configINS0_14default_configEiN2at4cuda3cub6detail10OpaqueTypeILi8EEEEEPijNS1_19radix_merge_compareILb0ELb1EiNS0_19identity_decomposerEEEEEvT0_T1_jPSH_T2_SH_
    .private_segment_fixed_size: 0
    .sgpr_count:     12
    .sgpr_spill_count: 0
    .symbol:         _ZN7rocprim17ROCPRIM_304000_NS6detail45device_block_merge_mergepath_partition_kernelINS1_37wrapped_merge_sort_block_merge_configINS0_14default_configEiN2at4cuda3cub6detail10OpaqueTypeILi8EEEEEPijNS1_19radix_merge_compareILb0ELb1EiNS0_19identity_decomposerEEEEEvT0_T1_jPSH_T2_SH_.kd
    .uniform_work_group_size: 1
    .uses_dynamic_stack: false
    .vgpr_count:     17
    .vgpr_spill_count: 0
    .wavefront_size: 64
  - .args:
      - .address_space:  global
        .offset:         0
        .size:           8
        .value_kind:     global_buffer
      - .address_space:  global
        .offset:         8
        .size:           8
        .value_kind:     global_buffer
      - .address_space:  global
        .offset:         16
        .size:           8
        .value_kind:     global_buffer
      - .address_space:  global
        .offset:         24
        .size:           8
        .value_kind:     global_buffer
      - .offset:         32
        .size:           4
        .value_kind:     by_value
      - .offset:         36
        .size:           4
        .value_kind:     by_value
      - .offset:         40
        .size:           4
        .value_kind:     by_value
      - .offset:         44
        .size:           4
        .value_kind:     by_value
      - .address_space:  global
        .offset:         48
        .size:           8
        .value_kind:     global_buffer
      - .address_space:  global
        .offset:         56
        .size:           8
        .value_kind:     global_buffer
      - .offset:         64
        .size:           4
        .value_kind:     hidden_block_count_x
      - .offset:         68
        .size:           4
        .value_kind:     hidden_block_count_y
      - .offset:         72
        .size:           4
        .value_kind:     hidden_block_count_z
      - .offset:         76
        .size:           2
        .value_kind:     hidden_group_size_x
      - .offset:         78
        .size:           2
        .value_kind:     hidden_group_size_y
      - .offset:         80
        .size:           2
        .value_kind:     hidden_group_size_z
      - .offset:         82
        .size:           2
        .value_kind:     hidden_remainder_x
      - .offset:         84
        .size:           2
        .value_kind:     hidden_remainder_y
      - .offset:         86
        .size:           2
        .value_kind:     hidden_remainder_z
      - .offset:         104
        .size:           8
        .value_kind:     hidden_global_offset_x
      - .offset:         112
        .size:           8
        .value_kind:     hidden_global_offset_y
      - .offset:         120
        .size:           8
        .value_kind:     hidden_global_offset_z
      - .offset:         128
        .size:           2
        .value_kind:     hidden_grid_dims
    .group_segment_fixed_size: 4112
    .kernarg_segment_align: 8
    .kernarg_segment_size: 320
    .language:       OpenCL C
    .language_version:
      - 2
      - 0
    .max_flat_workgroup_size: 128
    .name:           _ZN7rocprim17ROCPRIM_304000_NS6detail35device_block_merge_mergepath_kernelINS1_37wrapped_merge_sort_block_merge_configINS0_14default_configEiN2at4cuda3cub6detail10OpaqueTypeILi8EEEEEPiSC_PSA_SD_jNS1_19radix_merge_compareILb0ELb1EiNS0_19identity_decomposerEEEEEvT0_T1_T2_T3_T4_SL_jT5_PKSL_NS1_7vsmem_tE
    .private_segment_fixed_size: 0
    .sgpr_count:     36
    .sgpr_spill_count: 0
    .symbol:         _ZN7rocprim17ROCPRIM_304000_NS6detail35device_block_merge_mergepath_kernelINS1_37wrapped_merge_sort_block_merge_configINS0_14default_configEiN2at4cuda3cub6detail10OpaqueTypeILi8EEEEEPiSC_PSA_SD_jNS1_19radix_merge_compareILb0ELb1EiNS0_19identity_decomposerEEEEEvT0_T1_T2_T3_T4_SL_jT5_PKSL_NS1_7vsmem_tE.kd
    .uniform_work_group_size: 1
    .uses_dynamic_stack: false
    .vgpr_count:     24
    .vgpr_spill_count: 0
    .wavefront_size: 64
  - .args:
      - .address_space:  global
        .offset:         0
        .size:           8
        .value_kind:     global_buffer
      - .address_space:  global
        .offset:         8
        .size:           8
        .value_kind:     global_buffer
      - .address_space:  global
        .offset:         16
        .size:           8
        .value_kind:     global_buffer
      - .address_space:  global
        .offset:         24
        .size:           8
        .value_kind:     global_buffer
      - .offset:         32
        .size:           4
        .value_kind:     by_value
      - .offset:         36
        .size:           4
        .value_kind:     by_value
      - .offset:         40
        .size:           4
        .value_kind:     by_value
    .group_segment_fixed_size: 0
    .kernarg_segment_align: 8
    .kernarg_segment_size: 44
    .language:       OpenCL C
    .language_version:
      - 2
      - 0
    .max_flat_workgroup_size: 128
    .name:           _ZN7rocprim17ROCPRIM_304000_NS6detail33device_block_merge_oddeven_kernelINS1_37wrapped_merge_sort_block_merge_configINS0_14default_configEiN2at4cuda3cub6detail10OpaqueTypeILi8EEEEEPiSC_PSA_SD_jNS1_19radix_merge_compareILb0ELb1EiNS0_19identity_decomposerEEEEEvT0_T1_T2_T3_T4_SL_T5_
    .private_segment_fixed_size: 0
    .sgpr_count:     28
    .sgpr_spill_count: 0
    .symbol:         _ZN7rocprim17ROCPRIM_304000_NS6detail33device_block_merge_oddeven_kernelINS1_37wrapped_merge_sort_block_merge_configINS0_14default_configEiN2at4cuda3cub6detail10OpaqueTypeILi8EEEEEPiSC_PSA_SD_jNS1_19radix_merge_compareILb0ELb1EiNS0_19identity_decomposerEEEEEvT0_T1_T2_T3_T4_SL_T5_.kd
    .uniform_work_group_size: 1
    .uses_dynamic_stack: false
    .vgpr_count:     13
    .vgpr_spill_count: 0
    .wavefront_size: 64
  - .args:
      - .address_space:  global
        .offset:         0
        .size:           8
        .value_kind:     global_buffer
      - .address_space:  global
        .offset:         8
        .size:           8
        .value_kind:     global_buffer
      - .offset:         16
        .size:           8
        .value_kind:     by_value
      - .offset:         24
        .size:           8
        .value_kind:     by_value
      - .offset:         32
        .size:           1
        .value_kind:     by_value
      - .offset:         36
        .size:           4
        .value_kind:     by_value
      - .offset:         40
        .size:           4
        .value_kind:     by_value
    .group_segment_fixed_size: 16384
    .kernarg_segment_align: 8
    .kernarg_segment_size: 44
    .language:       OpenCL C
    .language_version:
      - 2
      - 0
    .max_flat_workgroup_size: 256
    .name:           _ZN7rocprim17ROCPRIM_304000_NS6detail26onesweep_histograms_kernelINS1_34wrapped_radix_sort_onesweep_configINS0_14default_configEiN2at4cuda3cub6detail10OpaqueTypeILi8EEEEELb0EPKimNS0_19identity_decomposerEEEvT1_PT2_SG_SG_T3_jj
    .private_segment_fixed_size: 0
    .sgpr_count:     43
    .sgpr_spill_count: 0
    .symbol:         _ZN7rocprim17ROCPRIM_304000_NS6detail26onesweep_histograms_kernelINS1_34wrapped_radix_sort_onesweep_configINS0_14default_configEiN2at4cuda3cub6detail10OpaqueTypeILi8EEEEELb0EPKimNS0_19identity_decomposerEEEvT1_PT2_SG_SG_T3_jj.kd
    .uniform_work_group_size: 1
    .uses_dynamic_stack: false
    .vgpr_count:     23
    .vgpr_spill_count: 0
    .wavefront_size: 64
  - .args:
      - .address_space:  global
        .offset:         0
        .size:           8
        .value_kind:     global_buffer
      - .address_space:  global
        .offset:         8
        .size:           8
        .value_kind:     global_buffer
      - .address_space:  global
        .offset:         16
        .size:           8
        .value_kind:     global_buffer
      - .address_space:  global
        .offset:         24
        .size:           8
        .value_kind:     global_buffer
      - .offset:         32
        .size:           4
        .value_kind:     by_value
      - .address_space:  global
        .offset:         40
        .size:           8
        .value_kind:     global_buffer
      - .address_space:  global
        .offset:         48
        .size:           8
        .value_kind:     global_buffer
      - .address_space:  global
        .offset:         56
        .size:           8
        .value_kind:     global_buffer
      - .offset:         64
        .size:           1
        .value_kind:     by_value
      - .offset:         68
        .size:           4
        .value_kind:     by_value
      - .offset:         72
        .size:           4
        .value_kind:     by_value
      - .offset:         76
        .size:           4
        .value_kind:     by_value
      - .offset:         80
        .size:           4
        .value_kind:     hidden_block_count_x
      - .offset:         84
        .size:           4
        .value_kind:     hidden_block_count_y
      - .offset:         88
        .size:           4
        .value_kind:     hidden_block_count_z
      - .offset:         92
        .size:           2
        .value_kind:     hidden_group_size_x
      - .offset:         94
        .size:           2
        .value_kind:     hidden_group_size_y
      - .offset:         96
        .size:           2
        .value_kind:     hidden_group_size_z
      - .offset:         98
        .size:           2
        .value_kind:     hidden_remainder_x
      - .offset:         100
        .size:           2
        .value_kind:     hidden_remainder_y
      - .offset:         102
        .size:           2
        .value_kind:     hidden_remainder_z
      - .offset:         120
        .size:           8
        .value_kind:     hidden_global_offset_x
      - .offset:         128
        .size:           8
        .value_kind:     hidden_global_offset_y
      - .offset:         136
        .size:           8
        .value_kind:     hidden_global_offset_z
      - .offset:         144
        .size:           2
        .value_kind:     hidden_grid_dims
    .group_segment_fixed_size: 26624
    .kernarg_segment_align: 8
    .kernarg_segment_size: 336
    .language:       OpenCL C
    .language_version:
      - 2
      - 0
    .max_flat_workgroup_size: 256
    .name:           _ZN7rocprim17ROCPRIM_304000_NS6detail25onesweep_iteration_kernelINS1_34wrapped_radix_sort_onesweep_configINS0_14default_configEiN2at4cuda3cub6detail10OpaqueTypeILi8EEEEELb0EPKiPiPKSA_PSA_mNS0_19identity_decomposerEEEvT1_T2_T3_T4_jPT5_SO_PNS1_23onesweep_lookback_stateET6_jjj
    .private_segment_fixed_size: 0
    .sgpr_count:     79
    .sgpr_spill_count: 0
    .symbol:         _ZN7rocprim17ROCPRIM_304000_NS6detail25onesweep_iteration_kernelINS1_34wrapped_radix_sort_onesweep_configINS0_14default_configEiN2at4cuda3cub6detail10OpaqueTypeILi8EEEEELb0EPKiPiPKSA_PSA_mNS0_19identity_decomposerEEEvT1_T2_T3_T4_jPT5_SO_PNS1_23onesweep_lookback_stateET6_jjj.kd
    .uniform_work_group_size: 1
    .uses_dynamic_stack: false
    .vgpr_count:     71
    .vgpr_spill_count: 0
    .wavefront_size: 64
  - .args:
      - .address_space:  global
        .offset:         0
        .size:           8
        .value_kind:     global_buffer
      - .address_space:  global
        .offset:         8
        .size:           8
        .value_kind:     global_buffer
      - .address_space:  global
        .offset:         16
        .size:           8
        .value_kind:     global_buffer
      - .address_space:  global
        .offset:         24
        .size:           8
        .value_kind:     global_buffer
      - .offset:         32
        .size:           4
        .value_kind:     by_value
      - .address_space:  global
        .offset:         40
        .size:           8
        .value_kind:     global_buffer
      - .address_space:  global
        .offset:         48
        .size:           8
        .value_kind:     global_buffer
      - .address_space:  global
        .offset:         56
        .size:           8
        .value_kind:     global_buffer
      - .offset:         64
        .size:           1
        .value_kind:     by_value
      - .offset:         68
        .size:           4
        .value_kind:     by_value
      - .offset:         72
        .size:           4
        .value_kind:     by_value
      - .offset:         76
        .size:           4
        .value_kind:     by_value
      - .offset:         80
        .size:           4
        .value_kind:     hidden_block_count_x
      - .offset:         84
        .size:           4
        .value_kind:     hidden_block_count_y
      - .offset:         88
        .size:           4
        .value_kind:     hidden_block_count_z
      - .offset:         92
        .size:           2
        .value_kind:     hidden_group_size_x
      - .offset:         94
        .size:           2
        .value_kind:     hidden_group_size_y
      - .offset:         96
        .size:           2
        .value_kind:     hidden_group_size_z
      - .offset:         98
        .size:           2
        .value_kind:     hidden_remainder_x
      - .offset:         100
        .size:           2
        .value_kind:     hidden_remainder_y
      - .offset:         102
        .size:           2
        .value_kind:     hidden_remainder_z
      - .offset:         120
        .size:           8
        .value_kind:     hidden_global_offset_x
      - .offset:         128
        .size:           8
        .value_kind:     hidden_global_offset_y
      - .offset:         136
        .size:           8
        .value_kind:     hidden_global_offset_z
      - .offset:         144
        .size:           2
        .value_kind:     hidden_grid_dims
    .group_segment_fixed_size: 26624
    .kernarg_segment_align: 8
    .kernarg_segment_size: 336
    .language:       OpenCL C
    .language_version:
      - 2
      - 0
    .max_flat_workgroup_size: 256
    .name:           _ZN7rocprim17ROCPRIM_304000_NS6detail25onesweep_iteration_kernelINS1_34wrapped_radix_sort_onesweep_configINS0_14default_configEiN2at4cuda3cub6detail10OpaqueTypeILi8EEEEELb0EPiSC_PSA_SD_mNS0_19identity_decomposerEEEvT1_T2_T3_T4_jPT5_SK_PNS1_23onesweep_lookback_stateET6_jjj
    .private_segment_fixed_size: 0
    .sgpr_count:     79
    .sgpr_spill_count: 0
    .symbol:         _ZN7rocprim17ROCPRIM_304000_NS6detail25onesweep_iteration_kernelINS1_34wrapped_radix_sort_onesweep_configINS0_14default_configEiN2at4cuda3cub6detail10OpaqueTypeILi8EEEEELb0EPiSC_PSA_SD_mNS0_19identity_decomposerEEEvT1_T2_T3_T4_jPT5_SK_PNS1_23onesweep_lookback_stateET6_jjj.kd
    .uniform_work_group_size: 1
    .uses_dynamic_stack: false
    .vgpr_count:     71
    .vgpr_spill_count: 0
    .wavefront_size: 64
  - .args:
      - .address_space:  global
        .offset:         0
        .size:           8
        .value_kind:     global_buffer
      - .address_space:  global
        .offset:         8
        .size:           8
        .value_kind:     global_buffer
      - .address_space:  global
        .offset:         16
        .size:           8
        .value_kind:     global_buffer
      - .address_space:  global
        .offset:         24
        .size:           8
        .value_kind:     global_buffer
      - .offset:         32
        .size:           4
        .value_kind:     by_value
      - .offset:         36
        .size:           1
        .value_kind:     by_value
      - .offset:         40
        .size:           4
        .value_kind:     by_value
      - .offset:         44
        .size:           4
        .value_kind:     by_value
      - .offset:         48
        .size:           4
        .value_kind:     hidden_block_count_x
      - .offset:         52
        .size:           4
        .value_kind:     hidden_block_count_y
      - .offset:         56
        .size:           4
        .value_kind:     hidden_block_count_z
      - .offset:         60
        .size:           2
        .value_kind:     hidden_group_size_x
      - .offset:         62
        .size:           2
        .value_kind:     hidden_group_size_y
      - .offset:         64
        .size:           2
        .value_kind:     hidden_group_size_z
      - .offset:         66
        .size:           2
        .value_kind:     hidden_remainder_x
      - .offset:         68
        .size:           2
        .value_kind:     hidden_remainder_y
      - .offset:         70
        .size:           2
        .value_kind:     hidden_remainder_z
      - .offset:         88
        .size:           8
        .value_kind:     hidden_global_offset_x
      - .offset:         96
        .size:           8
        .value_kind:     hidden_global_offset_y
      - .offset:         104
        .size:           8
        .value_kind:     hidden_global_offset_z
      - .offset:         112
        .size:           2
        .value_kind:     hidden_grid_dims
    .group_segment_fixed_size: 8192
    .kernarg_segment_align: 8
    .kernarg_segment_size: 304
    .language:       OpenCL C
    .language_version:
      - 2
      - 0
    .max_flat_workgroup_size: 256
    .name:           _ZN7rocprim17ROCPRIM_304000_NS6detail28radix_sort_block_sort_kernelINS1_36wrapped_radix_sort_block_sort_configINS0_13kernel_configILj256ELj4ELj4294967295EEElN2at4cuda3cub6detail10OpaqueTypeILi8EEEEELb1EPKlPlPKSB_PSB_NS0_19identity_decomposerEEEvT1_T2_T3_T4_jT5_jj
    .private_segment_fixed_size: 0
    .sgpr_count:     48
    .sgpr_spill_count: 0
    .symbol:         _ZN7rocprim17ROCPRIM_304000_NS6detail28radix_sort_block_sort_kernelINS1_36wrapped_radix_sort_block_sort_configINS0_13kernel_configILj256ELj4ELj4294967295EEElN2at4cuda3cub6detail10OpaqueTypeILi8EEEEELb1EPKlPlPKSB_PSB_NS0_19identity_decomposerEEEvT1_T2_T3_T4_jT5_jj.kd
    .uniform_work_group_size: 1
    .uses_dynamic_stack: false
    .vgpr_count:     49
    .vgpr_spill_count: 0
    .wavefront_size: 64
  - .args:           []
    .group_segment_fixed_size: 0
    .kernarg_segment_align: 4
    .kernarg_segment_size: 0
    .language:       OpenCL C
    .language_version:
      - 2
      - 0
    .max_flat_workgroup_size: 1024
    .name:           _ZN7rocprim17ROCPRIM_304000_NS6detail39device_merge_sort_compile_time_verifierINS1_36wrapped_merge_sort_block_sort_configINS1_28merge_sort_block_sort_configILj256ELj4ELNS0_20block_sort_algorithmE0EEElN2at4cuda3cub6detail10OpaqueTypeILi8EEEEENS1_37wrapped_merge_sort_block_merge_configINS0_14default_configElSC_EEEEvv
    .private_segment_fixed_size: 0
    .sgpr_count:     4
    .sgpr_spill_count: 0
    .symbol:         _ZN7rocprim17ROCPRIM_304000_NS6detail39device_merge_sort_compile_time_verifierINS1_36wrapped_merge_sort_block_sort_configINS1_28merge_sort_block_sort_configILj256ELj4ELNS0_20block_sort_algorithmE0EEElN2at4cuda3cub6detail10OpaqueTypeILi8EEEEENS1_37wrapped_merge_sort_block_merge_configINS0_14default_configElSC_EEEEvv.kd
    .uniform_work_group_size: 1
    .uses_dynamic_stack: false
    .vgpr_count:     0
    .vgpr_spill_count: 0
    .wavefront_size: 64
  - .args:
      - .address_space:  global
        .offset:         0
        .size:           8
        .value_kind:     global_buffer
      - .offset:         8
        .size:           4
        .value_kind:     by_value
      - .offset:         12
        .size:           4
        .value_kind:     by_value
      - .address_space:  global
        .offset:         16
        .size:           8
        .value_kind:     global_buffer
      - .offset:         24
        .size:           1
        .value_kind:     by_value
      - .offset:         28
        .size:           4
        .value_kind:     by_value
    .group_segment_fixed_size: 0
    .kernarg_segment_align: 8
    .kernarg_segment_size: 32
    .language:       OpenCL C
    .language_version:
      - 2
      - 0
    .max_flat_workgroup_size: 128
    .name:           _ZN7rocprim17ROCPRIM_304000_NS6detail45device_block_merge_mergepath_partition_kernelINS1_37wrapped_merge_sort_block_merge_configINS0_14default_configElN2at4cuda3cub6detail10OpaqueTypeILi8EEEEEPljNS1_19radix_merge_compareILb1ELb0ElNS0_19identity_decomposerEEEEEvT0_T1_jPSH_T2_SH_
    .private_segment_fixed_size: 0
    .sgpr_count:     11
    .sgpr_spill_count: 0
    .symbol:         _ZN7rocprim17ROCPRIM_304000_NS6detail45device_block_merge_mergepath_partition_kernelINS1_37wrapped_merge_sort_block_merge_configINS0_14default_configElN2at4cuda3cub6detail10OpaqueTypeILi8EEEEEPljNS1_19radix_merge_compareILb1ELb0ElNS0_19identity_decomposerEEEEEvT0_T1_jPSH_T2_SH_.kd
    .uniform_work_group_size: 1
    .uses_dynamic_stack: false
    .vgpr_count:     19
    .vgpr_spill_count: 0
    .wavefront_size: 64
  - .args:
      - .address_space:  global
        .offset:         0
        .size:           8
        .value_kind:     global_buffer
      - .address_space:  global
        .offset:         8
        .size:           8
        .value_kind:     global_buffer
      - .address_space:  global
        .offset:         16
        .size:           8
        .value_kind:     global_buffer
      - .address_space:  global
        .offset:         24
        .size:           8
        .value_kind:     global_buffer
      - .offset:         32
        .size:           4
        .value_kind:     by_value
      - .offset:         36
        .size:           4
        .value_kind:     by_value
      - .offset:         40
        .size:           4
        .value_kind:     by_value
      - .offset:         44
        .size:           1
        .value_kind:     by_value
      - .address_space:  global
        .offset:         48
        .size:           8
        .value_kind:     global_buffer
      - .address_space:  global
        .offset:         56
        .size:           8
        .value_kind:     global_buffer
      - .offset:         64
        .size:           4
        .value_kind:     hidden_block_count_x
      - .offset:         68
        .size:           4
        .value_kind:     hidden_block_count_y
      - .offset:         72
        .size:           4
        .value_kind:     hidden_block_count_z
      - .offset:         76
        .size:           2
        .value_kind:     hidden_group_size_x
      - .offset:         78
        .size:           2
        .value_kind:     hidden_group_size_y
      - .offset:         80
        .size:           2
        .value_kind:     hidden_group_size_z
      - .offset:         82
        .size:           2
        .value_kind:     hidden_remainder_x
      - .offset:         84
        .size:           2
        .value_kind:     hidden_remainder_y
      - .offset:         86
        .size:           2
        .value_kind:     hidden_remainder_z
      - .offset:         104
        .size:           8
        .value_kind:     hidden_global_offset_x
      - .offset:         112
        .size:           8
        .value_kind:     hidden_global_offset_y
      - .offset:         120
        .size:           8
        .value_kind:     hidden_global_offset_z
      - .offset:         128
        .size:           2
        .value_kind:     hidden_grid_dims
    .group_segment_fixed_size: 8448
    .kernarg_segment_align: 8
    .kernarg_segment_size: 320
    .language:       OpenCL C
    .language_version:
      - 2
      - 0
    .max_flat_workgroup_size: 128
    .name:           _ZN7rocprim17ROCPRIM_304000_NS6detail35device_block_merge_mergepath_kernelINS1_37wrapped_merge_sort_block_merge_configINS0_14default_configElN2at4cuda3cub6detail10OpaqueTypeILi8EEEEEPlSC_PSA_SD_jNS1_19radix_merge_compareILb1ELb0ElNS0_19identity_decomposerEEEEEvT0_T1_T2_T3_T4_SL_jT5_PKSL_NS1_7vsmem_tE
    .private_segment_fixed_size: 0
    .sgpr_count:     38
    .sgpr_spill_count: 0
    .symbol:         _ZN7rocprim17ROCPRIM_304000_NS6detail35device_block_merge_mergepath_kernelINS1_37wrapped_merge_sort_block_merge_configINS0_14default_configElN2at4cuda3cub6detail10OpaqueTypeILi8EEEEEPlSC_PSA_SD_jNS1_19radix_merge_compareILb1ELb0ElNS0_19identity_decomposerEEEEEvT0_T1_T2_T3_T4_SL_jT5_PKSL_NS1_7vsmem_tE.kd
    .uniform_work_group_size: 1
    .uses_dynamic_stack: false
    .vgpr_count:     45
    .vgpr_spill_count: 0
    .wavefront_size: 64
  - .args:
      - .address_space:  global
        .offset:         0
        .size:           8
        .value_kind:     global_buffer
      - .address_space:  global
        .offset:         8
        .size:           8
        .value_kind:     global_buffer
      - .address_space:  global
        .offset:         16
        .size:           8
        .value_kind:     global_buffer
      - .address_space:  global
        .offset:         24
        .size:           8
        .value_kind:     global_buffer
      - .offset:         32
        .size:           4
        .value_kind:     by_value
      - .offset:         36
        .size:           4
        .value_kind:     by_value
      - .offset:         40
        .size:           1
        .value_kind:     by_value
    .group_segment_fixed_size: 0
    .kernarg_segment_align: 8
    .kernarg_segment_size: 44
    .language:       OpenCL C
    .language_version:
      - 2
      - 0
    .max_flat_workgroup_size: 256
    .name:           _ZN7rocprim17ROCPRIM_304000_NS6detail33device_block_merge_oddeven_kernelINS1_37wrapped_merge_sort_block_merge_configINS0_14default_configElN2at4cuda3cub6detail10OpaqueTypeILi8EEEEEPlSC_PSA_SD_jNS1_19radix_merge_compareILb1ELb0ElNS0_19identity_decomposerEEEEEvT0_T1_T2_T3_T4_SL_T5_
    .private_segment_fixed_size: 0
    .sgpr_count:     26
    .sgpr_spill_count: 0
    .symbol:         _ZN7rocprim17ROCPRIM_304000_NS6detail33device_block_merge_oddeven_kernelINS1_37wrapped_merge_sort_block_merge_configINS0_14default_configElN2at4cuda3cub6detail10OpaqueTypeILi8EEEEEPlSC_PSA_SD_jNS1_19radix_merge_compareILb1ELb0ElNS0_19identity_decomposerEEEEEvT0_T1_T2_T3_T4_SL_T5_.kd
    .uniform_work_group_size: 1
    .uses_dynamic_stack: false
    .vgpr_count:     14
    .vgpr_spill_count: 0
    .wavefront_size: 64
  - .args:
      - .address_space:  global
        .offset:         0
        .size:           8
        .value_kind:     global_buffer
      - .offset:         8
        .size:           8
        .value_kind:     by_value
      - .address_space:  global
        .offset:         16
        .size:           8
        .value_kind:     global_buffer
      - .offset:         24
        .size:           1
        .value_kind:     by_value
      - .offset:         32
        .size:           4
        .value_kind:     hidden_block_count_x
      - .offset:         36
        .size:           4
        .value_kind:     hidden_block_count_y
      - .offset:         40
        .size:           4
        .value_kind:     hidden_block_count_z
      - .offset:         44
        .size:           2
        .value_kind:     hidden_group_size_x
      - .offset:         46
        .size:           2
        .value_kind:     hidden_group_size_y
      - .offset:         48
        .size:           2
        .value_kind:     hidden_group_size_z
      - .offset:         50
        .size:           2
        .value_kind:     hidden_remainder_x
      - .offset:         52
        .size:           2
        .value_kind:     hidden_remainder_y
      - .offset:         54
        .size:           2
        .value_kind:     hidden_remainder_z
      - .offset:         72
        .size:           8
        .value_kind:     hidden_global_offset_x
      - .offset:         80
        .size:           8
        .value_kind:     hidden_global_offset_y
      - .offset:         88
        .size:           8
        .value_kind:     hidden_global_offset_z
      - .offset:         96
        .size:           2
        .value_kind:     hidden_grid_dims
    .group_segment_fixed_size: 0
    .kernarg_segment_align: 8
    .kernarg_segment_size: 288
    .language:       OpenCL C
    .language_version:
      - 2
      - 0
    .max_flat_workgroup_size: 512
    .name:           _ZN7rocprim17ROCPRIM_304000_NS6detail16transform_kernelINS1_24wrapped_transform_configINS0_14default_configElEElPlS6_NS0_8identityIlEEEEvT1_mT2_T3_
    .private_segment_fixed_size: 0
    .sgpr_count:     14
    .sgpr_spill_count: 0
    .symbol:         _ZN7rocprim17ROCPRIM_304000_NS6detail16transform_kernelINS1_24wrapped_transform_configINS0_14default_configElEElPlS6_NS0_8identityIlEEEEvT1_mT2_T3_.kd
    .uniform_work_group_size: 1
    .uses_dynamic_stack: false
    .vgpr_count:     3
    .vgpr_spill_count: 0
    .wavefront_size: 64
  - .args:
      - .address_space:  global
        .offset:         0
        .size:           8
        .value_kind:     global_buffer
      - .offset:         8
        .size:           4
        .value_kind:     by_value
      - .offset:         12
        .size:           4
        .value_kind:     by_value
      - .address_space:  global
        .offset:         16
        .size:           8
        .value_kind:     global_buffer
      - .offset:         24
        .size:           8
        .value_kind:     by_value
      - .offset:         32
        .size:           4
        .value_kind:     by_value
    .group_segment_fixed_size: 0
    .kernarg_segment_align: 8
    .kernarg_segment_size: 36
    .language:       OpenCL C
    .language_version:
      - 2
      - 0
    .max_flat_workgroup_size: 128
    .name:           _ZN7rocprim17ROCPRIM_304000_NS6detail45device_block_merge_mergepath_partition_kernelINS1_37wrapped_merge_sort_block_merge_configINS0_14default_configElN2at4cuda3cub6detail10OpaqueTypeILi8EEEEEPljNS1_19radix_merge_compareILb1ELb1ElNS0_19identity_decomposerEEEEEvT0_T1_jPSH_T2_SH_
    .private_segment_fixed_size: 0
    .sgpr_count:     14
    .sgpr_spill_count: 0
    .symbol:         _ZN7rocprim17ROCPRIM_304000_NS6detail45device_block_merge_mergepath_partition_kernelINS1_37wrapped_merge_sort_block_merge_configINS0_14default_configElN2at4cuda3cub6detail10OpaqueTypeILi8EEEEEPljNS1_19radix_merge_compareILb1ELb1ElNS0_19identity_decomposerEEEEEvT0_T1_jPSH_T2_SH_.kd
    .uniform_work_group_size: 1
    .uses_dynamic_stack: false
    .vgpr_count:     16
    .vgpr_spill_count: 0
    .wavefront_size: 64
  - .args:
      - .address_space:  global
        .offset:         0
        .size:           8
        .value_kind:     global_buffer
      - .address_space:  global
        .offset:         8
        .size:           8
        .value_kind:     global_buffer
      - .address_space:  global
        .offset:         16
        .size:           8
        .value_kind:     global_buffer
      - .address_space:  global
        .offset:         24
        .size:           8
        .value_kind:     global_buffer
      - .offset:         32
        .size:           4
        .value_kind:     by_value
      - .offset:         36
        .size:           4
        .value_kind:     by_value
      - .offset:         40
        .size:           4
        .value_kind:     by_value
      - .offset:         48
        .size:           8
        .value_kind:     by_value
      - .address_space:  global
        .offset:         56
        .size:           8
        .value_kind:     global_buffer
      - .address_space:  global
        .offset:         64
        .size:           8
        .value_kind:     global_buffer
      - .offset:         72
        .size:           4
        .value_kind:     hidden_block_count_x
      - .offset:         76
        .size:           4
        .value_kind:     hidden_block_count_y
      - .offset:         80
        .size:           4
        .value_kind:     hidden_block_count_z
      - .offset:         84
        .size:           2
        .value_kind:     hidden_group_size_x
      - .offset:         86
        .size:           2
        .value_kind:     hidden_group_size_y
      - .offset:         88
        .size:           2
        .value_kind:     hidden_group_size_z
      - .offset:         90
        .size:           2
        .value_kind:     hidden_remainder_x
      - .offset:         92
        .size:           2
        .value_kind:     hidden_remainder_y
      - .offset:         94
        .size:           2
        .value_kind:     hidden_remainder_z
      - .offset:         112
        .size:           8
        .value_kind:     hidden_global_offset_x
      - .offset:         120
        .size:           8
        .value_kind:     hidden_global_offset_y
      - .offset:         128
        .size:           8
        .value_kind:     hidden_global_offset_z
      - .offset:         136
        .size:           2
        .value_kind:     hidden_grid_dims
    .group_segment_fixed_size: 8448
    .kernarg_segment_align: 8
    .kernarg_segment_size: 328
    .language:       OpenCL C
    .language_version:
      - 2
      - 0
    .max_flat_workgroup_size: 128
    .name:           _ZN7rocprim17ROCPRIM_304000_NS6detail35device_block_merge_mergepath_kernelINS1_37wrapped_merge_sort_block_merge_configINS0_14default_configElN2at4cuda3cub6detail10OpaqueTypeILi8EEEEEPlSC_PSA_SD_jNS1_19radix_merge_compareILb1ELb1ElNS0_19identity_decomposerEEEEEvT0_T1_T2_T3_T4_SL_jT5_PKSL_NS1_7vsmem_tE
    .private_segment_fixed_size: 0
    .sgpr_count:     40
    .sgpr_spill_count: 0
    .symbol:         _ZN7rocprim17ROCPRIM_304000_NS6detail35device_block_merge_mergepath_kernelINS1_37wrapped_merge_sort_block_merge_configINS0_14default_configElN2at4cuda3cub6detail10OpaqueTypeILi8EEEEEPlSC_PSA_SD_jNS1_19radix_merge_compareILb1ELb1ElNS0_19identity_decomposerEEEEEvT0_T1_T2_T3_T4_SL_jT5_PKSL_NS1_7vsmem_tE.kd
    .uniform_work_group_size: 1
    .uses_dynamic_stack: false
    .vgpr_count:     45
    .vgpr_spill_count: 0
    .wavefront_size: 64
  - .args:
      - .address_space:  global
        .offset:         0
        .size:           8
        .value_kind:     global_buffer
      - .address_space:  global
        .offset:         8
        .size:           8
        .value_kind:     global_buffer
      - .address_space:  global
        .offset:         16
        .size:           8
        .value_kind:     global_buffer
      - .address_space:  global
        .offset:         24
        .size:           8
        .value_kind:     global_buffer
      - .offset:         32
        .size:           4
        .value_kind:     by_value
      - .offset:         36
        .size:           4
        .value_kind:     by_value
      - .offset:         40
        .size:           8
        .value_kind:     by_value
    .group_segment_fixed_size: 0
    .kernarg_segment_align: 8
    .kernarg_segment_size: 48
    .language:       OpenCL C
    .language_version:
      - 2
      - 0
    .max_flat_workgroup_size: 256
    .name:           _ZN7rocprim17ROCPRIM_304000_NS6detail33device_block_merge_oddeven_kernelINS1_37wrapped_merge_sort_block_merge_configINS0_14default_configElN2at4cuda3cub6detail10OpaqueTypeILi8EEEEEPlSC_PSA_SD_jNS1_19radix_merge_compareILb1ELb1ElNS0_19identity_decomposerEEEEEvT0_T1_T2_T3_T4_SL_T5_
    .private_segment_fixed_size: 0
    .sgpr_count:     28
    .sgpr_spill_count: 0
    .symbol:         _ZN7rocprim17ROCPRIM_304000_NS6detail33device_block_merge_oddeven_kernelINS1_37wrapped_merge_sort_block_merge_configINS0_14default_configElN2at4cuda3cub6detail10OpaqueTypeILi8EEEEEPlSC_PSA_SD_jNS1_19radix_merge_compareILb1ELb1ElNS0_19identity_decomposerEEEEEvT0_T1_T2_T3_T4_SL_T5_.kd
    .uniform_work_group_size: 1
    .uses_dynamic_stack: false
    .vgpr_count:     16
    .vgpr_spill_count: 0
    .wavefront_size: 64
  - .args:
      - .address_space:  global
        .offset:         0
        .size:           8
        .value_kind:     global_buffer
      - .address_space:  global
        .offset:         8
        .size:           8
        .value_kind:     global_buffer
      - .offset:         16
        .size:           8
        .value_kind:     by_value
      - .offset:         24
        .size:           8
        .value_kind:     by_value
      - .offset:         32
        .size:           1
        .value_kind:     by_value
      - .offset:         36
        .size:           4
        .value_kind:     by_value
      - .offset:         40
        .size:           4
        .value_kind:     by_value
    .group_segment_fixed_size: 32768
    .kernarg_segment_align: 8
    .kernarg_segment_size: 44
    .language:       OpenCL C
    .language_version:
      - 2
      - 0
    .max_flat_workgroup_size: 512
    .name:           _ZN7rocprim17ROCPRIM_304000_NS6detail26onesweep_histograms_kernelINS1_34wrapped_radix_sort_onesweep_configINS0_14default_configElN2at4cuda3cub6detail10OpaqueTypeILi8EEEEELb1EPKlmNS0_19identity_decomposerEEEvT1_PT2_SG_SG_T3_jj
    .private_segment_fixed_size: 0
    .sgpr_count:     30
    .sgpr_spill_count: 0
    .symbol:         _ZN7rocprim17ROCPRIM_304000_NS6detail26onesweep_histograms_kernelINS1_34wrapped_radix_sort_onesweep_configINS0_14default_configElN2at4cuda3cub6detail10OpaqueTypeILi8EEEEELb1EPKlmNS0_19identity_decomposerEEEvT1_PT2_SG_SG_T3_jj.kd
    .uniform_work_group_size: 1
    .uses_dynamic_stack: false
    .vgpr_count:     25
    .vgpr_spill_count: 0
    .wavefront_size: 64
  - .args:
      - .address_space:  global
        .offset:         0
        .size:           8
        .value_kind:     global_buffer
    .group_segment_fixed_size: 64
    .kernarg_segment_align: 8
    .kernarg_segment_size: 8
    .language:       OpenCL C
    .language_version:
      - 2
      - 0
    .max_flat_workgroup_size: 512
    .name:           _ZN7rocprim17ROCPRIM_304000_NS6detail31onesweep_scan_histograms_kernelINS1_34wrapped_radix_sort_onesweep_configINS0_14default_configElN2at4cuda3cub6detail10OpaqueTypeILi8EEEEEmEEvPT0_
    .private_segment_fixed_size: 0
    .sgpr_count:     12
    .sgpr_spill_count: 0
    .symbol:         _ZN7rocprim17ROCPRIM_304000_NS6detail31onesweep_scan_histograms_kernelINS1_34wrapped_radix_sort_onesweep_configINS0_14default_configElN2at4cuda3cub6detail10OpaqueTypeILi8EEEEEmEEvPT0_.kd
    .uniform_work_group_size: 1
    .uses_dynamic_stack: false
    .vgpr_count:     12
    .vgpr_spill_count: 0
    .wavefront_size: 64
  - .args:
      - .address_space:  global
        .offset:         0
        .size:           8
        .value_kind:     global_buffer
      - .offset:         8
        .size:           8
        .value_kind:     by_value
      - .address_space:  global
        .offset:         16
        .size:           8
        .value_kind:     global_buffer
      - .offset:         24
        .size:           1
        .value_kind:     by_value
      - .offset:         32
        .size:           4
        .value_kind:     hidden_block_count_x
      - .offset:         36
        .size:           4
        .value_kind:     hidden_block_count_y
      - .offset:         40
        .size:           4
        .value_kind:     hidden_block_count_z
      - .offset:         44
        .size:           2
        .value_kind:     hidden_group_size_x
      - .offset:         46
        .size:           2
        .value_kind:     hidden_group_size_y
      - .offset:         48
        .size:           2
        .value_kind:     hidden_group_size_z
      - .offset:         50
        .size:           2
        .value_kind:     hidden_remainder_x
      - .offset:         52
        .size:           2
        .value_kind:     hidden_remainder_y
      - .offset:         54
        .size:           2
        .value_kind:     hidden_remainder_z
      - .offset:         72
        .size:           8
        .value_kind:     hidden_global_offset_x
      - .offset:         80
        .size:           8
        .value_kind:     hidden_global_offset_y
      - .offset:         88
        .size:           8
        .value_kind:     hidden_global_offset_z
      - .offset:         96
        .size:           2
        .value_kind:     hidden_grid_dims
    .group_segment_fixed_size: 0
    .kernarg_segment_align: 8
    .kernarg_segment_size: 288
    .language:       OpenCL C
    .language_version:
      - 2
      - 0
    .max_flat_workgroup_size: 512
    .name:           _ZN7rocprim17ROCPRIM_304000_NS6detail16transform_kernelINS1_24wrapped_transform_configINS0_14default_configElEElPKlPlNS0_8identityIlEEEEvT1_mT2_T3_
    .private_segment_fixed_size: 0
    .sgpr_count:     14
    .sgpr_spill_count: 0
    .symbol:         _ZN7rocprim17ROCPRIM_304000_NS6detail16transform_kernelINS1_24wrapped_transform_configINS0_14default_configElEElPKlPlNS0_8identityIlEEEEvT1_mT2_T3_.kd
    .uniform_work_group_size: 1
    .uses_dynamic_stack: false
    .vgpr_count:     3
    .vgpr_spill_count: 0
    .wavefront_size: 64
  - .args:
      - .address_space:  global
        .offset:         0
        .size:           8
        .value_kind:     global_buffer
      - .address_space:  global
        .offset:         8
        .size:           8
        .value_kind:     global_buffer
      - .address_space:  global
        .offset:         16
        .size:           8
        .value_kind:     global_buffer
      - .address_space:  global
        .offset:         24
        .size:           8
        .value_kind:     global_buffer
      - .offset:         32
        .size:           4
        .value_kind:     by_value
      - .address_space:  global
        .offset:         40
        .size:           8
        .value_kind:     global_buffer
      - .address_space:  global
        .offset:         48
        .size:           8
        .value_kind:     global_buffer
      - .address_space:  global
        .offset:         56
        .size:           8
        .value_kind:     global_buffer
      - .offset:         64
        .size:           1
        .value_kind:     by_value
      - .offset:         68
        .size:           4
        .value_kind:     by_value
      - .offset:         72
        .size:           4
        .value_kind:     by_value
      - .offset:         76
        .size:           4
        .value_kind:     by_value
      - .offset:         80
        .size:           4
        .value_kind:     hidden_block_count_x
      - .offset:         84
        .size:           4
        .value_kind:     hidden_block_count_y
      - .offset:         88
        .size:           4
        .value_kind:     hidden_block_count_z
      - .offset:         92
        .size:           2
        .value_kind:     hidden_group_size_x
      - .offset:         94
        .size:           2
        .value_kind:     hidden_group_size_y
      - .offset:         96
        .size:           2
        .value_kind:     hidden_group_size_z
      - .offset:         98
        .size:           2
        .value_kind:     hidden_remainder_x
      - .offset:         100
        .size:           2
        .value_kind:     hidden_remainder_y
      - .offset:         102
        .size:           2
        .value_kind:     hidden_remainder_z
      - .offset:         120
        .size:           8
        .value_kind:     hidden_global_offset_x
      - .offset:         128
        .size:           8
        .value_kind:     hidden_global_offset_y
      - .offset:         136
        .size:           8
        .value_kind:     hidden_global_offset_z
      - .offset:         144
        .size:           2
        .value_kind:     hidden_grid_dims
    .group_segment_fixed_size: 26624
    .kernarg_segment_align: 8
    .kernarg_segment_size: 336
    .language:       OpenCL C
    .language_version:
      - 2
      - 0
    .max_flat_workgroup_size: 512
    .name:           _ZN7rocprim17ROCPRIM_304000_NS6detail25onesweep_iteration_kernelINS1_34wrapped_radix_sort_onesweep_configINS0_14default_configElN2at4cuda3cub6detail10OpaqueTypeILi8EEEEELb1EPKlPlPKSA_PSA_mNS0_19identity_decomposerEEEvT1_T2_T3_T4_jPT5_SO_PNS1_23onesweep_lookback_stateET6_jjj
    .private_segment_fixed_size: 0
    .sgpr_count:     58
    .sgpr_spill_count: 0
    .symbol:         _ZN7rocprim17ROCPRIM_304000_NS6detail25onesweep_iteration_kernelINS1_34wrapped_radix_sort_onesweep_configINS0_14default_configElN2at4cuda3cub6detail10OpaqueTypeILi8EEEEELb1EPKlPlPKSA_PSA_mNS0_19identity_decomposerEEEvT1_T2_T3_T4_jPT5_SO_PNS1_23onesweep_lookback_stateET6_jjj.kd
    .uniform_work_group_size: 1
    .uses_dynamic_stack: false
    .vgpr_count:     47
    .vgpr_spill_count: 0
    .wavefront_size: 64
  - .args:
      - .address_space:  global
        .offset:         0
        .size:           8
        .value_kind:     global_buffer
      - .address_space:  global
        .offset:         8
        .size:           8
        .value_kind:     global_buffer
      - .address_space:  global
        .offset:         16
        .size:           8
        .value_kind:     global_buffer
      - .address_space:  global
        .offset:         24
        .size:           8
        .value_kind:     global_buffer
      - .offset:         32
        .size:           4
        .value_kind:     by_value
      - .address_space:  global
        .offset:         40
        .size:           8
        .value_kind:     global_buffer
      - .address_space:  global
        .offset:         48
        .size:           8
        .value_kind:     global_buffer
      - .address_space:  global
        .offset:         56
        .size:           8
        .value_kind:     global_buffer
      - .offset:         64
        .size:           1
        .value_kind:     by_value
      - .offset:         68
        .size:           4
        .value_kind:     by_value
      - .offset:         72
        .size:           4
        .value_kind:     by_value
      - .offset:         76
        .size:           4
        .value_kind:     by_value
      - .offset:         80
        .size:           4
        .value_kind:     hidden_block_count_x
      - .offset:         84
        .size:           4
        .value_kind:     hidden_block_count_y
      - .offset:         88
        .size:           4
        .value_kind:     hidden_block_count_z
      - .offset:         92
        .size:           2
        .value_kind:     hidden_group_size_x
      - .offset:         94
        .size:           2
        .value_kind:     hidden_group_size_y
      - .offset:         96
        .size:           2
        .value_kind:     hidden_group_size_z
      - .offset:         98
        .size:           2
        .value_kind:     hidden_remainder_x
      - .offset:         100
        .size:           2
        .value_kind:     hidden_remainder_y
      - .offset:         102
        .size:           2
        .value_kind:     hidden_remainder_z
      - .offset:         120
        .size:           8
        .value_kind:     hidden_global_offset_x
      - .offset:         128
        .size:           8
        .value_kind:     hidden_global_offset_y
      - .offset:         136
        .size:           8
        .value_kind:     hidden_global_offset_z
      - .offset:         144
        .size:           2
        .value_kind:     hidden_grid_dims
    .group_segment_fixed_size: 26624
    .kernarg_segment_align: 8
    .kernarg_segment_size: 336
    .language:       OpenCL C
    .language_version:
      - 2
      - 0
    .max_flat_workgroup_size: 512
    .name:           _ZN7rocprim17ROCPRIM_304000_NS6detail25onesweep_iteration_kernelINS1_34wrapped_radix_sort_onesweep_configINS0_14default_configElN2at4cuda3cub6detail10OpaqueTypeILi8EEEEELb1EPlSC_PSA_SD_mNS0_19identity_decomposerEEEvT1_T2_T3_T4_jPT5_SK_PNS1_23onesweep_lookback_stateET6_jjj
    .private_segment_fixed_size: 0
    .sgpr_count:     58
    .sgpr_spill_count: 0
    .symbol:         _ZN7rocprim17ROCPRIM_304000_NS6detail25onesweep_iteration_kernelINS1_34wrapped_radix_sort_onesweep_configINS0_14default_configElN2at4cuda3cub6detail10OpaqueTypeILi8EEEEELb1EPlSC_PSA_SD_mNS0_19identity_decomposerEEEvT1_T2_T3_T4_jPT5_SK_PNS1_23onesweep_lookback_stateET6_jjj.kd
    .uniform_work_group_size: 1
    .uses_dynamic_stack: false
    .vgpr_count:     47
    .vgpr_spill_count: 0
    .wavefront_size: 64
  - .args:
      - .address_space:  global
        .offset:         0
        .size:           8
        .value_kind:     global_buffer
      - .address_space:  global
        .offset:         8
        .size:           8
        .value_kind:     global_buffer
      - .address_space:  global
        .offset:         16
        .size:           8
        .value_kind:     global_buffer
      - .address_space:  global
        .offset:         24
        .size:           8
        .value_kind:     global_buffer
      - .offset:         32
        .size:           4
        .value_kind:     by_value
      - .offset:         36
        .size:           1
        .value_kind:     by_value
      - .offset:         40
        .size:           4
        .value_kind:     by_value
      - .offset:         44
        .size:           4
        .value_kind:     by_value
      - .offset:         48
        .size:           4
        .value_kind:     hidden_block_count_x
      - .offset:         52
        .size:           4
        .value_kind:     hidden_block_count_y
      - .offset:         56
        .size:           4
        .value_kind:     hidden_block_count_z
      - .offset:         60
        .size:           2
        .value_kind:     hidden_group_size_x
      - .offset:         62
        .size:           2
        .value_kind:     hidden_group_size_y
      - .offset:         64
        .size:           2
        .value_kind:     hidden_group_size_z
      - .offset:         66
        .size:           2
        .value_kind:     hidden_remainder_x
      - .offset:         68
        .size:           2
        .value_kind:     hidden_remainder_y
      - .offset:         70
        .size:           2
        .value_kind:     hidden_remainder_z
      - .offset:         88
        .size:           8
        .value_kind:     hidden_global_offset_x
      - .offset:         96
        .size:           8
        .value_kind:     hidden_global_offset_y
      - .offset:         104
        .size:           8
        .value_kind:     hidden_global_offset_z
      - .offset:         112
        .size:           2
        .value_kind:     hidden_grid_dims
    .group_segment_fixed_size: 8192
    .kernarg_segment_align: 8
    .kernarg_segment_size: 304
    .language:       OpenCL C
    .language_version:
      - 2
      - 0
    .max_flat_workgroup_size: 256
    .name:           _ZN7rocprim17ROCPRIM_304000_NS6detail28radix_sort_block_sort_kernelINS1_36wrapped_radix_sort_block_sort_configINS0_13kernel_configILj256ELj4ELj4294967295EEElN2at4cuda3cub6detail10OpaqueTypeILi8EEEEELb0EPKlPlPKSB_PSB_NS0_19identity_decomposerEEEvT1_T2_T3_T4_jT5_jj
    .private_segment_fixed_size: 0
    .sgpr_count:     48
    .sgpr_spill_count: 0
    .symbol:         _ZN7rocprim17ROCPRIM_304000_NS6detail28radix_sort_block_sort_kernelINS1_36wrapped_radix_sort_block_sort_configINS0_13kernel_configILj256ELj4ELj4294967295EEElN2at4cuda3cub6detail10OpaqueTypeILi8EEEEELb0EPKlPlPKSB_PSB_NS0_19identity_decomposerEEEvT1_T2_T3_T4_jT5_jj.kd
    .uniform_work_group_size: 1
    .uses_dynamic_stack: false
    .vgpr_count:     49
    .vgpr_spill_count: 0
    .wavefront_size: 64
  - .args:
      - .address_space:  global
        .offset:         0
        .size:           8
        .value_kind:     global_buffer
      - .offset:         8
        .size:           4
        .value_kind:     by_value
      - .offset:         12
        .size:           4
        .value_kind:     by_value
      - .address_space:  global
        .offset:         16
        .size:           8
        .value_kind:     global_buffer
      - .offset:         24
        .size:           1
        .value_kind:     by_value
      - .offset:         28
        .size:           4
        .value_kind:     by_value
    .group_segment_fixed_size: 0
    .kernarg_segment_align: 8
    .kernarg_segment_size: 32
    .language:       OpenCL C
    .language_version:
      - 2
      - 0
    .max_flat_workgroup_size: 128
    .name:           _ZN7rocprim17ROCPRIM_304000_NS6detail45device_block_merge_mergepath_partition_kernelINS1_37wrapped_merge_sort_block_merge_configINS0_14default_configElN2at4cuda3cub6detail10OpaqueTypeILi8EEEEEPljNS1_19radix_merge_compareILb0ELb0ElNS0_19identity_decomposerEEEEEvT0_T1_jPSH_T2_SH_
    .private_segment_fixed_size: 0
    .sgpr_count:     11
    .sgpr_spill_count: 0
    .symbol:         _ZN7rocprim17ROCPRIM_304000_NS6detail45device_block_merge_mergepath_partition_kernelINS1_37wrapped_merge_sort_block_merge_configINS0_14default_configElN2at4cuda3cub6detail10OpaqueTypeILi8EEEEEPljNS1_19radix_merge_compareILb0ELb0ElNS0_19identity_decomposerEEEEEvT0_T1_jPSH_T2_SH_.kd
    .uniform_work_group_size: 1
    .uses_dynamic_stack: false
    .vgpr_count:     19
    .vgpr_spill_count: 0
    .wavefront_size: 64
  - .args:
      - .address_space:  global
        .offset:         0
        .size:           8
        .value_kind:     global_buffer
      - .address_space:  global
        .offset:         8
        .size:           8
        .value_kind:     global_buffer
      - .address_space:  global
        .offset:         16
        .size:           8
        .value_kind:     global_buffer
      - .address_space:  global
        .offset:         24
        .size:           8
        .value_kind:     global_buffer
      - .offset:         32
        .size:           4
        .value_kind:     by_value
      - .offset:         36
        .size:           4
        .value_kind:     by_value
      - .offset:         40
        .size:           4
        .value_kind:     by_value
      - .offset:         44
        .size:           1
        .value_kind:     by_value
      - .address_space:  global
        .offset:         48
        .size:           8
        .value_kind:     global_buffer
      - .address_space:  global
        .offset:         56
        .size:           8
        .value_kind:     global_buffer
      - .offset:         64
        .size:           4
        .value_kind:     hidden_block_count_x
      - .offset:         68
        .size:           4
        .value_kind:     hidden_block_count_y
      - .offset:         72
        .size:           4
        .value_kind:     hidden_block_count_z
      - .offset:         76
        .size:           2
        .value_kind:     hidden_group_size_x
      - .offset:         78
        .size:           2
        .value_kind:     hidden_group_size_y
      - .offset:         80
        .size:           2
        .value_kind:     hidden_group_size_z
      - .offset:         82
        .size:           2
        .value_kind:     hidden_remainder_x
      - .offset:         84
        .size:           2
        .value_kind:     hidden_remainder_y
      - .offset:         86
        .size:           2
        .value_kind:     hidden_remainder_z
      - .offset:         104
        .size:           8
        .value_kind:     hidden_global_offset_x
      - .offset:         112
        .size:           8
        .value_kind:     hidden_global_offset_y
      - .offset:         120
        .size:           8
        .value_kind:     hidden_global_offset_z
      - .offset:         128
        .size:           2
        .value_kind:     hidden_grid_dims
    .group_segment_fixed_size: 8448
    .kernarg_segment_align: 8
    .kernarg_segment_size: 320
    .language:       OpenCL C
    .language_version:
      - 2
      - 0
    .max_flat_workgroup_size: 128
    .name:           _ZN7rocprim17ROCPRIM_304000_NS6detail35device_block_merge_mergepath_kernelINS1_37wrapped_merge_sort_block_merge_configINS0_14default_configElN2at4cuda3cub6detail10OpaqueTypeILi8EEEEEPlSC_PSA_SD_jNS1_19radix_merge_compareILb0ELb0ElNS0_19identity_decomposerEEEEEvT0_T1_T2_T3_T4_SL_jT5_PKSL_NS1_7vsmem_tE
    .private_segment_fixed_size: 0
    .sgpr_count:     38
    .sgpr_spill_count: 0
    .symbol:         _ZN7rocprim17ROCPRIM_304000_NS6detail35device_block_merge_mergepath_kernelINS1_37wrapped_merge_sort_block_merge_configINS0_14default_configElN2at4cuda3cub6detail10OpaqueTypeILi8EEEEEPlSC_PSA_SD_jNS1_19radix_merge_compareILb0ELb0ElNS0_19identity_decomposerEEEEEvT0_T1_T2_T3_T4_SL_jT5_PKSL_NS1_7vsmem_tE.kd
    .uniform_work_group_size: 1
    .uses_dynamic_stack: false
    .vgpr_count:     45
    .vgpr_spill_count: 0
    .wavefront_size: 64
  - .args:
      - .address_space:  global
        .offset:         0
        .size:           8
        .value_kind:     global_buffer
      - .address_space:  global
        .offset:         8
        .size:           8
        .value_kind:     global_buffer
      - .address_space:  global
        .offset:         16
        .size:           8
        .value_kind:     global_buffer
      - .address_space:  global
        .offset:         24
        .size:           8
        .value_kind:     global_buffer
      - .offset:         32
        .size:           4
        .value_kind:     by_value
      - .offset:         36
        .size:           4
        .value_kind:     by_value
      - .offset:         40
        .size:           1
        .value_kind:     by_value
    .group_segment_fixed_size: 0
    .kernarg_segment_align: 8
    .kernarg_segment_size: 44
    .language:       OpenCL C
    .language_version:
      - 2
      - 0
    .max_flat_workgroup_size: 256
    .name:           _ZN7rocprim17ROCPRIM_304000_NS6detail33device_block_merge_oddeven_kernelINS1_37wrapped_merge_sort_block_merge_configINS0_14default_configElN2at4cuda3cub6detail10OpaqueTypeILi8EEEEEPlSC_PSA_SD_jNS1_19radix_merge_compareILb0ELb0ElNS0_19identity_decomposerEEEEEvT0_T1_T2_T3_T4_SL_T5_
    .private_segment_fixed_size: 0
    .sgpr_count:     26
    .sgpr_spill_count: 0
    .symbol:         _ZN7rocprim17ROCPRIM_304000_NS6detail33device_block_merge_oddeven_kernelINS1_37wrapped_merge_sort_block_merge_configINS0_14default_configElN2at4cuda3cub6detail10OpaqueTypeILi8EEEEEPlSC_PSA_SD_jNS1_19radix_merge_compareILb0ELb0ElNS0_19identity_decomposerEEEEEvT0_T1_T2_T3_T4_SL_T5_.kd
    .uniform_work_group_size: 1
    .uses_dynamic_stack: false
    .vgpr_count:     14
    .vgpr_spill_count: 0
    .wavefront_size: 64
  - .args:
      - .address_space:  global
        .offset:         0
        .size:           8
        .value_kind:     global_buffer
      - .offset:         8
        .size:           4
        .value_kind:     by_value
      - .offset:         12
        .size:           4
        .value_kind:     by_value
      - .address_space:  global
        .offset:         16
        .size:           8
        .value_kind:     global_buffer
      - .offset:         24
        .size:           8
        .value_kind:     by_value
      - .offset:         32
        .size:           4
        .value_kind:     by_value
    .group_segment_fixed_size: 0
    .kernarg_segment_align: 8
    .kernarg_segment_size: 36
    .language:       OpenCL C
    .language_version:
      - 2
      - 0
    .max_flat_workgroup_size: 128
    .name:           _ZN7rocprim17ROCPRIM_304000_NS6detail45device_block_merge_mergepath_partition_kernelINS1_37wrapped_merge_sort_block_merge_configINS0_14default_configElN2at4cuda3cub6detail10OpaqueTypeILi8EEEEEPljNS1_19radix_merge_compareILb0ELb1ElNS0_19identity_decomposerEEEEEvT0_T1_jPSH_T2_SH_
    .private_segment_fixed_size: 0
    .sgpr_count:     14
    .sgpr_spill_count: 0
    .symbol:         _ZN7rocprim17ROCPRIM_304000_NS6detail45device_block_merge_mergepath_partition_kernelINS1_37wrapped_merge_sort_block_merge_configINS0_14default_configElN2at4cuda3cub6detail10OpaqueTypeILi8EEEEEPljNS1_19radix_merge_compareILb0ELb1ElNS0_19identity_decomposerEEEEEvT0_T1_jPSH_T2_SH_.kd
    .uniform_work_group_size: 1
    .uses_dynamic_stack: false
    .vgpr_count:     16
    .vgpr_spill_count: 0
    .wavefront_size: 64
  - .args:
      - .address_space:  global
        .offset:         0
        .size:           8
        .value_kind:     global_buffer
      - .address_space:  global
        .offset:         8
        .size:           8
        .value_kind:     global_buffer
      - .address_space:  global
        .offset:         16
        .size:           8
        .value_kind:     global_buffer
      - .address_space:  global
        .offset:         24
        .size:           8
        .value_kind:     global_buffer
      - .offset:         32
        .size:           4
        .value_kind:     by_value
      - .offset:         36
        .size:           4
        .value_kind:     by_value
      - .offset:         40
        .size:           4
        .value_kind:     by_value
      - .offset:         48
        .size:           8
        .value_kind:     by_value
      - .address_space:  global
        .offset:         56
        .size:           8
        .value_kind:     global_buffer
      - .address_space:  global
        .offset:         64
        .size:           8
        .value_kind:     global_buffer
      - .offset:         72
        .size:           4
        .value_kind:     hidden_block_count_x
      - .offset:         76
        .size:           4
        .value_kind:     hidden_block_count_y
      - .offset:         80
        .size:           4
        .value_kind:     hidden_block_count_z
      - .offset:         84
        .size:           2
        .value_kind:     hidden_group_size_x
      - .offset:         86
        .size:           2
        .value_kind:     hidden_group_size_y
      - .offset:         88
        .size:           2
        .value_kind:     hidden_group_size_z
      - .offset:         90
        .size:           2
        .value_kind:     hidden_remainder_x
      - .offset:         92
        .size:           2
        .value_kind:     hidden_remainder_y
      - .offset:         94
        .size:           2
        .value_kind:     hidden_remainder_z
      - .offset:         112
        .size:           8
        .value_kind:     hidden_global_offset_x
      - .offset:         120
        .size:           8
        .value_kind:     hidden_global_offset_y
      - .offset:         128
        .size:           8
        .value_kind:     hidden_global_offset_z
      - .offset:         136
        .size:           2
        .value_kind:     hidden_grid_dims
    .group_segment_fixed_size: 8448
    .kernarg_segment_align: 8
    .kernarg_segment_size: 328
    .language:       OpenCL C
    .language_version:
      - 2
      - 0
    .max_flat_workgroup_size: 128
    .name:           _ZN7rocprim17ROCPRIM_304000_NS6detail35device_block_merge_mergepath_kernelINS1_37wrapped_merge_sort_block_merge_configINS0_14default_configElN2at4cuda3cub6detail10OpaqueTypeILi8EEEEEPlSC_PSA_SD_jNS1_19radix_merge_compareILb0ELb1ElNS0_19identity_decomposerEEEEEvT0_T1_T2_T3_T4_SL_jT5_PKSL_NS1_7vsmem_tE
    .private_segment_fixed_size: 0
    .sgpr_count:     40
    .sgpr_spill_count: 0
    .symbol:         _ZN7rocprim17ROCPRIM_304000_NS6detail35device_block_merge_mergepath_kernelINS1_37wrapped_merge_sort_block_merge_configINS0_14default_configElN2at4cuda3cub6detail10OpaqueTypeILi8EEEEEPlSC_PSA_SD_jNS1_19radix_merge_compareILb0ELb1ElNS0_19identity_decomposerEEEEEvT0_T1_T2_T3_T4_SL_jT5_PKSL_NS1_7vsmem_tE.kd
    .uniform_work_group_size: 1
    .uses_dynamic_stack: false
    .vgpr_count:     45
    .vgpr_spill_count: 0
    .wavefront_size: 64
  - .args:
      - .address_space:  global
        .offset:         0
        .size:           8
        .value_kind:     global_buffer
      - .address_space:  global
        .offset:         8
        .size:           8
        .value_kind:     global_buffer
      - .address_space:  global
        .offset:         16
        .size:           8
        .value_kind:     global_buffer
      - .address_space:  global
        .offset:         24
        .size:           8
        .value_kind:     global_buffer
      - .offset:         32
        .size:           4
        .value_kind:     by_value
      - .offset:         36
        .size:           4
        .value_kind:     by_value
      - .offset:         40
        .size:           8
        .value_kind:     by_value
    .group_segment_fixed_size: 0
    .kernarg_segment_align: 8
    .kernarg_segment_size: 48
    .language:       OpenCL C
    .language_version:
      - 2
      - 0
    .max_flat_workgroup_size: 256
    .name:           _ZN7rocprim17ROCPRIM_304000_NS6detail33device_block_merge_oddeven_kernelINS1_37wrapped_merge_sort_block_merge_configINS0_14default_configElN2at4cuda3cub6detail10OpaqueTypeILi8EEEEEPlSC_PSA_SD_jNS1_19radix_merge_compareILb0ELb1ElNS0_19identity_decomposerEEEEEvT0_T1_T2_T3_T4_SL_T5_
    .private_segment_fixed_size: 0
    .sgpr_count:     28
    .sgpr_spill_count: 0
    .symbol:         _ZN7rocprim17ROCPRIM_304000_NS6detail33device_block_merge_oddeven_kernelINS1_37wrapped_merge_sort_block_merge_configINS0_14default_configElN2at4cuda3cub6detail10OpaqueTypeILi8EEEEEPlSC_PSA_SD_jNS1_19radix_merge_compareILb0ELb1ElNS0_19identity_decomposerEEEEEvT0_T1_T2_T3_T4_SL_T5_.kd
    .uniform_work_group_size: 1
    .uses_dynamic_stack: false
    .vgpr_count:     16
    .vgpr_spill_count: 0
    .wavefront_size: 64
  - .args:
      - .address_space:  global
        .offset:         0
        .size:           8
        .value_kind:     global_buffer
      - .address_space:  global
        .offset:         8
        .size:           8
        .value_kind:     global_buffer
      - .offset:         16
        .size:           8
        .value_kind:     by_value
      - .offset:         24
        .size:           8
        .value_kind:     by_value
      - .offset:         32
        .size:           1
        .value_kind:     by_value
      - .offset:         36
        .size:           4
        .value_kind:     by_value
      - .offset:         40
        .size:           4
        .value_kind:     by_value
    .group_segment_fixed_size: 32768
    .kernarg_segment_align: 8
    .kernarg_segment_size: 44
    .language:       OpenCL C
    .language_version:
      - 2
      - 0
    .max_flat_workgroup_size: 512
    .name:           _ZN7rocprim17ROCPRIM_304000_NS6detail26onesweep_histograms_kernelINS1_34wrapped_radix_sort_onesweep_configINS0_14default_configElN2at4cuda3cub6detail10OpaqueTypeILi8EEEEELb0EPKlmNS0_19identity_decomposerEEEvT1_PT2_SG_SG_T3_jj
    .private_segment_fixed_size: 0
    .sgpr_count:     30
    .sgpr_spill_count: 0
    .symbol:         _ZN7rocprim17ROCPRIM_304000_NS6detail26onesweep_histograms_kernelINS1_34wrapped_radix_sort_onesweep_configINS0_14default_configElN2at4cuda3cub6detail10OpaqueTypeILi8EEEEELb0EPKlmNS0_19identity_decomposerEEEvT1_PT2_SG_SG_T3_jj.kd
    .uniform_work_group_size: 1
    .uses_dynamic_stack: false
    .vgpr_count:     25
    .vgpr_spill_count: 0
    .wavefront_size: 64
  - .args:
      - .address_space:  global
        .offset:         0
        .size:           8
        .value_kind:     global_buffer
      - .address_space:  global
        .offset:         8
        .size:           8
        .value_kind:     global_buffer
      - .address_space:  global
        .offset:         16
        .size:           8
        .value_kind:     global_buffer
      - .address_space:  global
        .offset:         24
        .size:           8
        .value_kind:     global_buffer
      - .offset:         32
        .size:           4
        .value_kind:     by_value
      - .address_space:  global
        .offset:         40
        .size:           8
        .value_kind:     global_buffer
      - .address_space:  global
        .offset:         48
        .size:           8
        .value_kind:     global_buffer
      - .address_space:  global
        .offset:         56
        .size:           8
        .value_kind:     global_buffer
      - .offset:         64
        .size:           1
        .value_kind:     by_value
      - .offset:         68
        .size:           4
        .value_kind:     by_value
      - .offset:         72
        .size:           4
        .value_kind:     by_value
      - .offset:         76
        .size:           4
        .value_kind:     by_value
      - .offset:         80
        .size:           4
        .value_kind:     hidden_block_count_x
      - .offset:         84
        .size:           4
        .value_kind:     hidden_block_count_y
      - .offset:         88
        .size:           4
        .value_kind:     hidden_block_count_z
      - .offset:         92
        .size:           2
        .value_kind:     hidden_group_size_x
      - .offset:         94
        .size:           2
        .value_kind:     hidden_group_size_y
      - .offset:         96
        .size:           2
        .value_kind:     hidden_group_size_z
      - .offset:         98
        .size:           2
        .value_kind:     hidden_remainder_x
      - .offset:         100
        .size:           2
        .value_kind:     hidden_remainder_y
      - .offset:         102
        .size:           2
        .value_kind:     hidden_remainder_z
      - .offset:         120
        .size:           8
        .value_kind:     hidden_global_offset_x
      - .offset:         128
        .size:           8
        .value_kind:     hidden_global_offset_y
      - .offset:         136
        .size:           8
        .value_kind:     hidden_global_offset_z
      - .offset:         144
        .size:           2
        .value_kind:     hidden_grid_dims
    .group_segment_fixed_size: 26624
    .kernarg_segment_align: 8
    .kernarg_segment_size: 336
    .language:       OpenCL C
    .language_version:
      - 2
      - 0
    .max_flat_workgroup_size: 512
    .name:           _ZN7rocprim17ROCPRIM_304000_NS6detail25onesweep_iteration_kernelINS1_34wrapped_radix_sort_onesweep_configINS0_14default_configElN2at4cuda3cub6detail10OpaqueTypeILi8EEEEELb0EPKlPlPKSA_PSA_mNS0_19identity_decomposerEEEvT1_T2_T3_T4_jPT5_SO_PNS1_23onesweep_lookback_stateET6_jjj
    .private_segment_fixed_size: 0
    .sgpr_count:     58
    .sgpr_spill_count: 0
    .symbol:         _ZN7rocprim17ROCPRIM_304000_NS6detail25onesweep_iteration_kernelINS1_34wrapped_radix_sort_onesweep_configINS0_14default_configElN2at4cuda3cub6detail10OpaqueTypeILi8EEEEELb0EPKlPlPKSA_PSA_mNS0_19identity_decomposerEEEvT1_T2_T3_T4_jPT5_SO_PNS1_23onesweep_lookback_stateET6_jjj.kd
    .uniform_work_group_size: 1
    .uses_dynamic_stack: false
    .vgpr_count:     47
    .vgpr_spill_count: 0
    .wavefront_size: 64
  - .args:
      - .address_space:  global
        .offset:         0
        .size:           8
        .value_kind:     global_buffer
      - .address_space:  global
        .offset:         8
        .size:           8
        .value_kind:     global_buffer
      - .address_space:  global
        .offset:         16
        .size:           8
        .value_kind:     global_buffer
      - .address_space:  global
        .offset:         24
        .size:           8
        .value_kind:     global_buffer
      - .offset:         32
        .size:           4
        .value_kind:     by_value
      - .address_space:  global
        .offset:         40
        .size:           8
        .value_kind:     global_buffer
      - .address_space:  global
        .offset:         48
        .size:           8
        .value_kind:     global_buffer
      - .address_space:  global
        .offset:         56
        .size:           8
        .value_kind:     global_buffer
      - .offset:         64
        .size:           1
        .value_kind:     by_value
      - .offset:         68
        .size:           4
        .value_kind:     by_value
      - .offset:         72
        .size:           4
        .value_kind:     by_value
      - .offset:         76
        .size:           4
        .value_kind:     by_value
      - .offset:         80
        .size:           4
        .value_kind:     hidden_block_count_x
      - .offset:         84
        .size:           4
        .value_kind:     hidden_block_count_y
      - .offset:         88
        .size:           4
        .value_kind:     hidden_block_count_z
      - .offset:         92
        .size:           2
        .value_kind:     hidden_group_size_x
      - .offset:         94
        .size:           2
        .value_kind:     hidden_group_size_y
      - .offset:         96
        .size:           2
        .value_kind:     hidden_group_size_z
      - .offset:         98
        .size:           2
        .value_kind:     hidden_remainder_x
      - .offset:         100
        .size:           2
        .value_kind:     hidden_remainder_y
      - .offset:         102
        .size:           2
        .value_kind:     hidden_remainder_z
      - .offset:         120
        .size:           8
        .value_kind:     hidden_global_offset_x
      - .offset:         128
        .size:           8
        .value_kind:     hidden_global_offset_y
      - .offset:         136
        .size:           8
        .value_kind:     hidden_global_offset_z
      - .offset:         144
        .size:           2
        .value_kind:     hidden_grid_dims
    .group_segment_fixed_size: 26624
    .kernarg_segment_align: 8
    .kernarg_segment_size: 336
    .language:       OpenCL C
    .language_version:
      - 2
      - 0
    .max_flat_workgroup_size: 512
    .name:           _ZN7rocprim17ROCPRIM_304000_NS6detail25onesweep_iteration_kernelINS1_34wrapped_radix_sort_onesweep_configINS0_14default_configElN2at4cuda3cub6detail10OpaqueTypeILi8EEEEELb0EPlSC_PSA_SD_mNS0_19identity_decomposerEEEvT1_T2_T3_T4_jPT5_SK_PNS1_23onesweep_lookback_stateET6_jjj
    .private_segment_fixed_size: 0
    .sgpr_count:     58
    .sgpr_spill_count: 0
    .symbol:         _ZN7rocprim17ROCPRIM_304000_NS6detail25onesweep_iteration_kernelINS1_34wrapped_radix_sort_onesweep_configINS0_14default_configElN2at4cuda3cub6detail10OpaqueTypeILi8EEEEELb0EPlSC_PSA_SD_mNS0_19identity_decomposerEEEvT1_T2_T3_T4_jPT5_SK_PNS1_23onesweep_lookback_stateET6_jjj.kd
    .uniform_work_group_size: 1
    .uses_dynamic_stack: false
    .vgpr_count:     47
    .vgpr_spill_count: 0
    .wavefront_size: 64
  - .args:
      - .address_space:  global
        .offset:         0
        .size:           8
        .value_kind:     global_buffer
      - .address_space:  global
        .offset:         8
        .size:           8
        .value_kind:     global_buffer
      - .address_space:  global
        .offset:         16
        .size:           8
        .value_kind:     global_buffer
      - .address_space:  global
        .offset:         24
        .size:           8
        .value_kind:     global_buffer
      - .offset:         32
        .size:           4
        .value_kind:     by_value
      - .offset:         36
        .size:           1
        .value_kind:     by_value
      - .offset:         40
        .size:           4
        .value_kind:     by_value
      - .offset:         44
        .size:           4
        .value_kind:     by_value
      - .offset:         48
        .size:           4
        .value_kind:     hidden_block_count_x
      - .offset:         52
        .size:           4
        .value_kind:     hidden_block_count_y
      - .offset:         56
        .size:           4
        .value_kind:     hidden_block_count_z
      - .offset:         60
        .size:           2
        .value_kind:     hidden_group_size_x
      - .offset:         62
        .size:           2
        .value_kind:     hidden_group_size_y
      - .offset:         64
        .size:           2
        .value_kind:     hidden_group_size_z
      - .offset:         66
        .size:           2
        .value_kind:     hidden_remainder_x
      - .offset:         68
        .size:           2
        .value_kind:     hidden_remainder_y
      - .offset:         70
        .size:           2
        .value_kind:     hidden_remainder_z
      - .offset:         88
        .size:           8
        .value_kind:     hidden_global_offset_x
      - .offset:         96
        .size:           8
        .value_kind:     hidden_global_offset_y
      - .offset:         104
        .size:           8
        .value_kind:     hidden_global_offset_z
      - .offset:         112
        .size:           2
        .value_kind:     hidden_grid_dims
    .group_segment_fixed_size: 8192
    .kernarg_segment_align: 8
    .kernarg_segment_size: 304
    .language:       OpenCL C
    .language_version:
      - 2
      - 0
    .max_flat_workgroup_size: 256
    .name:           _ZN7rocprim17ROCPRIM_304000_NS6detail28radix_sort_block_sort_kernelINS1_36wrapped_radix_sort_block_sort_configINS0_13kernel_configILj256ELj4ELj4294967295EEEfN2at4cuda3cub6detail10OpaqueTypeILi8EEEEELb1EPKfPfPKSB_PSB_NS0_19identity_decomposerEEEvT1_T2_T3_T4_jT5_jj
    .private_segment_fixed_size: 0
    .sgpr_count:     52
    .sgpr_spill_count: 0
    .symbol:         _ZN7rocprim17ROCPRIM_304000_NS6detail28radix_sort_block_sort_kernelINS1_36wrapped_radix_sort_block_sort_configINS0_13kernel_configILj256ELj4ELj4294967295EEEfN2at4cuda3cub6detail10OpaqueTypeILi8EEEEELb1EPKfPfPKSB_PSB_NS0_19identity_decomposerEEEvT1_T2_T3_T4_jT5_jj.kd
    .uniform_work_group_size: 1
    .uses_dynamic_stack: false
    .vgpr_count:     54
    .vgpr_spill_count: 0
    .wavefront_size: 64
  - .args:           []
    .group_segment_fixed_size: 0
    .kernarg_segment_align: 4
    .kernarg_segment_size: 0
    .language:       OpenCL C
    .language_version:
      - 2
      - 0
    .max_flat_workgroup_size: 1024
    .name:           _ZN7rocprim17ROCPRIM_304000_NS6detail39device_merge_sort_compile_time_verifierINS1_36wrapped_merge_sort_block_sort_configINS1_28merge_sort_block_sort_configILj256ELj4ELNS0_20block_sort_algorithmE0EEEfN2at4cuda3cub6detail10OpaqueTypeILi8EEEEENS1_37wrapped_merge_sort_block_merge_configINS0_14default_configEfSC_EEEEvv
    .private_segment_fixed_size: 0
    .sgpr_count:     4
    .sgpr_spill_count: 0
    .symbol:         _ZN7rocprim17ROCPRIM_304000_NS6detail39device_merge_sort_compile_time_verifierINS1_36wrapped_merge_sort_block_sort_configINS1_28merge_sort_block_sort_configILj256ELj4ELNS0_20block_sort_algorithmE0EEEfN2at4cuda3cub6detail10OpaqueTypeILi8EEEEENS1_37wrapped_merge_sort_block_merge_configINS0_14default_configEfSC_EEEEvv.kd
    .uniform_work_group_size: 1
    .uses_dynamic_stack: false
    .vgpr_count:     0
    .vgpr_spill_count: 0
    .wavefront_size: 64
  - .args:
      - .address_space:  global
        .offset:         0
        .size:           8
        .value_kind:     global_buffer
      - .offset:         8
        .size:           4
        .value_kind:     by_value
      - .offset:         12
        .size:           4
        .value_kind:     by_value
      - .address_space:  global
        .offset:         16
        .size:           8
        .value_kind:     global_buffer
      - .offset:         24
        .size:           1
        .value_kind:     by_value
      - .offset:         28
        .size:           4
        .value_kind:     by_value
    .group_segment_fixed_size: 0
    .kernarg_segment_align: 8
    .kernarg_segment_size: 32
    .language:       OpenCL C
    .language_version:
      - 2
      - 0
    .max_flat_workgroup_size: 128
    .name:           _ZN7rocprim17ROCPRIM_304000_NS6detail45device_block_merge_mergepath_partition_kernelINS1_37wrapped_merge_sort_block_merge_configINS0_14default_configEfN2at4cuda3cub6detail10OpaqueTypeILi8EEEEEPfjNS1_19radix_merge_compareILb1ELb0EfNS0_19identity_decomposerEEEEEvT0_T1_jPSH_T2_SH_
    .private_segment_fixed_size: 0
    .sgpr_count:     11
    .sgpr_spill_count: 0
    .symbol:         _ZN7rocprim17ROCPRIM_304000_NS6detail45device_block_merge_mergepath_partition_kernelINS1_37wrapped_merge_sort_block_merge_configINS0_14default_configEfN2at4cuda3cub6detail10OpaqueTypeILi8EEEEEPfjNS1_19radix_merge_compareILb1ELb0EfNS0_19identity_decomposerEEEEEvT0_T1_jPSH_T2_SH_.kd
    .uniform_work_group_size: 1
    .uses_dynamic_stack: false
    .vgpr_count:     17
    .vgpr_spill_count: 0
    .wavefront_size: 64
  - .args:
      - .address_space:  global
        .offset:         0
        .size:           8
        .value_kind:     global_buffer
      - .address_space:  global
        .offset:         8
        .size:           8
        .value_kind:     global_buffer
      - .address_space:  global
        .offset:         16
        .size:           8
        .value_kind:     global_buffer
      - .address_space:  global
        .offset:         24
        .size:           8
        .value_kind:     global_buffer
      - .offset:         32
        .size:           4
        .value_kind:     by_value
      - .offset:         36
        .size:           4
        .value_kind:     by_value
      - .offset:         40
        .size:           4
        .value_kind:     by_value
      - .offset:         44
        .size:           1
        .value_kind:     by_value
      - .address_space:  global
        .offset:         48
        .size:           8
        .value_kind:     global_buffer
      - .address_space:  global
        .offset:         56
        .size:           8
        .value_kind:     global_buffer
      - .offset:         64
        .size:           4
        .value_kind:     hidden_block_count_x
      - .offset:         68
        .size:           4
        .value_kind:     hidden_block_count_y
      - .offset:         72
        .size:           4
        .value_kind:     hidden_block_count_z
      - .offset:         76
        .size:           2
        .value_kind:     hidden_group_size_x
      - .offset:         78
        .size:           2
        .value_kind:     hidden_group_size_y
      - .offset:         80
        .size:           2
        .value_kind:     hidden_group_size_z
      - .offset:         82
        .size:           2
        .value_kind:     hidden_remainder_x
      - .offset:         84
        .size:           2
        .value_kind:     hidden_remainder_y
      - .offset:         86
        .size:           2
        .value_kind:     hidden_remainder_z
      - .offset:         104
        .size:           8
        .value_kind:     hidden_global_offset_x
      - .offset:         112
        .size:           8
        .value_kind:     hidden_global_offset_y
      - .offset:         120
        .size:           8
        .value_kind:     hidden_global_offset_z
      - .offset:         128
        .size:           2
        .value_kind:     hidden_grid_dims
    .group_segment_fixed_size: 8208
    .kernarg_segment_align: 8
    .kernarg_segment_size: 320
    .language:       OpenCL C
    .language_version:
      - 2
      - 0
    .max_flat_workgroup_size: 128
    .name:           _ZN7rocprim17ROCPRIM_304000_NS6detail35device_block_merge_mergepath_kernelINS1_37wrapped_merge_sort_block_merge_configINS0_14default_configEfN2at4cuda3cub6detail10OpaqueTypeILi8EEEEEPfSC_PSA_SD_jNS1_19radix_merge_compareILb1ELb0EfNS0_19identity_decomposerEEEEEvT0_T1_T2_T3_T4_SL_jT5_PKSL_NS1_7vsmem_tE
    .private_segment_fixed_size: 0
    .sgpr_count:     44
    .sgpr_spill_count: 0
    .symbol:         _ZN7rocprim17ROCPRIM_304000_NS6detail35device_block_merge_mergepath_kernelINS1_37wrapped_merge_sort_block_merge_configINS0_14default_configEfN2at4cuda3cub6detail10OpaqueTypeILi8EEEEEPfSC_PSA_SD_jNS1_19radix_merge_compareILb1ELb0EfNS0_19identity_decomposerEEEEEvT0_T1_T2_T3_T4_SL_jT5_PKSL_NS1_7vsmem_tE.kd
    .uniform_work_group_size: 1
    .uses_dynamic_stack: false
    .vgpr_count:     38
    .vgpr_spill_count: 0
    .wavefront_size: 64
  - .args:
      - .address_space:  global
        .offset:         0
        .size:           8
        .value_kind:     global_buffer
      - .address_space:  global
        .offset:         8
        .size:           8
        .value_kind:     global_buffer
      - .address_space:  global
        .offset:         16
        .size:           8
        .value_kind:     global_buffer
      - .address_space:  global
        .offset:         24
        .size:           8
        .value_kind:     global_buffer
      - .offset:         32
        .size:           4
        .value_kind:     by_value
      - .offset:         36
        .size:           4
        .value_kind:     by_value
      - .offset:         40
        .size:           1
        .value_kind:     by_value
    .group_segment_fixed_size: 0
    .kernarg_segment_align: 8
    .kernarg_segment_size: 44
    .language:       OpenCL C
    .language_version:
      - 2
      - 0
    .max_flat_workgroup_size: 256
    .name:           _ZN7rocprim17ROCPRIM_304000_NS6detail33device_block_merge_oddeven_kernelINS1_37wrapped_merge_sort_block_merge_configINS0_14default_configEfN2at4cuda3cub6detail10OpaqueTypeILi8EEEEEPfSC_PSA_SD_jNS1_19radix_merge_compareILb1ELb0EfNS0_19identity_decomposerEEEEEvT0_T1_T2_T3_T4_SL_T5_
    .private_segment_fixed_size: 0
    .sgpr_count:     26
    .sgpr_spill_count: 0
    .symbol:         _ZN7rocprim17ROCPRIM_304000_NS6detail33device_block_merge_oddeven_kernelINS1_37wrapped_merge_sort_block_merge_configINS0_14default_configEfN2at4cuda3cub6detail10OpaqueTypeILi8EEEEEPfSC_PSA_SD_jNS1_19radix_merge_compareILb1ELb0EfNS0_19identity_decomposerEEEEEvT0_T1_T2_T3_T4_SL_T5_.kd
    .uniform_work_group_size: 1
    .uses_dynamic_stack: false
    .vgpr_count:     14
    .vgpr_spill_count: 0
    .wavefront_size: 64
  - .args:
      - .address_space:  global
        .offset:         0
        .size:           8
        .value_kind:     global_buffer
      - .offset:         8
        .size:           8
        .value_kind:     by_value
      - .address_space:  global
        .offset:         16
        .size:           8
        .value_kind:     global_buffer
      - .offset:         24
        .size:           1
        .value_kind:     by_value
      - .offset:         32
        .size:           4
        .value_kind:     hidden_block_count_x
      - .offset:         36
        .size:           4
        .value_kind:     hidden_block_count_y
      - .offset:         40
        .size:           4
        .value_kind:     hidden_block_count_z
      - .offset:         44
        .size:           2
        .value_kind:     hidden_group_size_x
      - .offset:         46
        .size:           2
        .value_kind:     hidden_group_size_y
      - .offset:         48
        .size:           2
        .value_kind:     hidden_group_size_z
      - .offset:         50
        .size:           2
        .value_kind:     hidden_remainder_x
      - .offset:         52
        .size:           2
        .value_kind:     hidden_remainder_y
      - .offset:         54
        .size:           2
        .value_kind:     hidden_remainder_z
      - .offset:         72
        .size:           8
        .value_kind:     hidden_global_offset_x
      - .offset:         80
        .size:           8
        .value_kind:     hidden_global_offset_y
      - .offset:         88
        .size:           8
        .value_kind:     hidden_global_offset_z
      - .offset:         96
        .size:           2
        .value_kind:     hidden_grid_dims
    .group_segment_fixed_size: 0
    .kernarg_segment_align: 8
    .kernarg_segment_size: 288
    .language:       OpenCL C
    .language_version:
      - 2
      - 0
    .max_flat_workgroup_size: 1024
    .name:           _ZN7rocprim17ROCPRIM_304000_NS6detail16transform_kernelINS1_24wrapped_transform_configINS0_14default_configEfEEfPfS6_NS0_8identityIfEEEEvT1_mT2_T3_
    .private_segment_fixed_size: 0
    .sgpr_count:     16
    .sgpr_spill_count: 0
    .symbol:         _ZN7rocprim17ROCPRIM_304000_NS6detail16transform_kernelINS1_24wrapped_transform_configINS0_14default_configEfEEfPfS6_NS0_8identityIfEEEEvT1_mT2_T3_.kd
    .uniform_work_group_size: 1
    .uses_dynamic_stack: false
    .vgpr_count:     8
    .vgpr_spill_count: 0
    .wavefront_size: 64
  - .args:
      - .address_space:  global
        .offset:         0
        .size:           8
        .value_kind:     global_buffer
      - .address_space:  global
        .offset:         8
        .size:           8
        .value_kind:     global_buffer
      - .offset:         16
        .size:           8
        .value_kind:     by_value
      - .offset:         24
        .size:           8
        .value_kind:     by_value
      - .offset:         32
        .size:           1
        .value_kind:     by_value
      - .offset:         36
        .size:           4
        .value_kind:     by_value
      - .offset:         40
        .size:           4
        .value_kind:     by_value
    .group_segment_fixed_size: 16384
    .kernarg_segment_align: 8
    .kernarg_segment_size: 44
    .language:       OpenCL C
    .language_version:
      - 2
      - 0
    .max_flat_workgroup_size: 256
    .name:           _ZN7rocprim17ROCPRIM_304000_NS6detail26onesweep_histograms_kernelINS1_34wrapped_radix_sort_onesweep_configINS0_14default_configEfN2at4cuda3cub6detail10OpaqueTypeILi8EEEEELb1EPKfmNS0_19identity_decomposerEEEvT1_PT2_SG_SG_T3_jj
    .private_segment_fixed_size: 0
    .sgpr_count:     43
    .sgpr_spill_count: 0
    .symbol:         _ZN7rocprim17ROCPRIM_304000_NS6detail26onesweep_histograms_kernelINS1_34wrapped_radix_sort_onesweep_configINS0_14default_configEfN2at4cuda3cub6detail10OpaqueTypeILi8EEEEELb1EPKfmNS0_19identity_decomposerEEEvT1_PT2_SG_SG_T3_jj.kd
    .uniform_work_group_size: 1
    .uses_dynamic_stack: false
    .vgpr_count:     23
    .vgpr_spill_count: 0
    .wavefront_size: 64
  - .args:
      - .address_space:  global
        .offset:         0
        .size:           8
        .value_kind:     global_buffer
    .group_segment_fixed_size: 32
    .kernarg_segment_align: 8
    .kernarg_segment_size: 8
    .language:       OpenCL C
    .language_version:
      - 2
      - 0
    .max_flat_workgroup_size: 256
    .name:           _ZN7rocprim17ROCPRIM_304000_NS6detail31onesweep_scan_histograms_kernelINS1_34wrapped_radix_sort_onesweep_configINS0_14default_configEfN2at4cuda3cub6detail10OpaqueTypeILi8EEEEEmEEvPT0_
    .private_segment_fixed_size: 0
    .sgpr_count:     12
    .sgpr_spill_count: 0
    .symbol:         _ZN7rocprim17ROCPRIM_304000_NS6detail31onesweep_scan_histograms_kernelINS1_34wrapped_radix_sort_onesweep_configINS0_14default_configEfN2at4cuda3cub6detail10OpaqueTypeILi8EEEEEmEEvPT0_.kd
    .uniform_work_group_size: 1
    .uses_dynamic_stack: false
    .vgpr_count:     12
    .vgpr_spill_count: 0
    .wavefront_size: 64
  - .args:
      - .address_space:  global
        .offset:         0
        .size:           8
        .value_kind:     global_buffer
      - .offset:         8
        .size:           8
        .value_kind:     by_value
      - .address_space:  global
        .offset:         16
        .size:           8
        .value_kind:     global_buffer
      - .offset:         24
        .size:           1
        .value_kind:     by_value
      - .offset:         32
        .size:           4
        .value_kind:     hidden_block_count_x
      - .offset:         36
        .size:           4
        .value_kind:     hidden_block_count_y
      - .offset:         40
        .size:           4
        .value_kind:     hidden_block_count_z
      - .offset:         44
        .size:           2
        .value_kind:     hidden_group_size_x
      - .offset:         46
        .size:           2
        .value_kind:     hidden_group_size_y
      - .offset:         48
        .size:           2
        .value_kind:     hidden_group_size_z
      - .offset:         50
        .size:           2
        .value_kind:     hidden_remainder_x
      - .offset:         52
        .size:           2
        .value_kind:     hidden_remainder_y
      - .offset:         54
        .size:           2
        .value_kind:     hidden_remainder_z
      - .offset:         72
        .size:           8
        .value_kind:     hidden_global_offset_x
      - .offset:         80
        .size:           8
        .value_kind:     hidden_global_offset_y
      - .offset:         88
        .size:           8
        .value_kind:     hidden_global_offset_z
      - .offset:         96
        .size:           2
        .value_kind:     hidden_grid_dims
    .group_segment_fixed_size: 0
    .kernarg_segment_align: 8
    .kernarg_segment_size: 288
    .language:       OpenCL C
    .language_version:
      - 2
      - 0
    .max_flat_workgroup_size: 1024
    .name:           _ZN7rocprim17ROCPRIM_304000_NS6detail16transform_kernelINS1_24wrapped_transform_configINS0_14default_configEfEEfPKfPfNS0_8identityIfEEEEvT1_mT2_T3_
    .private_segment_fixed_size: 0
    .sgpr_count:     16
    .sgpr_spill_count: 0
    .symbol:         _ZN7rocprim17ROCPRIM_304000_NS6detail16transform_kernelINS1_24wrapped_transform_configINS0_14default_configEfEEfPKfPfNS0_8identityIfEEEEvT1_mT2_T3_.kd
    .uniform_work_group_size: 1
    .uses_dynamic_stack: false
    .vgpr_count:     8
    .vgpr_spill_count: 0
    .wavefront_size: 64
  - .args:
      - .address_space:  global
        .offset:         0
        .size:           8
        .value_kind:     global_buffer
      - .address_space:  global
        .offset:         8
        .size:           8
        .value_kind:     global_buffer
      - .address_space:  global
        .offset:         16
        .size:           8
        .value_kind:     global_buffer
      - .address_space:  global
        .offset:         24
        .size:           8
        .value_kind:     global_buffer
      - .offset:         32
        .size:           4
        .value_kind:     by_value
      - .address_space:  global
        .offset:         40
        .size:           8
        .value_kind:     global_buffer
      - .address_space:  global
        .offset:         48
        .size:           8
        .value_kind:     global_buffer
      - .address_space:  global
        .offset:         56
        .size:           8
        .value_kind:     global_buffer
      - .offset:         64
        .size:           1
        .value_kind:     by_value
      - .offset:         68
        .size:           4
        .value_kind:     by_value
      - .offset:         72
        .size:           4
        .value_kind:     by_value
      - .offset:         76
        .size:           4
        .value_kind:     by_value
      - .offset:         80
        .size:           4
        .value_kind:     hidden_block_count_x
      - .offset:         84
        .size:           4
        .value_kind:     hidden_block_count_y
      - .offset:         88
        .size:           4
        .value_kind:     hidden_block_count_z
      - .offset:         92
        .size:           2
        .value_kind:     hidden_group_size_x
      - .offset:         94
        .size:           2
        .value_kind:     hidden_group_size_y
      - .offset:         96
        .size:           2
        .value_kind:     hidden_group_size_z
      - .offset:         98
        .size:           2
        .value_kind:     hidden_remainder_x
      - .offset:         100
        .size:           2
        .value_kind:     hidden_remainder_y
      - .offset:         102
        .size:           2
        .value_kind:     hidden_remainder_z
      - .offset:         120
        .size:           8
        .value_kind:     hidden_global_offset_x
      - .offset:         128
        .size:           8
        .value_kind:     hidden_global_offset_y
      - .offset:         136
        .size:           8
        .value_kind:     hidden_global_offset_z
      - .offset:         144
        .size:           2
        .value_kind:     hidden_grid_dims
    .group_segment_fixed_size: 26624
    .kernarg_segment_align: 8
    .kernarg_segment_size: 336
    .language:       OpenCL C
    .language_version:
      - 2
      - 0
    .max_flat_workgroup_size: 256
    .name:           _ZN7rocprim17ROCPRIM_304000_NS6detail25onesweep_iteration_kernelINS1_34wrapped_radix_sort_onesweep_configINS0_14default_configEfN2at4cuda3cub6detail10OpaqueTypeILi8EEEEELb1EPKfPfPKSA_PSA_mNS0_19identity_decomposerEEEvT1_T2_T3_T4_jPT5_SO_PNS1_23onesweep_lookback_stateET6_jjj
    .private_segment_fixed_size: 0
    .sgpr_count:     79
    .sgpr_spill_count: 0
    .symbol:         _ZN7rocprim17ROCPRIM_304000_NS6detail25onesweep_iteration_kernelINS1_34wrapped_radix_sort_onesweep_configINS0_14default_configEfN2at4cuda3cub6detail10OpaqueTypeILi8EEEEELb1EPKfPfPKSA_PSA_mNS0_19identity_decomposerEEEvT1_T2_T3_T4_jPT5_SO_PNS1_23onesweep_lookback_stateET6_jjj.kd
    .uniform_work_group_size: 1
    .uses_dynamic_stack: false
    .vgpr_count:     72
    .vgpr_spill_count: 0
    .wavefront_size: 64
  - .args:
      - .address_space:  global
        .offset:         0
        .size:           8
        .value_kind:     global_buffer
      - .address_space:  global
        .offset:         8
        .size:           8
        .value_kind:     global_buffer
      - .address_space:  global
        .offset:         16
        .size:           8
        .value_kind:     global_buffer
      - .address_space:  global
        .offset:         24
        .size:           8
        .value_kind:     global_buffer
      - .offset:         32
        .size:           4
        .value_kind:     by_value
      - .address_space:  global
        .offset:         40
        .size:           8
        .value_kind:     global_buffer
      - .address_space:  global
        .offset:         48
        .size:           8
        .value_kind:     global_buffer
      - .address_space:  global
        .offset:         56
        .size:           8
        .value_kind:     global_buffer
      - .offset:         64
        .size:           1
        .value_kind:     by_value
      - .offset:         68
        .size:           4
        .value_kind:     by_value
      - .offset:         72
        .size:           4
        .value_kind:     by_value
      - .offset:         76
        .size:           4
        .value_kind:     by_value
      - .offset:         80
        .size:           4
        .value_kind:     hidden_block_count_x
      - .offset:         84
        .size:           4
        .value_kind:     hidden_block_count_y
      - .offset:         88
        .size:           4
        .value_kind:     hidden_block_count_z
      - .offset:         92
        .size:           2
        .value_kind:     hidden_group_size_x
      - .offset:         94
        .size:           2
        .value_kind:     hidden_group_size_y
      - .offset:         96
        .size:           2
        .value_kind:     hidden_group_size_z
      - .offset:         98
        .size:           2
        .value_kind:     hidden_remainder_x
      - .offset:         100
        .size:           2
        .value_kind:     hidden_remainder_y
      - .offset:         102
        .size:           2
        .value_kind:     hidden_remainder_z
      - .offset:         120
        .size:           8
        .value_kind:     hidden_global_offset_x
      - .offset:         128
        .size:           8
        .value_kind:     hidden_global_offset_y
      - .offset:         136
        .size:           8
        .value_kind:     hidden_global_offset_z
      - .offset:         144
        .size:           2
        .value_kind:     hidden_grid_dims
    .group_segment_fixed_size: 26624
    .kernarg_segment_align: 8
    .kernarg_segment_size: 336
    .language:       OpenCL C
    .language_version:
      - 2
      - 0
    .max_flat_workgroup_size: 256
    .name:           _ZN7rocprim17ROCPRIM_304000_NS6detail25onesweep_iteration_kernelINS1_34wrapped_radix_sort_onesweep_configINS0_14default_configEfN2at4cuda3cub6detail10OpaqueTypeILi8EEEEELb1EPfSC_PSA_SD_mNS0_19identity_decomposerEEEvT1_T2_T3_T4_jPT5_SK_PNS1_23onesweep_lookback_stateET6_jjj
    .private_segment_fixed_size: 0
    .sgpr_count:     79
    .sgpr_spill_count: 0
    .symbol:         _ZN7rocprim17ROCPRIM_304000_NS6detail25onesweep_iteration_kernelINS1_34wrapped_radix_sort_onesweep_configINS0_14default_configEfN2at4cuda3cub6detail10OpaqueTypeILi8EEEEELb1EPfSC_PSA_SD_mNS0_19identity_decomposerEEEvT1_T2_T3_T4_jPT5_SK_PNS1_23onesweep_lookback_stateET6_jjj.kd
    .uniform_work_group_size: 1
    .uses_dynamic_stack: false
    .vgpr_count:     72
    .vgpr_spill_count: 0
    .wavefront_size: 64
  - .args:
      - .address_space:  global
        .offset:         0
        .size:           8
        .value_kind:     global_buffer
      - .address_space:  global
        .offset:         8
        .size:           8
        .value_kind:     global_buffer
      - .address_space:  global
        .offset:         16
        .size:           8
        .value_kind:     global_buffer
      - .address_space:  global
        .offset:         24
        .size:           8
        .value_kind:     global_buffer
      - .offset:         32
        .size:           4
        .value_kind:     by_value
      - .offset:         36
        .size:           1
        .value_kind:     by_value
      - .offset:         40
        .size:           4
        .value_kind:     by_value
      - .offset:         44
        .size:           4
        .value_kind:     by_value
      - .offset:         48
        .size:           4
        .value_kind:     hidden_block_count_x
      - .offset:         52
        .size:           4
        .value_kind:     hidden_block_count_y
      - .offset:         56
        .size:           4
        .value_kind:     hidden_block_count_z
      - .offset:         60
        .size:           2
        .value_kind:     hidden_group_size_x
      - .offset:         62
        .size:           2
        .value_kind:     hidden_group_size_y
      - .offset:         64
        .size:           2
        .value_kind:     hidden_group_size_z
      - .offset:         66
        .size:           2
        .value_kind:     hidden_remainder_x
      - .offset:         68
        .size:           2
        .value_kind:     hidden_remainder_y
      - .offset:         70
        .size:           2
        .value_kind:     hidden_remainder_z
      - .offset:         88
        .size:           8
        .value_kind:     hidden_global_offset_x
      - .offset:         96
        .size:           8
        .value_kind:     hidden_global_offset_y
      - .offset:         104
        .size:           8
        .value_kind:     hidden_global_offset_z
      - .offset:         112
        .size:           2
        .value_kind:     hidden_grid_dims
    .group_segment_fixed_size: 8192
    .kernarg_segment_align: 8
    .kernarg_segment_size: 304
    .language:       OpenCL C
    .language_version:
      - 2
      - 0
    .max_flat_workgroup_size: 256
    .name:           _ZN7rocprim17ROCPRIM_304000_NS6detail28radix_sort_block_sort_kernelINS1_36wrapped_radix_sort_block_sort_configINS0_13kernel_configILj256ELj4ELj4294967295EEEfN2at4cuda3cub6detail10OpaqueTypeILi8EEEEELb0EPKfPfPKSB_PSB_NS0_19identity_decomposerEEEvT1_T2_T3_T4_jT5_jj
    .private_segment_fixed_size: 0
    .sgpr_count:     52
    .sgpr_spill_count: 0
    .symbol:         _ZN7rocprim17ROCPRIM_304000_NS6detail28radix_sort_block_sort_kernelINS1_36wrapped_radix_sort_block_sort_configINS0_13kernel_configILj256ELj4ELj4294967295EEEfN2at4cuda3cub6detail10OpaqueTypeILi8EEEEELb0EPKfPfPKSB_PSB_NS0_19identity_decomposerEEEvT1_T2_T3_T4_jT5_jj.kd
    .uniform_work_group_size: 1
    .uses_dynamic_stack: false
    .vgpr_count:     54
    .vgpr_spill_count: 0
    .wavefront_size: 64
  - .args:
      - .address_space:  global
        .offset:         0
        .size:           8
        .value_kind:     global_buffer
      - .offset:         8
        .size:           4
        .value_kind:     by_value
      - .offset:         12
        .size:           4
        .value_kind:     by_value
      - .address_space:  global
        .offset:         16
        .size:           8
        .value_kind:     global_buffer
      - .offset:         24
        .size:           1
        .value_kind:     by_value
      - .offset:         28
        .size:           4
        .value_kind:     by_value
    .group_segment_fixed_size: 0
    .kernarg_segment_align: 8
    .kernarg_segment_size: 32
    .language:       OpenCL C
    .language_version:
      - 2
      - 0
    .max_flat_workgroup_size: 128
    .name:           _ZN7rocprim17ROCPRIM_304000_NS6detail45device_block_merge_mergepath_partition_kernelINS1_37wrapped_merge_sort_block_merge_configINS0_14default_configEfN2at4cuda3cub6detail10OpaqueTypeILi8EEEEEPfjNS1_19radix_merge_compareILb0ELb0EfNS0_19identity_decomposerEEEEEvT0_T1_jPSH_T2_SH_
    .private_segment_fixed_size: 0
    .sgpr_count:     11
    .sgpr_spill_count: 0
    .symbol:         _ZN7rocprim17ROCPRIM_304000_NS6detail45device_block_merge_mergepath_partition_kernelINS1_37wrapped_merge_sort_block_merge_configINS0_14default_configEfN2at4cuda3cub6detail10OpaqueTypeILi8EEEEEPfjNS1_19radix_merge_compareILb0ELb0EfNS0_19identity_decomposerEEEEEvT0_T1_jPSH_T2_SH_.kd
    .uniform_work_group_size: 1
    .uses_dynamic_stack: false
    .vgpr_count:     16
    .vgpr_spill_count: 0
    .wavefront_size: 64
  - .args:
      - .address_space:  global
        .offset:         0
        .size:           8
        .value_kind:     global_buffer
      - .address_space:  global
        .offset:         8
        .size:           8
        .value_kind:     global_buffer
      - .address_space:  global
        .offset:         16
        .size:           8
        .value_kind:     global_buffer
      - .address_space:  global
        .offset:         24
        .size:           8
        .value_kind:     global_buffer
      - .offset:         32
        .size:           4
        .value_kind:     by_value
      - .offset:         36
        .size:           4
        .value_kind:     by_value
      - .offset:         40
        .size:           4
        .value_kind:     by_value
      - .offset:         44
        .size:           1
        .value_kind:     by_value
      - .address_space:  global
        .offset:         48
        .size:           8
        .value_kind:     global_buffer
      - .address_space:  global
        .offset:         56
        .size:           8
        .value_kind:     global_buffer
      - .offset:         64
        .size:           4
        .value_kind:     hidden_block_count_x
      - .offset:         68
        .size:           4
        .value_kind:     hidden_block_count_y
      - .offset:         72
        .size:           4
        .value_kind:     hidden_block_count_z
      - .offset:         76
        .size:           2
        .value_kind:     hidden_group_size_x
      - .offset:         78
        .size:           2
        .value_kind:     hidden_group_size_y
      - .offset:         80
        .size:           2
        .value_kind:     hidden_group_size_z
      - .offset:         82
        .size:           2
        .value_kind:     hidden_remainder_x
      - .offset:         84
        .size:           2
        .value_kind:     hidden_remainder_y
      - .offset:         86
        .size:           2
        .value_kind:     hidden_remainder_z
      - .offset:         104
        .size:           8
        .value_kind:     hidden_global_offset_x
      - .offset:         112
        .size:           8
        .value_kind:     hidden_global_offset_y
      - .offset:         120
        .size:           8
        .value_kind:     hidden_global_offset_z
      - .offset:         128
        .size:           2
        .value_kind:     hidden_grid_dims
    .group_segment_fixed_size: 8208
    .kernarg_segment_align: 8
    .kernarg_segment_size: 320
    .language:       OpenCL C
    .language_version:
      - 2
      - 0
    .max_flat_workgroup_size: 128
    .name:           _ZN7rocprim17ROCPRIM_304000_NS6detail35device_block_merge_mergepath_kernelINS1_37wrapped_merge_sort_block_merge_configINS0_14default_configEfN2at4cuda3cub6detail10OpaqueTypeILi8EEEEEPfSC_PSA_SD_jNS1_19radix_merge_compareILb0ELb0EfNS0_19identity_decomposerEEEEEvT0_T1_T2_T3_T4_SL_jT5_PKSL_NS1_7vsmem_tE
    .private_segment_fixed_size: 0
    .sgpr_count:     44
    .sgpr_spill_count: 0
    .symbol:         _ZN7rocprim17ROCPRIM_304000_NS6detail35device_block_merge_mergepath_kernelINS1_37wrapped_merge_sort_block_merge_configINS0_14default_configEfN2at4cuda3cub6detail10OpaqueTypeILi8EEEEEPfSC_PSA_SD_jNS1_19radix_merge_compareILb0ELb0EfNS0_19identity_decomposerEEEEEvT0_T1_T2_T3_T4_SL_jT5_PKSL_NS1_7vsmem_tE.kd
    .uniform_work_group_size: 1
    .uses_dynamic_stack: false
    .vgpr_count:     38
    .vgpr_spill_count: 0
    .wavefront_size: 64
  - .args:
      - .address_space:  global
        .offset:         0
        .size:           8
        .value_kind:     global_buffer
      - .address_space:  global
        .offset:         8
        .size:           8
        .value_kind:     global_buffer
      - .address_space:  global
        .offset:         16
        .size:           8
        .value_kind:     global_buffer
      - .address_space:  global
        .offset:         24
        .size:           8
        .value_kind:     global_buffer
      - .offset:         32
        .size:           4
        .value_kind:     by_value
      - .offset:         36
        .size:           4
        .value_kind:     by_value
      - .offset:         40
        .size:           1
        .value_kind:     by_value
    .group_segment_fixed_size: 0
    .kernarg_segment_align: 8
    .kernarg_segment_size: 44
    .language:       OpenCL C
    .language_version:
      - 2
      - 0
    .max_flat_workgroup_size: 256
    .name:           _ZN7rocprim17ROCPRIM_304000_NS6detail33device_block_merge_oddeven_kernelINS1_37wrapped_merge_sort_block_merge_configINS0_14default_configEfN2at4cuda3cub6detail10OpaqueTypeILi8EEEEEPfSC_PSA_SD_jNS1_19radix_merge_compareILb0ELb0EfNS0_19identity_decomposerEEEEEvT0_T1_T2_T3_T4_SL_T5_
    .private_segment_fixed_size: 0
    .sgpr_count:     26
    .sgpr_spill_count: 0
    .symbol:         _ZN7rocprim17ROCPRIM_304000_NS6detail33device_block_merge_oddeven_kernelINS1_37wrapped_merge_sort_block_merge_configINS0_14default_configEfN2at4cuda3cub6detail10OpaqueTypeILi8EEEEEPfSC_PSA_SD_jNS1_19radix_merge_compareILb0ELb0EfNS0_19identity_decomposerEEEEEvT0_T1_T2_T3_T4_SL_T5_.kd
    .uniform_work_group_size: 1
    .uses_dynamic_stack: false
    .vgpr_count:     14
    .vgpr_spill_count: 0
    .wavefront_size: 64
  - .args:
      - .address_space:  global
        .offset:         0
        .size:           8
        .value_kind:     global_buffer
      - .address_space:  global
        .offset:         8
        .size:           8
        .value_kind:     global_buffer
      - .offset:         16
        .size:           8
        .value_kind:     by_value
      - .offset:         24
        .size:           8
        .value_kind:     by_value
      - .offset:         32
        .size:           1
        .value_kind:     by_value
      - .offset:         36
        .size:           4
        .value_kind:     by_value
      - .offset:         40
        .size:           4
        .value_kind:     by_value
    .group_segment_fixed_size: 16384
    .kernarg_segment_align: 8
    .kernarg_segment_size: 44
    .language:       OpenCL C
    .language_version:
      - 2
      - 0
    .max_flat_workgroup_size: 256
    .name:           _ZN7rocprim17ROCPRIM_304000_NS6detail26onesweep_histograms_kernelINS1_34wrapped_radix_sort_onesweep_configINS0_14default_configEfN2at4cuda3cub6detail10OpaqueTypeILi8EEEEELb0EPKfmNS0_19identity_decomposerEEEvT1_PT2_SG_SG_T3_jj
    .private_segment_fixed_size: 0
    .sgpr_count:     43
    .sgpr_spill_count: 0
    .symbol:         _ZN7rocprim17ROCPRIM_304000_NS6detail26onesweep_histograms_kernelINS1_34wrapped_radix_sort_onesweep_configINS0_14default_configEfN2at4cuda3cub6detail10OpaqueTypeILi8EEEEELb0EPKfmNS0_19identity_decomposerEEEvT1_PT2_SG_SG_T3_jj.kd
    .uniform_work_group_size: 1
    .uses_dynamic_stack: false
    .vgpr_count:     23
    .vgpr_spill_count: 0
    .wavefront_size: 64
  - .args:
      - .address_space:  global
        .offset:         0
        .size:           8
        .value_kind:     global_buffer
      - .address_space:  global
        .offset:         8
        .size:           8
        .value_kind:     global_buffer
      - .address_space:  global
        .offset:         16
        .size:           8
        .value_kind:     global_buffer
      - .address_space:  global
        .offset:         24
        .size:           8
        .value_kind:     global_buffer
      - .offset:         32
        .size:           4
        .value_kind:     by_value
      - .address_space:  global
        .offset:         40
        .size:           8
        .value_kind:     global_buffer
      - .address_space:  global
        .offset:         48
        .size:           8
        .value_kind:     global_buffer
      - .address_space:  global
        .offset:         56
        .size:           8
        .value_kind:     global_buffer
      - .offset:         64
        .size:           1
        .value_kind:     by_value
      - .offset:         68
        .size:           4
        .value_kind:     by_value
      - .offset:         72
        .size:           4
        .value_kind:     by_value
      - .offset:         76
        .size:           4
        .value_kind:     by_value
      - .offset:         80
        .size:           4
        .value_kind:     hidden_block_count_x
      - .offset:         84
        .size:           4
        .value_kind:     hidden_block_count_y
      - .offset:         88
        .size:           4
        .value_kind:     hidden_block_count_z
      - .offset:         92
        .size:           2
        .value_kind:     hidden_group_size_x
      - .offset:         94
        .size:           2
        .value_kind:     hidden_group_size_y
      - .offset:         96
        .size:           2
        .value_kind:     hidden_group_size_z
      - .offset:         98
        .size:           2
        .value_kind:     hidden_remainder_x
      - .offset:         100
        .size:           2
        .value_kind:     hidden_remainder_y
      - .offset:         102
        .size:           2
        .value_kind:     hidden_remainder_z
      - .offset:         120
        .size:           8
        .value_kind:     hidden_global_offset_x
      - .offset:         128
        .size:           8
        .value_kind:     hidden_global_offset_y
      - .offset:         136
        .size:           8
        .value_kind:     hidden_global_offset_z
      - .offset:         144
        .size:           2
        .value_kind:     hidden_grid_dims
    .group_segment_fixed_size: 26624
    .kernarg_segment_align: 8
    .kernarg_segment_size: 336
    .language:       OpenCL C
    .language_version:
      - 2
      - 0
    .max_flat_workgroup_size: 256
    .name:           _ZN7rocprim17ROCPRIM_304000_NS6detail25onesweep_iteration_kernelINS1_34wrapped_radix_sort_onesweep_configINS0_14default_configEfN2at4cuda3cub6detail10OpaqueTypeILi8EEEEELb0EPKfPfPKSA_PSA_mNS0_19identity_decomposerEEEvT1_T2_T3_T4_jPT5_SO_PNS1_23onesweep_lookback_stateET6_jjj
    .private_segment_fixed_size: 0
    .sgpr_count:     79
    .sgpr_spill_count: 0
    .symbol:         _ZN7rocprim17ROCPRIM_304000_NS6detail25onesweep_iteration_kernelINS1_34wrapped_radix_sort_onesweep_configINS0_14default_configEfN2at4cuda3cub6detail10OpaqueTypeILi8EEEEELb0EPKfPfPKSA_PSA_mNS0_19identity_decomposerEEEvT1_T2_T3_T4_jPT5_SO_PNS1_23onesweep_lookback_stateET6_jjj.kd
    .uniform_work_group_size: 1
    .uses_dynamic_stack: false
    .vgpr_count:     72
    .vgpr_spill_count: 0
    .wavefront_size: 64
  - .args:
      - .address_space:  global
        .offset:         0
        .size:           8
        .value_kind:     global_buffer
      - .address_space:  global
        .offset:         8
        .size:           8
        .value_kind:     global_buffer
      - .address_space:  global
        .offset:         16
        .size:           8
        .value_kind:     global_buffer
      - .address_space:  global
        .offset:         24
        .size:           8
        .value_kind:     global_buffer
      - .offset:         32
        .size:           4
        .value_kind:     by_value
      - .address_space:  global
        .offset:         40
        .size:           8
        .value_kind:     global_buffer
      - .address_space:  global
        .offset:         48
        .size:           8
        .value_kind:     global_buffer
      - .address_space:  global
        .offset:         56
        .size:           8
        .value_kind:     global_buffer
      - .offset:         64
        .size:           1
        .value_kind:     by_value
      - .offset:         68
        .size:           4
        .value_kind:     by_value
      - .offset:         72
        .size:           4
        .value_kind:     by_value
      - .offset:         76
        .size:           4
        .value_kind:     by_value
      - .offset:         80
        .size:           4
        .value_kind:     hidden_block_count_x
      - .offset:         84
        .size:           4
        .value_kind:     hidden_block_count_y
      - .offset:         88
        .size:           4
        .value_kind:     hidden_block_count_z
      - .offset:         92
        .size:           2
        .value_kind:     hidden_group_size_x
      - .offset:         94
        .size:           2
        .value_kind:     hidden_group_size_y
      - .offset:         96
        .size:           2
        .value_kind:     hidden_group_size_z
      - .offset:         98
        .size:           2
        .value_kind:     hidden_remainder_x
      - .offset:         100
        .size:           2
        .value_kind:     hidden_remainder_y
      - .offset:         102
        .size:           2
        .value_kind:     hidden_remainder_z
      - .offset:         120
        .size:           8
        .value_kind:     hidden_global_offset_x
      - .offset:         128
        .size:           8
        .value_kind:     hidden_global_offset_y
      - .offset:         136
        .size:           8
        .value_kind:     hidden_global_offset_z
      - .offset:         144
        .size:           2
        .value_kind:     hidden_grid_dims
    .group_segment_fixed_size: 26624
    .kernarg_segment_align: 8
    .kernarg_segment_size: 336
    .language:       OpenCL C
    .language_version:
      - 2
      - 0
    .max_flat_workgroup_size: 256
    .name:           _ZN7rocprim17ROCPRIM_304000_NS6detail25onesweep_iteration_kernelINS1_34wrapped_radix_sort_onesweep_configINS0_14default_configEfN2at4cuda3cub6detail10OpaqueTypeILi8EEEEELb0EPfSC_PSA_SD_mNS0_19identity_decomposerEEEvT1_T2_T3_T4_jPT5_SK_PNS1_23onesweep_lookback_stateET6_jjj
    .private_segment_fixed_size: 0
    .sgpr_count:     79
    .sgpr_spill_count: 0
    .symbol:         _ZN7rocprim17ROCPRIM_304000_NS6detail25onesweep_iteration_kernelINS1_34wrapped_radix_sort_onesweep_configINS0_14default_configEfN2at4cuda3cub6detail10OpaqueTypeILi8EEEEELb0EPfSC_PSA_SD_mNS0_19identity_decomposerEEEvT1_T2_T3_T4_jPT5_SK_PNS1_23onesweep_lookback_stateET6_jjj.kd
    .uniform_work_group_size: 1
    .uses_dynamic_stack: false
    .vgpr_count:     72
    .vgpr_spill_count: 0
    .wavefront_size: 64
  - .args:
      - .address_space:  global
        .offset:         0
        .size:           8
        .value_kind:     global_buffer
      - .address_space:  global
        .offset:         8
        .size:           8
        .value_kind:     global_buffer
      - .address_space:  global
        .offset:         16
        .size:           8
        .value_kind:     global_buffer
      - .address_space:  global
        .offset:         24
        .size:           8
        .value_kind:     global_buffer
      - .offset:         32
        .size:           4
        .value_kind:     by_value
      - .offset:         36
        .size:           1
        .value_kind:     by_value
      - .offset:         40
        .size:           4
        .value_kind:     by_value
      - .offset:         44
        .size:           4
        .value_kind:     by_value
      - .offset:         48
        .size:           4
        .value_kind:     hidden_block_count_x
      - .offset:         52
        .size:           4
        .value_kind:     hidden_block_count_y
      - .offset:         56
        .size:           4
        .value_kind:     hidden_block_count_z
      - .offset:         60
        .size:           2
        .value_kind:     hidden_group_size_x
      - .offset:         62
        .size:           2
        .value_kind:     hidden_group_size_y
      - .offset:         64
        .size:           2
        .value_kind:     hidden_group_size_z
      - .offset:         66
        .size:           2
        .value_kind:     hidden_remainder_x
      - .offset:         68
        .size:           2
        .value_kind:     hidden_remainder_y
      - .offset:         70
        .size:           2
        .value_kind:     hidden_remainder_z
      - .offset:         88
        .size:           8
        .value_kind:     hidden_global_offset_x
      - .offset:         96
        .size:           8
        .value_kind:     hidden_global_offset_y
      - .offset:         104
        .size:           8
        .value_kind:     hidden_global_offset_z
      - .offset:         112
        .size:           2
        .value_kind:     hidden_grid_dims
    .group_segment_fixed_size: 8192
    .kernarg_segment_align: 8
    .kernarg_segment_size: 304
    .language:       OpenCL C
    .language_version:
      - 2
      - 0
    .max_flat_workgroup_size: 256
    .name:           _ZN7rocprim17ROCPRIM_304000_NS6detail28radix_sort_block_sort_kernelINS1_36wrapped_radix_sort_block_sort_configINS0_13kernel_configILj256ELj4ELj4294967295EEEdN2at4cuda3cub6detail10OpaqueTypeILi8EEEEELb1EPKdPdPKSB_PSB_NS0_19identity_decomposerEEEvT1_T2_T3_T4_jT5_jj
    .private_segment_fixed_size: 0
    .sgpr_count:     50
    .sgpr_spill_count: 0
    .symbol:         _ZN7rocprim17ROCPRIM_304000_NS6detail28radix_sort_block_sort_kernelINS1_36wrapped_radix_sort_block_sort_configINS0_13kernel_configILj256ELj4ELj4294967295EEEdN2at4cuda3cub6detail10OpaqueTypeILi8EEEEELb1EPKdPdPKSB_PSB_NS0_19identity_decomposerEEEvT1_T2_T3_T4_jT5_jj.kd
    .uniform_work_group_size: 1
    .uses_dynamic_stack: false
    .vgpr_count:     50
    .vgpr_spill_count: 0
    .wavefront_size: 64
  - .args:           []
    .group_segment_fixed_size: 0
    .kernarg_segment_align: 4
    .kernarg_segment_size: 0
    .language:       OpenCL C
    .language_version:
      - 2
      - 0
    .max_flat_workgroup_size: 1024
    .name:           _ZN7rocprim17ROCPRIM_304000_NS6detail39device_merge_sort_compile_time_verifierINS1_36wrapped_merge_sort_block_sort_configINS1_28merge_sort_block_sort_configILj256ELj4ELNS0_20block_sort_algorithmE0EEEdN2at4cuda3cub6detail10OpaqueTypeILi8EEEEENS1_37wrapped_merge_sort_block_merge_configINS0_14default_configEdSC_EEEEvv
    .private_segment_fixed_size: 0
    .sgpr_count:     4
    .sgpr_spill_count: 0
    .symbol:         _ZN7rocprim17ROCPRIM_304000_NS6detail39device_merge_sort_compile_time_verifierINS1_36wrapped_merge_sort_block_sort_configINS1_28merge_sort_block_sort_configILj256ELj4ELNS0_20block_sort_algorithmE0EEEdN2at4cuda3cub6detail10OpaqueTypeILi8EEEEENS1_37wrapped_merge_sort_block_merge_configINS0_14default_configEdSC_EEEEvv.kd
    .uniform_work_group_size: 1
    .uses_dynamic_stack: false
    .vgpr_count:     0
    .vgpr_spill_count: 0
    .wavefront_size: 64
  - .args:
      - .address_space:  global
        .offset:         0
        .size:           8
        .value_kind:     global_buffer
      - .offset:         8
        .size:           4
        .value_kind:     by_value
      - .offset:         12
        .size:           4
        .value_kind:     by_value
      - .address_space:  global
        .offset:         16
        .size:           8
        .value_kind:     global_buffer
      - .offset:         24
        .size:           1
        .value_kind:     by_value
      - .offset:         28
        .size:           4
        .value_kind:     by_value
    .group_segment_fixed_size: 0
    .kernarg_segment_align: 8
    .kernarg_segment_size: 32
    .language:       OpenCL C
    .language_version:
      - 2
      - 0
    .max_flat_workgroup_size: 128
    .name:           _ZN7rocprim17ROCPRIM_304000_NS6detail45device_block_merge_mergepath_partition_kernelINS1_37wrapped_merge_sort_block_merge_configINS0_14default_configEdN2at4cuda3cub6detail10OpaqueTypeILi8EEEEEPdjNS1_19radix_merge_compareILb1ELb0EdNS0_19identity_decomposerEEEEEvT0_T1_jPSH_T2_SH_
    .private_segment_fixed_size: 0
    .sgpr_count:     14
    .sgpr_spill_count: 0
    .symbol:         _ZN7rocprim17ROCPRIM_304000_NS6detail45device_block_merge_mergepath_partition_kernelINS1_37wrapped_merge_sort_block_merge_configINS0_14default_configEdN2at4cuda3cub6detail10OpaqueTypeILi8EEEEEPdjNS1_19radix_merge_compareILb1ELb0EdNS0_19identity_decomposerEEEEEvT0_T1_jPSH_T2_SH_.kd
    .uniform_work_group_size: 1
    .uses_dynamic_stack: false
    .vgpr_count:     20
    .vgpr_spill_count: 0
    .wavefront_size: 64
  - .args:
      - .address_space:  global
        .offset:         0
        .size:           8
        .value_kind:     global_buffer
      - .address_space:  global
        .offset:         8
        .size:           8
        .value_kind:     global_buffer
      - .address_space:  global
        .offset:         16
        .size:           8
        .value_kind:     global_buffer
      - .address_space:  global
        .offset:         24
        .size:           8
        .value_kind:     global_buffer
      - .offset:         32
        .size:           4
        .value_kind:     by_value
      - .offset:         36
        .size:           4
        .value_kind:     by_value
      - .offset:         40
        .size:           4
        .value_kind:     by_value
      - .offset:         44
        .size:           1
        .value_kind:     by_value
      - .address_space:  global
        .offset:         48
        .size:           8
        .value_kind:     global_buffer
      - .address_space:  global
        .offset:         56
        .size:           8
        .value_kind:     global_buffer
      - .offset:         64
        .size:           4
        .value_kind:     hidden_block_count_x
      - .offset:         68
        .size:           4
        .value_kind:     hidden_block_count_y
      - .offset:         72
        .size:           4
        .value_kind:     hidden_block_count_z
      - .offset:         76
        .size:           2
        .value_kind:     hidden_group_size_x
      - .offset:         78
        .size:           2
        .value_kind:     hidden_group_size_y
      - .offset:         80
        .size:           2
        .value_kind:     hidden_group_size_z
      - .offset:         82
        .size:           2
        .value_kind:     hidden_remainder_x
      - .offset:         84
        .size:           2
        .value_kind:     hidden_remainder_y
      - .offset:         86
        .size:           2
        .value_kind:     hidden_remainder_z
      - .offset:         104
        .size:           8
        .value_kind:     hidden_global_offset_x
      - .offset:         112
        .size:           8
        .value_kind:     hidden_global_offset_y
      - .offset:         120
        .size:           8
        .value_kind:     hidden_global_offset_z
      - .offset:         128
        .size:           2
        .value_kind:     hidden_grid_dims
    .group_segment_fixed_size: 8448
    .kernarg_segment_align: 8
    .kernarg_segment_size: 320
    .language:       OpenCL C
    .language_version:
      - 2
      - 0
    .max_flat_workgroup_size: 128
    .name:           _ZN7rocprim17ROCPRIM_304000_NS6detail35device_block_merge_mergepath_kernelINS1_37wrapped_merge_sort_block_merge_configINS0_14default_configEdN2at4cuda3cub6detail10OpaqueTypeILi8EEEEEPdSC_PSA_SD_jNS1_19radix_merge_compareILb1ELb0EdNS0_19identity_decomposerEEEEEvT0_T1_T2_T3_T4_SL_jT5_PKSL_NS1_7vsmem_tE
    .private_segment_fixed_size: 0
    .sgpr_count:     48
    .sgpr_spill_count: 0
    .symbol:         _ZN7rocprim17ROCPRIM_304000_NS6detail35device_block_merge_mergepath_kernelINS1_37wrapped_merge_sort_block_merge_configINS0_14default_configEdN2at4cuda3cub6detail10OpaqueTypeILi8EEEEEPdSC_PSA_SD_jNS1_19radix_merge_compareILb1ELb0EdNS0_19identity_decomposerEEEEEvT0_T1_T2_T3_T4_SL_jT5_PKSL_NS1_7vsmem_tE.kd
    .uniform_work_group_size: 1
    .uses_dynamic_stack: false
    .vgpr_count:     50
    .vgpr_spill_count: 0
    .wavefront_size: 64
  - .args:
      - .address_space:  global
        .offset:         0
        .size:           8
        .value_kind:     global_buffer
      - .address_space:  global
        .offset:         8
        .size:           8
        .value_kind:     global_buffer
      - .address_space:  global
        .offset:         16
        .size:           8
        .value_kind:     global_buffer
      - .address_space:  global
        .offset:         24
        .size:           8
        .value_kind:     global_buffer
      - .offset:         32
        .size:           4
        .value_kind:     by_value
      - .offset:         36
        .size:           4
        .value_kind:     by_value
      - .offset:         40
        .size:           1
        .value_kind:     by_value
    .group_segment_fixed_size: 0
    .kernarg_segment_align: 8
    .kernarg_segment_size: 44
    .language:       OpenCL C
    .language_version:
      - 2
      - 0
    .max_flat_workgroup_size: 256
    .name:           _ZN7rocprim17ROCPRIM_304000_NS6detail33device_block_merge_oddeven_kernelINS1_37wrapped_merge_sort_block_merge_configINS0_14default_configEdN2at4cuda3cub6detail10OpaqueTypeILi8EEEEEPdSC_PSA_SD_jNS1_19radix_merge_compareILb1ELb0EdNS0_19identity_decomposerEEEEEvT0_T1_T2_T3_T4_SL_T5_
    .private_segment_fixed_size: 0
    .sgpr_count:     26
    .sgpr_spill_count: 0
    .symbol:         _ZN7rocprim17ROCPRIM_304000_NS6detail33device_block_merge_oddeven_kernelINS1_37wrapped_merge_sort_block_merge_configINS0_14default_configEdN2at4cuda3cub6detail10OpaqueTypeILi8EEEEEPdSC_PSA_SD_jNS1_19radix_merge_compareILb1ELb0EdNS0_19identity_decomposerEEEEEvT0_T1_T2_T3_T4_SL_T5_.kd
    .uniform_work_group_size: 1
    .uses_dynamic_stack: false
    .vgpr_count:     18
    .vgpr_spill_count: 0
    .wavefront_size: 64
  - .args:
      - .address_space:  global
        .offset:         0
        .size:           8
        .value_kind:     global_buffer
      - .offset:         8
        .size:           8
        .value_kind:     by_value
      - .address_space:  global
        .offset:         16
        .size:           8
        .value_kind:     global_buffer
      - .offset:         24
        .size:           1
        .value_kind:     by_value
      - .offset:         32
        .size:           4
        .value_kind:     hidden_block_count_x
      - .offset:         36
        .size:           4
        .value_kind:     hidden_block_count_y
      - .offset:         40
        .size:           4
        .value_kind:     hidden_block_count_z
      - .offset:         44
        .size:           2
        .value_kind:     hidden_group_size_x
      - .offset:         46
        .size:           2
        .value_kind:     hidden_group_size_y
      - .offset:         48
        .size:           2
        .value_kind:     hidden_group_size_z
      - .offset:         50
        .size:           2
        .value_kind:     hidden_remainder_x
      - .offset:         52
        .size:           2
        .value_kind:     hidden_remainder_y
      - .offset:         54
        .size:           2
        .value_kind:     hidden_remainder_z
      - .offset:         72
        .size:           8
        .value_kind:     hidden_global_offset_x
      - .offset:         80
        .size:           8
        .value_kind:     hidden_global_offset_y
      - .offset:         88
        .size:           8
        .value_kind:     hidden_global_offset_z
      - .offset:         96
        .size:           2
        .value_kind:     hidden_grid_dims
    .group_segment_fixed_size: 0
    .kernarg_segment_align: 8
    .kernarg_segment_size: 288
    .language:       OpenCL C
    .language_version:
      - 2
      - 0
    .max_flat_workgroup_size: 1024
    .name:           _ZN7rocprim17ROCPRIM_304000_NS6detail16transform_kernelINS1_24wrapped_transform_configINS0_14default_configEdEEdPdS6_NS0_8identityIdEEEEvT1_mT2_T3_
    .private_segment_fixed_size: 0
    .sgpr_count:     14
    .sgpr_spill_count: 0
    .symbol:         _ZN7rocprim17ROCPRIM_304000_NS6detail16transform_kernelINS1_24wrapped_transform_configINS0_14default_configEdEEdPdS6_NS0_8identityIdEEEEvT1_mT2_T3_.kd
    .uniform_work_group_size: 1
    .uses_dynamic_stack: false
    .vgpr_count:     3
    .vgpr_spill_count: 0
    .wavefront_size: 64
  - .args:
      - .address_space:  global
        .offset:         0
        .size:           8
        .value_kind:     global_buffer
      - .address_space:  global
        .offset:         8
        .size:           8
        .value_kind:     global_buffer
      - .offset:         16
        .size:           8
        .value_kind:     by_value
      - .offset:         24
        .size:           8
        .value_kind:     by_value
      - .offset:         32
        .size:           1
        .value_kind:     by_value
      - .offset:         36
        .size:           4
        .value_kind:     by_value
      - .offset:         40
        .size:           4
        .value_kind:     by_value
    .group_segment_fixed_size: 32768
    .kernarg_segment_align: 8
    .kernarg_segment_size: 44
    .language:       OpenCL C
    .language_version:
      - 2
      - 0
    .max_flat_workgroup_size: 256
    .name:           _ZN7rocprim17ROCPRIM_304000_NS6detail26onesweep_histograms_kernelINS1_34wrapped_radix_sort_onesweep_configINS0_14default_configEdN2at4cuda3cub6detail10OpaqueTypeILi8EEEEELb1EPKdmNS0_19identity_decomposerEEEvT1_PT2_SG_SG_T3_jj
    .private_segment_fixed_size: 0
    .sgpr_count:     43
    .sgpr_spill_count: 0
    .symbol:         _ZN7rocprim17ROCPRIM_304000_NS6detail26onesweep_histograms_kernelINS1_34wrapped_radix_sort_onesweep_configINS0_14default_configEdN2at4cuda3cub6detail10OpaqueTypeILi8EEEEELb1EPKdmNS0_19identity_decomposerEEEvT1_PT2_SG_SG_T3_jj.kd
    .uniform_work_group_size: 1
    .uses_dynamic_stack: false
    .vgpr_count:     37
    .vgpr_spill_count: 0
    .wavefront_size: 64
  - .args:
      - .address_space:  global
        .offset:         0
        .size:           8
        .value_kind:     global_buffer
    .group_segment_fixed_size: 32
    .kernarg_segment_align: 8
    .kernarg_segment_size: 8
    .language:       OpenCL C
    .language_version:
      - 2
      - 0
    .max_flat_workgroup_size: 256
    .name:           _ZN7rocprim17ROCPRIM_304000_NS6detail31onesweep_scan_histograms_kernelINS1_34wrapped_radix_sort_onesweep_configINS0_14default_configEdN2at4cuda3cub6detail10OpaqueTypeILi8EEEEEmEEvPT0_
    .private_segment_fixed_size: 0
    .sgpr_count:     12
    .sgpr_spill_count: 0
    .symbol:         _ZN7rocprim17ROCPRIM_304000_NS6detail31onesweep_scan_histograms_kernelINS1_34wrapped_radix_sort_onesweep_configINS0_14default_configEdN2at4cuda3cub6detail10OpaqueTypeILi8EEEEEmEEvPT0_.kd
    .uniform_work_group_size: 1
    .uses_dynamic_stack: false
    .vgpr_count:     12
    .vgpr_spill_count: 0
    .wavefront_size: 64
  - .args:
      - .address_space:  global
        .offset:         0
        .size:           8
        .value_kind:     global_buffer
      - .offset:         8
        .size:           8
        .value_kind:     by_value
      - .address_space:  global
        .offset:         16
        .size:           8
        .value_kind:     global_buffer
      - .offset:         24
        .size:           1
        .value_kind:     by_value
      - .offset:         32
        .size:           4
        .value_kind:     hidden_block_count_x
      - .offset:         36
        .size:           4
        .value_kind:     hidden_block_count_y
      - .offset:         40
        .size:           4
        .value_kind:     hidden_block_count_z
      - .offset:         44
        .size:           2
        .value_kind:     hidden_group_size_x
      - .offset:         46
        .size:           2
        .value_kind:     hidden_group_size_y
      - .offset:         48
        .size:           2
        .value_kind:     hidden_group_size_z
      - .offset:         50
        .size:           2
        .value_kind:     hidden_remainder_x
      - .offset:         52
        .size:           2
        .value_kind:     hidden_remainder_y
      - .offset:         54
        .size:           2
        .value_kind:     hidden_remainder_z
      - .offset:         72
        .size:           8
        .value_kind:     hidden_global_offset_x
      - .offset:         80
        .size:           8
        .value_kind:     hidden_global_offset_y
      - .offset:         88
        .size:           8
        .value_kind:     hidden_global_offset_z
      - .offset:         96
        .size:           2
        .value_kind:     hidden_grid_dims
    .group_segment_fixed_size: 0
    .kernarg_segment_align: 8
    .kernarg_segment_size: 288
    .language:       OpenCL C
    .language_version:
      - 2
      - 0
    .max_flat_workgroup_size: 1024
    .name:           _ZN7rocprim17ROCPRIM_304000_NS6detail16transform_kernelINS1_24wrapped_transform_configINS0_14default_configEdEEdPKdPdNS0_8identityIdEEEEvT1_mT2_T3_
    .private_segment_fixed_size: 0
    .sgpr_count:     14
    .sgpr_spill_count: 0
    .symbol:         _ZN7rocprim17ROCPRIM_304000_NS6detail16transform_kernelINS1_24wrapped_transform_configINS0_14default_configEdEEdPKdPdNS0_8identityIdEEEEvT1_mT2_T3_.kd
    .uniform_work_group_size: 1
    .uses_dynamic_stack: false
    .vgpr_count:     3
    .vgpr_spill_count: 0
    .wavefront_size: 64
  - .args:
      - .address_space:  global
        .offset:         0
        .size:           8
        .value_kind:     global_buffer
      - .address_space:  global
        .offset:         8
        .size:           8
        .value_kind:     global_buffer
      - .address_space:  global
        .offset:         16
        .size:           8
        .value_kind:     global_buffer
      - .address_space:  global
        .offset:         24
        .size:           8
        .value_kind:     global_buffer
      - .offset:         32
        .size:           4
        .value_kind:     by_value
      - .address_space:  global
        .offset:         40
        .size:           8
        .value_kind:     global_buffer
      - .address_space:  global
        .offset:         48
        .size:           8
        .value_kind:     global_buffer
      - .address_space:  global
        .offset:         56
        .size:           8
        .value_kind:     global_buffer
      - .offset:         64
        .size:           1
        .value_kind:     by_value
      - .offset:         68
        .size:           4
        .value_kind:     by_value
      - .offset:         72
        .size:           4
        .value_kind:     by_value
      - .offset:         76
        .size:           4
        .value_kind:     by_value
      - .offset:         80
        .size:           4
        .value_kind:     hidden_block_count_x
      - .offset:         84
        .size:           4
        .value_kind:     hidden_block_count_y
      - .offset:         88
        .size:           4
        .value_kind:     hidden_block_count_z
      - .offset:         92
        .size:           2
        .value_kind:     hidden_group_size_x
      - .offset:         94
        .size:           2
        .value_kind:     hidden_group_size_y
      - .offset:         96
        .size:           2
        .value_kind:     hidden_group_size_z
      - .offset:         98
        .size:           2
        .value_kind:     hidden_remainder_x
      - .offset:         100
        .size:           2
        .value_kind:     hidden_remainder_y
      - .offset:         102
        .size:           2
        .value_kind:     hidden_remainder_z
      - .offset:         120
        .size:           8
        .value_kind:     hidden_global_offset_x
      - .offset:         128
        .size:           8
        .value_kind:     hidden_global_offset_y
      - .offset:         136
        .size:           8
        .value_kind:     hidden_global_offset_z
      - .offset:         144
        .size:           2
        .value_kind:     hidden_grid_dims
    .group_segment_fixed_size: 26624
    .kernarg_segment_align: 8
    .kernarg_segment_size: 336
    .language:       OpenCL C
    .language_version:
      - 2
      - 0
    .max_flat_workgroup_size: 256
    .name:           _ZN7rocprim17ROCPRIM_304000_NS6detail25onesweep_iteration_kernelINS1_34wrapped_radix_sort_onesweep_configINS0_14default_configEdN2at4cuda3cub6detail10OpaqueTypeILi8EEEEELb1EPKdPdPKSA_PSA_mNS0_19identity_decomposerEEEvT1_T2_T3_T4_jPT5_SO_PNS1_23onesweep_lookback_stateET6_jjj
    .private_segment_fixed_size: 0
    .sgpr_count:     82
    .sgpr_spill_count: 0
    .symbol:         _ZN7rocprim17ROCPRIM_304000_NS6detail25onesweep_iteration_kernelINS1_34wrapped_radix_sort_onesweep_configINS0_14default_configEdN2at4cuda3cub6detail10OpaqueTypeILi8EEEEELb1EPKdPdPKSA_PSA_mNS0_19identity_decomposerEEEvT1_T2_T3_T4_jPT5_SO_PNS1_23onesweep_lookback_stateET6_jjj.kd
    .uniform_work_group_size: 1
    .uses_dynamic_stack: false
    .vgpr_count:     78
    .vgpr_spill_count: 0
    .wavefront_size: 64
  - .args:
      - .address_space:  global
        .offset:         0
        .size:           8
        .value_kind:     global_buffer
      - .address_space:  global
        .offset:         8
        .size:           8
        .value_kind:     global_buffer
      - .address_space:  global
        .offset:         16
        .size:           8
        .value_kind:     global_buffer
      - .address_space:  global
        .offset:         24
        .size:           8
        .value_kind:     global_buffer
      - .offset:         32
        .size:           4
        .value_kind:     by_value
      - .address_space:  global
        .offset:         40
        .size:           8
        .value_kind:     global_buffer
      - .address_space:  global
        .offset:         48
        .size:           8
        .value_kind:     global_buffer
      - .address_space:  global
        .offset:         56
        .size:           8
        .value_kind:     global_buffer
      - .offset:         64
        .size:           1
        .value_kind:     by_value
      - .offset:         68
        .size:           4
        .value_kind:     by_value
      - .offset:         72
        .size:           4
        .value_kind:     by_value
      - .offset:         76
        .size:           4
        .value_kind:     by_value
      - .offset:         80
        .size:           4
        .value_kind:     hidden_block_count_x
      - .offset:         84
        .size:           4
        .value_kind:     hidden_block_count_y
      - .offset:         88
        .size:           4
        .value_kind:     hidden_block_count_z
      - .offset:         92
        .size:           2
        .value_kind:     hidden_group_size_x
      - .offset:         94
        .size:           2
        .value_kind:     hidden_group_size_y
      - .offset:         96
        .size:           2
        .value_kind:     hidden_group_size_z
      - .offset:         98
        .size:           2
        .value_kind:     hidden_remainder_x
      - .offset:         100
        .size:           2
        .value_kind:     hidden_remainder_y
      - .offset:         102
        .size:           2
        .value_kind:     hidden_remainder_z
      - .offset:         120
        .size:           8
        .value_kind:     hidden_global_offset_x
      - .offset:         128
        .size:           8
        .value_kind:     hidden_global_offset_y
      - .offset:         136
        .size:           8
        .value_kind:     hidden_global_offset_z
      - .offset:         144
        .size:           2
        .value_kind:     hidden_grid_dims
    .group_segment_fixed_size: 26624
    .kernarg_segment_align: 8
    .kernarg_segment_size: 336
    .language:       OpenCL C
    .language_version:
      - 2
      - 0
    .max_flat_workgroup_size: 256
    .name:           _ZN7rocprim17ROCPRIM_304000_NS6detail25onesweep_iteration_kernelINS1_34wrapped_radix_sort_onesweep_configINS0_14default_configEdN2at4cuda3cub6detail10OpaqueTypeILi8EEEEELb1EPdSC_PSA_SD_mNS0_19identity_decomposerEEEvT1_T2_T3_T4_jPT5_SK_PNS1_23onesweep_lookback_stateET6_jjj
    .private_segment_fixed_size: 0
    .sgpr_count:     82
    .sgpr_spill_count: 0
    .symbol:         _ZN7rocprim17ROCPRIM_304000_NS6detail25onesweep_iteration_kernelINS1_34wrapped_radix_sort_onesweep_configINS0_14default_configEdN2at4cuda3cub6detail10OpaqueTypeILi8EEEEELb1EPdSC_PSA_SD_mNS0_19identity_decomposerEEEvT1_T2_T3_T4_jPT5_SK_PNS1_23onesweep_lookback_stateET6_jjj.kd
    .uniform_work_group_size: 1
    .uses_dynamic_stack: false
    .vgpr_count:     78
    .vgpr_spill_count: 0
    .wavefront_size: 64
  - .args:
      - .address_space:  global
        .offset:         0
        .size:           8
        .value_kind:     global_buffer
      - .address_space:  global
        .offset:         8
        .size:           8
        .value_kind:     global_buffer
      - .address_space:  global
        .offset:         16
        .size:           8
        .value_kind:     global_buffer
      - .address_space:  global
        .offset:         24
        .size:           8
        .value_kind:     global_buffer
      - .offset:         32
        .size:           4
        .value_kind:     by_value
      - .offset:         36
        .size:           1
        .value_kind:     by_value
      - .offset:         40
        .size:           4
        .value_kind:     by_value
      - .offset:         44
        .size:           4
        .value_kind:     by_value
      - .offset:         48
        .size:           4
        .value_kind:     hidden_block_count_x
      - .offset:         52
        .size:           4
        .value_kind:     hidden_block_count_y
      - .offset:         56
        .size:           4
        .value_kind:     hidden_block_count_z
      - .offset:         60
        .size:           2
        .value_kind:     hidden_group_size_x
      - .offset:         62
        .size:           2
        .value_kind:     hidden_group_size_y
      - .offset:         64
        .size:           2
        .value_kind:     hidden_group_size_z
      - .offset:         66
        .size:           2
        .value_kind:     hidden_remainder_x
      - .offset:         68
        .size:           2
        .value_kind:     hidden_remainder_y
      - .offset:         70
        .size:           2
        .value_kind:     hidden_remainder_z
      - .offset:         88
        .size:           8
        .value_kind:     hidden_global_offset_x
      - .offset:         96
        .size:           8
        .value_kind:     hidden_global_offset_y
      - .offset:         104
        .size:           8
        .value_kind:     hidden_global_offset_z
      - .offset:         112
        .size:           2
        .value_kind:     hidden_grid_dims
    .group_segment_fixed_size: 8192
    .kernarg_segment_align: 8
    .kernarg_segment_size: 304
    .language:       OpenCL C
    .language_version:
      - 2
      - 0
    .max_flat_workgroup_size: 256
    .name:           _ZN7rocprim17ROCPRIM_304000_NS6detail28radix_sort_block_sort_kernelINS1_36wrapped_radix_sort_block_sort_configINS0_13kernel_configILj256ELj4ELj4294967295EEEdN2at4cuda3cub6detail10OpaqueTypeILi8EEEEELb0EPKdPdPKSB_PSB_NS0_19identity_decomposerEEEvT1_T2_T3_T4_jT5_jj
    .private_segment_fixed_size: 0
    .sgpr_count:     50
    .sgpr_spill_count: 0
    .symbol:         _ZN7rocprim17ROCPRIM_304000_NS6detail28radix_sort_block_sort_kernelINS1_36wrapped_radix_sort_block_sort_configINS0_13kernel_configILj256ELj4ELj4294967295EEEdN2at4cuda3cub6detail10OpaqueTypeILi8EEEEELb0EPKdPdPKSB_PSB_NS0_19identity_decomposerEEEvT1_T2_T3_T4_jT5_jj.kd
    .uniform_work_group_size: 1
    .uses_dynamic_stack: false
    .vgpr_count:     50
    .vgpr_spill_count: 0
    .wavefront_size: 64
  - .args:
      - .address_space:  global
        .offset:         0
        .size:           8
        .value_kind:     global_buffer
      - .offset:         8
        .size:           4
        .value_kind:     by_value
      - .offset:         12
        .size:           4
        .value_kind:     by_value
      - .address_space:  global
        .offset:         16
        .size:           8
        .value_kind:     global_buffer
      - .offset:         24
        .size:           1
        .value_kind:     by_value
      - .offset:         28
        .size:           4
        .value_kind:     by_value
    .group_segment_fixed_size: 0
    .kernarg_segment_align: 8
    .kernarg_segment_size: 32
    .language:       OpenCL C
    .language_version:
      - 2
      - 0
    .max_flat_workgroup_size: 128
    .name:           _ZN7rocprim17ROCPRIM_304000_NS6detail45device_block_merge_mergepath_partition_kernelINS1_37wrapped_merge_sort_block_merge_configINS0_14default_configEdN2at4cuda3cub6detail10OpaqueTypeILi8EEEEEPdjNS1_19radix_merge_compareILb0ELb0EdNS0_19identity_decomposerEEEEEvT0_T1_jPSH_T2_SH_
    .private_segment_fixed_size: 0
    .sgpr_count:     14
    .sgpr_spill_count: 0
    .symbol:         _ZN7rocprim17ROCPRIM_304000_NS6detail45device_block_merge_mergepath_partition_kernelINS1_37wrapped_merge_sort_block_merge_configINS0_14default_configEdN2at4cuda3cub6detail10OpaqueTypeILi8EEEEEPdjNS1_19radix_merge_compareILb0ELb0EdNS0_19identity_decomposerEEEEEvT0_T1_jPSH_T2_SH_.kd
    .uniform_work_group_size: 1
    .uses_dynamic_stack: false
    .vgpr_count:     20
    .vgpr_spill_count: 0
    .wavefront_size: 64
  - .args:
      - .address_space:  global
        .offset:         0
        .size:           8
        .value_kind:     global_buffer
      - .address_space:  global
        .offset:         8
        .size:           8
        .value_kind:     global_buffer
      - .address_space:  global
        .offset:         16
        .size:           8
        .value_kind:     global_buffer
      - .address_space:  global
        .offset:         24
        .size:           8
        .value_kind:     global_buffer
      - .offset:         32
        .size:           4
        .value_kind:     by_value
      - .offset:         36
        .size:           4
        .value_kind:     by_value
      - .offset:         40
        .size:           4
        .value_kind:     by_value
      - .offset:         44
        .size:           1
        .value_kind:     by_value
      - .address_space:  global
        .offset:         48
        .size:           8
        .value_kind:     global_buffer
      - .address_space:  global
        .offset:         56
        .size:           8
        .value_kind:     global_buffer
      - .offset:         64
        .size:           4
        .value_kind:     hidden_block_count_x
      - .offset:         68
        .size:           4
        .value_kind:     hidden_block_count_y
      - .offset:         72
        .size:           4
        .value_kind:     hidden_block_count_z
      - .offset:         76
        .size:           2
        .value_kind:     hidden_group_size_x
      - .offset:         78
        .size:           2
        .value_kind:     hidden_group_size_y
      - .offset:         80
        .size:           2
        .value_kind:     hidden_group_size_z
      - .offset:         82
        .size:           2
        .value_kind:     hidden_remainder_x
      - .offset:         84
        .size:           2
        .value_kind:     hidden_remainder_y
      - .offset:         86
        .size:           2
        .value_kind:     hidden_remainder_z
      - .offset:         104
        .size:           8
        .value_kind:     hidden_global_offset_x
      - .offset:         112
        .size:           8
        .value_kind:     hidden_global_offset_y
      - .offset:         120
        .size:           8
        .value_kind:     hidden_global_offset_z
      - .offset:         128
        .size:           2
        .value_kind:     hidden_grid_dims
    .group_segment_fixed_size: 8448
    .kernarg_segment_align: 8
    .kernarg_segment_size: 320
    .language:       OpenCL C
    .language_version:
      - 2
      - 0
    .max_flat_workgroup_size: 128
    .name:           _ZN7rocprim17ROCPRIM_304000_NS6detail35device_block_merge_mergepath_kernelINS1_37wrapped_merge_sort_block_merge_configINS0_14default_configEdN2at4cuda3cub6detail10OpaqueTypeILi8EEEEEPdSC_PSA_SD_jNS1_19radix_merge_compareILb0ELb0EdNS0_19identity_decomposerEEEEEvT0_T1_T2_T3_T4_SL_jT5_PKSL_NS1_7vsmem_tE
    .private_segment_fixed_size: 0
    .sgpr_count:     48
    .sgpr_spill_count: 0
    .symbol:         _ZN7rocprim17ROCPRIM_304000_NS6detail35device_block_merge_mergepath_kernelINS1_37wrapped_merge_sort_block_merge_configINS0_14default_configEdN2at4cuda3cub6detail10OpaqueTypeILi8EEEEEPdSC_PSA_SD_jNS1_19radix_merge_compareILb0ELb0EdNS0_19identity_decomposerEEEEEvT0_T1_T2_T3_T4_SL_jT5_PKSL_NS1_7vsmem_tE.kd
    .uniform_work_group_size: 1
    .uses_dynamic_stack: false
    .vgpr_count:     50
    .vgpr_spill_count: 0
    .wavefront_size: 64
  - .args:
      - .address_space:  global
        .offset:         0
        .size:           8
        .value_kind:     global_buffer
      - .address_space:  global
        .offset:         8
        .size:           8
        .value_kind:     global_buffer
      - .address_space:  global
        .offset:         16
        .size:           8
        .value_kind:     global_buffer
      - .address_space:  global
        .offset:         24
        .size:           8
        .value_kind:     global_buffer
      - .offset:         32
        .size:           4
        .value_kind:     by_value
      - .offset:         36
        .size:           4
        .value_kind:     by_value
      - .offset:         40
        .size:           1
        .value_kind:     by_value
    .group_segment_fixed_size: 0
    .kernarg_segment_align: 8
    .kernarg_segment_size: 44
    .language:       OpenCL C
    .language_version:
      - 2
      - 0
    .max_flat_workgroup_size: 256
    .name:           _ZN7rocprim17ROCPRIM_304000_NS6detail33device_block_merge_oddeven_kernelINS1_37wrapped_merge_sort_block_merge_configINS0_14default_configEdN2at4cuda3cub6detail10OpaqueTypeILi8EEEEEPdSC_PSA_SD_jNS1_19radix_merge_compareILb0ELb0EdNS0_19identity_decomposerEEEEEvT0_T1_T2_T3_T4_SL_T5_
    .private_segment_fixed_size: 0
    .sgpr_count:     26
    .sgpr_spill_count: 0
    .symbol:         _ZN7rocprim17ROCPRIM_304000_NS6detail33device_block_merge_oddeven_kernelINS1_37wrapped_merge_sort_block_merge_configINS0_14default_configEdN2at4cuda3cub6detail10OpaqueTypeILi8EEEEEPdSC_PSA_SD_jNS1_19radix_merge_compareILb0ELb0EdNS0_19identity_decomposerEEEEEvT0_T1_T2_T3_T4_SL_T5_.kd
    .uniform_work_group_size: 1
    .uses_dynamic_stack: false
    .vgpr_count:     18
    .vgpr_spill_count: 0
    .wavefront_size: 64
  - .args:
      - .address_space:  global
        .offset:         0
        .size:           8
        .value_kind:     global_buffer
      - .address_space:  global
        .offset:         8
        .size:           8
        .value_kind:     global_buffer
      - .offset:         16
        .size:           8
        .value_kind:     by_value
      - .offset:         24
        .size:           8
        .value_kind:     by_value
      - .offset:         32
        .size:           1
        .value_kind:     by_value
      - .offset:         36
        .size:           4
        .value_kind:     by_value
      - .offset:         40
        .size:           4
        .value_kind:     by_value
    .group_segment_fixed_size: 32768
    .kernarg_segment_align: 8
    .kernarg_segment_size: 44
    .language:       OpenCL C
    .language_version:
      - 2
      - 0
    .max_flat_workgroup_size: 256
    .name:           _ZN7rocprim17ROCPRIM_304000_NS6detail26onesweep_histograms_kernelINS1_34wrapped_radix_sort_onesweep_configINS0_14default_configEdN2at4cuda3cub6detail10OpaqueTypeILi8EEEEELb0EPKdmNS0_19identity_decomposerEEEvT1_PT2_SG_SG_T3_jj
    .private_segment_fixed_size: 0
    .sgpr_count:     43
    .sgpr_spill_count: 0
    .symbol:         _ZN7rocprim17ROCPRIM_304000_NS6detail26onesweep_histograms_kernelINS1_34wrapped_radix_sort_onesweep_configINS0_14default_configEdN2at4cuda3cub6detail10OpaqueTypeILi8EEEEELb0EPKdmNS0_19identity_decomposerEEEvT1_PT2_SG_SG_T3_jj.kd
    .uniform_work_group_size: 1
    .uses_dynamic_stack: false
    .vgpr_count:     37
    .vgpr_spill_count: 0
    .wavefront_size: 64
  - .args:
      - .address_space:  global
        .offset:         0
        .size:           8
        .value_kind:     global_buffer
      - .address_space:  global
        .offset:         8
        .size:           8
        .value_kind:     global_buffer
      - .address_space:  global
        .offset:         16
        .size:           8
        .value_kind:     global_buffer
      - .address_space:  global
        .offset:         24
        .size:           8
        .value_kind:     global_buffer
      - .offset:         32
        .size:           4
        .value_kind:     by_value
      - .address_space:  global
        .offset:         40
        .size:           8
        .value_kind:     global_buffer
      - .address_space:  global
        .offset:         48
        .size:           8
        .value_kind:     global_buffer
      - .address_space:  global
        .offset:         56
        .size:           8
        .value_kind:     global_buffer
      - .offset:         64
        .size:           1
        .value_kind:     by_value
      - .offset:         68
        .size:           4
        .value_kind:     by_value
      - .offset:         72
        .size:           4
        .value_kind:     by_value
      - .offset:         76
        .size:           4
        .value_kind:     by_value
      - .offset:         80
        .size:           4
        .value_kind:     hidden_block_count_x
      - .offset:         84
        .size:           4
        .value_kind:     hidden_block_count_y
      - .offset:         88
        .size:           4
        .value_kind:     hidden_block_count_z
      - .offset:         92
        .size:           2
        .value_kind:     hidden_group_size_x
      - .offset:         94
        .size:           2
        .value_kind:     hidden_group_size_y
      - .offset:         96
        .size:           2
        .value_kind:     hidden_group_size_z
      - .offset:         98
        .size:           2
        .value_kind:     hidden_remainder_x
      - .offset:         100
        .size:           2
        .value_kind:     hidden_remainder_y
      - .offset:         102
        .size:           2
        .value_kind:     hidden_remainder_z
      - .offset:         120
        .size:           8
        .value_kind:     hidden_global_offset_x
      - .offset:         128
        .size:           8
        .value_kind:     hidden_global_offset_y
      - .offset:         136
        .size:           8
        .value_kind:     hidden_global_offset_z
      - .offset:         144
        .size:           2
        .value_kind:     hidden_grid_dims
    .group_segment_fixed_size: 26624
    .kernarg_segment_align: 8
    .kernarg_segment_size: 336
    .language:       OpenCL C
    .language_version:
      - 2
      - 0
    .max_flat_workgroup_size: 256
    .name:           _ZN7rocprim17ROCPRIM_304000_NS6detail25onesweep_iteration_kernelINS1_34wrapped_radix_sort_onesweep_configINS0_14default_configEdN2at4cuda3cub6detail10OpaqueTypeILi8EEEEELb0EPKdPdPKSA_PSA_mNS0_19identity_decomposerEEEvT1_T2_T3_T4_jPT5_SO_PNS1_23onesweep_lookback_stateET6_jjj
    .private_segment_fixed_size: 0
    .sgpr_count:     82
    .sgpr_spill_count: 0
    .symbol:         _ZN7rocprim17ROCPRIM_304000_NS6detail25onesweep_iteration_kernelINS1_34wrapped_radix_sort_onesweep_configINS0_14default_configEdN2at4cuda3cub6detail10OpaqueTypeILi8EEEEELb0EPKdPdPKSA_PSA_mNS0_19identity_decomposerEEEvT1_T2_T3_T4_jPT5_SO_PNS1_23onesweep_lookback_stateET6_jjj.kd
    .uniform_work_group_size: 1
    .uses_dynamic_stack: false
    .vgpr_count:     78
    .vgpr_spill_count: 0
    .wavefront_size: 64
  - .args:
      - .address_space:  global
        .offset:         0
        .size:           8
        .value_kind:     global_buffer
      - .address_space:  global
        .offset:         8
        .size:           8
        .value_kind:     global_buffer
      - .address_space:  global
        .offset:         16
        .size:           8
        .value_kind:     global_buffer
      - .address_space:  global
        .offset:         24
        .size:           8
        .value_kind:     global_buffer
      - .offset:         32
        .size:           4
        .value_kind:     by_value
      - .address_space:  global
        .offset:         40
        .size:           8
        .value_kind:     global_buffer
      - .address_space:  global
        .offset:         48
        .size:           8
        .value_kind:     global_buffer
      - .address_space:  global
        .offset:         56
        .size:           8
        .value_kind:     global_buffer
      - .offset:         64
        .size:           1
        .value_kind:     by_value
      - .offset:         68
        .size:           4
        .value_kind:     by_value
      - .offset:         72
        .size:           4
        .value_kind:     by_value
      - .offset:         76
        .size:           4
        .value_kind:     by_value
      - .offset:         80
        .size:           4
        .value_kind:     hidden_block_count_x
      - .offset:         84
        .size:           4
        .value_kind:     hidden_block_count_y
      - .offset:         88
        .size:           4
        .value_kind:     hidden_block_count_z
      - .offset:         92
        .size:           2
        .value_kind:     hidden_group_size_x
      - .offset:         94
        .size:           2
        .value_kind:     hidden_group_size_y
      - .offset:         96
        .size:           2
        .value_kind:     hidden_group_size_z
      - .offset:         98
        .size:           2
        .value_kind:     hidden_remainder_x
      - .offset:         100
        .size:           2
        .value_kind:     hidden_remainder_y
      - .offset:         102
        .size:           2
        .value_kind:     hidden_remainder_z
      - .offset:         120
        .size:           8
        .value_kind:     hidden_global_offset_x
      - .offset:         128
        .size:           8
        .value_kind:     hidden_global_offset_y
      - .offset:         136
        .size:           8
        .value_kind:     hidden_global_offset_z
      - .offset:         144
        .size:           2
        .value_kind:     hidden_grid_dims
    .group_segment_fixed_size: 26624
    .kernarg_segment_align: 8
    .kernarg_segment_size: 336
    .language:       OpenCL C
    .language_version:
      - 2
      - 0
    .max_flat_workgroup_size: 256
    .name:           _ZN7rocprim17ROCPRIM_304000_NS6detail25onesweep_iteration_kernelINS1_34wrapped_radix_sort_onesweep_configINS0_14default_configEdN2at4cuda3cub6detail10OpaqueTypeILi8EEEEELb0EPdSC_PSA_SD_mNS0_19identity_decomposerEEEvT1_T2_T3_T4_jPT5_SK_PNS1_23onesweep_lookback_stateET6_jjj
    .private_segment_fixed_size: 0
    .sgpr_count:     82
    .sgpr_spill_count: 0
    .symbol:         _ZN7rocprim17ROCPRIM_304000_NS6detail25onesweep_iteration_kernelINS1_34wrapped_radix_sort_onesweep_configINS0_14default_configEdN2at4cuda3cub6detail10OpaqueTypeILi8EEEEELb0EPdSC_PSA_SD_mNS0_19identity_decomposerEEEvT1_T2_T3_T4_jPT5_SK_PNS1_23onesweep_lookback_stateET6_jjj.kd
    .uniform_work_group_size: 1
    .uses_dynamic_stack: false
    .vgpr_count:     78
    .vgpr_spill_count: 0
    .wavefront_size: 64
  - .args:
      - .address_space:  global
        .offset:         0
        .size:           8
        .value_kind:     global_buffer
      - .address_space:  global
        .offset:         8
        .size:           8
        .value_kind:     global_buffer
      - .address_space:  global
        .offset:         16
        .size:           8
        .value_kind:     global_buffer
      - .address_space:  global
        .offset:         24
        .size:           8
        .value_kind:     global_buffer
      - .offset:         32
        .size:           4
        .value_kind:     by_value
      - .offset:         36
        .size:           1
        .value_kind:     by_value
      - .offset:         40
        .size:           4
        .value_kind:     by_value
      - .offset:         44
        .size:           4
        .value_kind:     by_value
      - .offset:         48
        .size:           4
        .value_kind:     hidden_block_count_x
      - .offset:         52
        .size:           4
        .value_kind:     hidden_block_count_y
      - .offset:         56
        .size:           4
        .value_kind:     hidden_block_count_z
      - .offset:         60
        .size:           2
        .value_kind:     hidden_group_size_x
      - .offset:         62
        .size:           2
        .value_kind:     hidden_group_size_y
      - .offset:         64
        .size:           2
        .value_kind:     hidden_group_size_z
      - .offset:         66
        .size:           2
        .value_kind:     hidden_remainder_x
      - .offset:         68
        .size:           2
        .value_kind:     hidden_remainder_y
      - .offset:         70
        .size:           2
        .value_kind:     hidden_remainder_z
      - .offset:         88
        .size:           8
        .value_kind:     hidden_global_offset_x
      - .offset:         96
        .size:           8
        .value_kind:     hidden_global_offset_y
      - .offset:         104
        .size:           8
        .value_kind:     hidden_global_offset_z
      - .offset:         112
        .size:           2
        .value_kind:     hidden_grid_dims
    .group_segment_fixed_size: 8192
    .kernarg_segment_align: 8
    .kernarg_segment_size: 304
    .language:       OpenCL C
    .language_version:
      - 2
      - 0
    .max_flat_workgroup_size: 256
    .name:           _ZN7rocprim17ROCPRIM_304000_NS6detail28radix_sort_block_sort_kernelINS1_36wrapped_radix_sort_block_sort_configINS0_13kernel_configILj256ELj4ELj4294967295EEEbN2at4cuda3cub6detail10OpaqueTypeILi8EEEEELb1EPKbPbPKSB_PSB_NS0_19identity_decomposerEEEvT1_T2_T3_T4_jT5_jj
    .private_segment_fixed_size: 0
    .sgpr_count:     50
    .sgpr_spill_count: 0
    .symbol:         _ZN7rocprim17ROCPRIM_304000_NS6detail28radix_sort_block_sort_kernelINS1_36wrapped_radix_sort_block_sort_configINS0_13kernel_configILj256ELj4ELj4294967295EEEbN2at4cuda3cub6detail10OpaqueTypeILi8EEEEELb1EPKbPbPKSB_PSB_NS0_19identity_decomposerEEEvT1_T2_T3_T4_jT5_jj.kd
    .uniform_work_group_size: 1
    .uses_dynamic_stack: false
    .vgpr_count:     48
    .vgpr_spill_count: 0
    .wavefront_size: 64
  - .args:           []
    .group_segment_fixed_size: 0
    .kernarg_segment_align: 4
    .kernarg_segment_size: 0
    .language:       OpenCL C
    .language_version:
      - 2
      - 0
    .max_flat_workgroup_size: 1024
    .name:           _ZN7rocprim17ROCPRIM_304000_NS6detail39device_merge_sort_compile_time_verifierINS1_36wrapped_merge_sort_block_sort_configINS1_28merge_sort_block_sort_configILj256ELj4ELNS0_20block_sort_algorithmE0EEEbN2at4cuda3cub6detail10OpaqueTypeILi8EEEEENS1_37wrapped_merge_sort_block_merge_configINS0_14default_configEbSC_EEEEvv
    .private_segment_fixed_size: 0
    .sgpr_count:     4
    .sgpr_spill_count: 0
    .symbol:         _ZN7rocprim17ROCPRIM_304000_NS6detail39device_merge_sort_compile_time_verifierINS1_36wrapped_merge_sort_block_sort_configINS1_28merge_sort_block_sort_configILj256ELj4ELNS0_20block_sort_algorithmE0EEEbN2at4cuda3cub6detail10OpaqueTypeILi8EEEEENS1_37wrapped_merge_sort_block_merge_configINS0_14default_configEbSC_EEEEvv.kd
    .uniform_work_group_size: 1
    .uses_dynamic_stack: false
    .vgpr_count:     0
    .vgpr_spill_count: 0
    .wavefront_size: 64
  - .args:
      - .address_space:  global
        .offset:         0
        .size:           8
        .value_kind:     global_buffer
      - .offset:         8
        .size:           4
        .value_kind:     by_value
      - .offset:         12
        .size:           4
        .value_kind:     by_value
      - .address_space:  global
        .offset:         16
        .size:           8
        .value_kind:     global_buffer
      - .offset:         24
        .size:           1
        .value_kind:     by_value
      - .offset:         28
        .size:           4
        .value_kind:     by_value
    .group_segment_fixed_size: 0
    .kernarg_segment_align: 8
    .kernarg_segment_size: 32
    .language:       OpenCL C
    .language_version:
      - 2
      - 0
    .max_flat_workgroup_size: 128
    .name:           _ZN7rocprim17ROCPRIM_304000_NS6detail45device_block_merge_mergepath_partition_kernelINS1_37wrapped_merge_sort_block_merge_configINS0_14default_configEbN2at4cuda3cub6detail10OpaqueTypeILi8EEEEEPbjNS1_19radix_merge_compareILb1ELb0EbNS0_19identity_decomposerEEEEEvT0_T1_jPSH_T2_SH_
    .private_segment_fixed_size: 0
    .sgpr_count:     11
    .sgpr_spill_count: 0
    .symbol:         _ZN7rocprim17ROCPRIM_304000_NS6detail45device_block_merge_mergepath_partition_kernelINS1_37wrapped_merge_sort_block_merge_configINS0_14default_configEbN2at4cuda3cub6detail10OpaqueTypeILi8EEEEEPbjNS1_19radix_merge_compareILb1ELb0EbNS0_19identity_decomposerEEEEEvT0_T1_jPSH_T2_SH_.kd
    .uniform_work_group_size: 1
    .uses_dynamic_stack: false
    .vgpr_count:     16
    .vgpr_spill_count: 0
    .wavefront_size: 64
  - .args:
      - .address_space:  global
        .offset:         0
        .size:           8
        .value_kind:     global_buffer
      - .address_space:  global
        .offset:         8
        .size:           8
        .value_kind:     global_buffer
      - .address_space:  global
        .offset:         16
        .size:           8
        .value_kind:     global_buffer
      - .address_space:  global
        .offset:         24
        .size:           8
        .value_kind:     global_buffer
      - .offset:         32
        .size:           4
        .value_kind:     by_value
      - .offset:         36
        .size:           4
        .value_kind:     by_value
      - .offset:         40
        .size:           4
        .value_kind:     by_value
      - .offset:         44
        .size:           1
        .value_kind:     by_value
      - .address_space:  global
        .offset:         48
        .size:           8
        .value_kind:     global_buffer
      - .address_space:  global
        .offset:         56
        .size:           8
        .value_kind:     global_buffer
      - .offset:         64
        .size:           4
        .value_kind:     hidden_block_count_x
      - .offset:         68
        .size:           4
        .value_kind:     hidden_block_count_y
      - .offset:         72
        .size:           4
        .value_kind:     hidden_block_count_z
      - .offset:         76
        .size:           2
        .value_kind:     hidden_group_size_x
      - .offset:         78
        .size:           2
        .value_kind:     hidden_group_size_y
      - .offset:         80
        .size:           2
        .value_kind:     hidden_group_size_z
      - .offset:         82
        .size:           2
        .value_kind:     hidden_remainder_x
      - .offset:         84
        .size:           2
        .value_kind:     hidden_remainder_y
      - .offset:         86
        .size:           2
        .value_kind:     hidden_remainder_z
      - .offset:         104
        .size:           8
        .value_kind:     hidden_global_offset_x
      - .offset:         112
        .size:           8
        .value_kind:     hidden_global_offset_y
      - .offset:         120
        .size:           8
        .value_kind:     hidden_global_offset_z
      - .offset:         128
        .size:           2
        .value_kind:     hidden_grid_dims
    .group_segment_fixed_size: 8208
    .kernarg_segment_align: 8
    .kernarg_segment_size: 320
    .language:       OpenCL C
    .language_version:
      - 2
      - 0
    .max_flat_workgroup_size: 128
    .name:           _ZN7rocprim17ROCPRIM_304000_NS6detail35device_block_merge_mergepath_kernelINS1_37wrapped_merge_sort_block_merge_configINS0_14default_configEbN2at4cuda3cub6detail10OpaqueTypeILi8EEEEEPbSC_PSA_SD_jNS1_19radix_merge_compareILb1ELb0EbNS0_19identity_decomposerEEEEEvT0_T1_T2_T3_T4_SL_jT5_PKSL_NS1_7vsmem_tE
    .private_segment_fixed_size: 0
    .sgpr_count:     36
    .sgpr_spill_count: 0
    .symbol:         _ZN7rocprim17ROCPRIM_304000_NS6detail35device_block_merge_mergepath_kernelINS1_37wrapped_merge_sort_block_merge_configINS0_14default_configEbN2at4cuda3cub6detail10OpaqueTypeILi8EEEEEPbSC_PSA_SD_jNS1_19radix_merge_compareILb1ELb0EbNS0_19identity_decomposerEEEEEvT0_T1_T2_T3_T4_SL_jT5_PKSL_NS1_7vsmem_tE.kd
    .uniform_work_group_size: 1
    .uses_dynamic_stack: false
    .vgpr_count:     32
    .vgpr_spill_count: 0
    .wavefront_size: 64
  - .args:
      - .address_space:  global
        .offset:         0
        .size:           8
        .value_kind:     global_buffer
      - .address_space:  global
        .offset:         8
        .size:           8
        .value_kind:     global_buffer
      - .address_space:  global
        .offset:         16
        .size:           8
        .value_kind:     global_buffer
      - .address_space:  global
        .offset:         24
        .size:           8
        .value_kind:     global_buffer
      - .offset:         32
        .size:           4
        .value_kind:     by_value
      - .offset:         36
        .size:           4
        .value_kind:     by_value
      - .offset:         40
        .size:           1
        .value_kind:     by_value
    .group_segment_fixed_size: 0
    .kernarg_segment_align: 8
    .kernarg_segment_size: 44
    .language:       OpenCL C
    .language_version:
      - 2
      - 0
    .max_flat_workgroup_size: 256
    .name:           _ZN7rocprim17ROCPRIM_304000_NS6detail33device_block_merge_oddeven_kernelINS1_37wrapped_merge_sort_block_merge_configINS0_14default_configEbN2at4cuda3cub6detail10OpaqueTypeILi8EEEEEPbSC_PSA_SD_jNS1_19radix_merge_compareILb1ELb0EbNS0_19identity_decomposerEEEEEvT0_T1_T2_T3_T4_SL_T5_
    .private_segment_fixed_size: 0
    .sgpr_count:     26
    .sgpr_spill_count: 0
    .symbol:         _ZN7rocprim17ROCPRIM_304000_NS6detail33device_block_merge_oddeven_kernelINS1_37wrapped_merge_sort_block_merge_configINS0_14default_configEbN2at4cuda3cub6detail10OpaqueTypeILi8EEEEEPbSC_PSA_SD_jNS1_19radix_merge_compareILb1ELb0EbNS0_19identity_decomposerEEEEEvT0_T1_T2_T3_T4_SL_T5_.kd
    .uniform_work_group_size: 1
    .uses_dynamic_stack: false
    .vgpr_count:     10
    .vgpr_spill_count: 0
    .wavefront_size: 64
  - .args:
      - .address_space:  global
        .offset:         0
        .size:           8
        .value_kind:     global_buffer
      - .offset:         8
        .size:           8
        .value_kind:     by_value
      - .address_space:  global
        .offset:         16
        .size:           8
        .value_kind:     global_buffer
      - .offset:         24
        .size:           1
        .value_kind:     by_value
      - .offset:         32
        .size:           4
        .value_kind:     hidden_block_count_x
      - .offset:         36
        .size:           4
        .value_kind:     hidden_block_count_y
      - .offset:         40
        .size:           4
        .value_kind:     hidden_block_count_z
      - .offset:         44
        .size:           2
        .value_kind:     hidden_group_size_x
      - .offset:         46
        .size:           2
        .value_kind:     hidden_group_size_y
      - .offset:         48
        .size:           2
        .value_kind:     hidden_group_size_z
      - .offset:         50
        .size:           2
        .value_kind:     hidden_remainder_x
      - .offset:         52
        .size:           2
        .value_kind:     hidden_remainder_y
      - .offset:         54
        .size:           2
        .value_kind:     hidden_remainder_z
      - .offset:         72
        .size:           8
        .value_kind:     hidden_global_offset_x
      - .offset:         80
        .size:           8
        .value_kind:     hidden_global_offset_y
      - .offset:         88
        .size:           8
        .value_kind:     hidden_global_offset_z
      - .offset:         96
        .size:           2
        .value_kind:     hidden_grid_dims
    .group_segment_fixed_size: 0
    .kernarg_segment_align: 8
    .kernarg_segment_size: 288
    .language:       OpenCL C
    .language_version:
      - 2
      - 0
    .max_flat_workgroup_size: 64
    .name:           _ZN7rocprim17ROCPRIM_304000_NS6detail16transform_kernelINS1_24wrapped_transform_configINS0_14default_configEbEEbPbS6_NS0_8identityIbEEEEvT1_mT2_T3_
    .private_segment_fixed_size: 0
    .sgpr_count:     44
    .sgpr_spill_count: 0
    .symbol:         _ZN7rocprim17ROCPRIM_304000_NS6detail16transform_kernelINS1_24wrapped_transform_configINS0_14default_configEbEEbPbS6_NS0_8identityIbEEEEvT1_mT2_T3_.kd
    .uniform_work_group_size: 1
    .uses_dynamic_stack: false
    .vgpr_count:     21
    .vgpr_spill_count: 0
    .wavefront_size: 64
  - .args:
      - .address_space:  global
        .offset:         0
        .size:           8
        .value_kind:     global_buffer
      - .offset:         8
        .size:           4
        .value_kind:     by_value
      - .offset:         12
        .size:           4
        .value_kind:     by_value
      - .address_space:  global
        .offset:         16
        .size:           8
        .value_kind:     global_buffer
      - .offset:         24
        .size:           1
        .value_kind:     by_value
      - .offset:         28
        .size:           4
        .value_kind:     by_value
    .group_segment_fixed_size: 256
    .kernarg_segment_align: 8
    .kernarg_segment_size: 32
    .language:       OpenCL C
    .language_version:
      - 2
      - 0
    .max_flat_workgroup_size: 128
    .name:           _ZN7rocprim17ROCPRIM_304000_NS6detail45device_block_merge_mergepath_partition_kernelINS1_37wrapped_merge_sort_block_merge_configINS0_14default_configEbN2at4cuda3cub6detail10OpaqueTypeILi8EEEEEPbjNS1_19radix_merge_compareILb1ELb1EbNS0_19identity_decomposerEEEEEvT0_T1_jPSH_T2_SH_
    .private_segment_fixed_size: 0
    .sgpr_count:     16
    .sgpr_spill_count: 0
    .symbol:         _ZN7rocprim17ROCPRIM_304000_NS6detail45device_block_merge_mergepath_partition_kernelINS1_37wrapped_merge_sort_block_merge_configINS0_14default_configEbN2at4cuda3cub6detail10OpaqueTypeILi8EEEEEPbjNS1_19radix_merge_compareILb1ELb1EbNS0_19identity_decomposerEEEEEvT0_T1_jPSH_T2_SH_.kd
    .uniform_work_group_size: 1
    .uses_dynamic_stack: false
    .vgpr_count:     17
    .vgpr_spill_count: 0
    .wavefront_size: 64
  - .args:
      - .address_space:  global
        .offset:         0
        .size:           8
        .value_kind:     global_buffer
      - .address_space:  global
        .offset:         8
        .size:           8
        .value_kind:     global_buffer
      - .address_space:  global
        .offset:         16
        .size:           8
        .value_kind:     global_buffer
      - .address_space:  global
        .offset:         24
        .size:           8
        .value_kind:     global_buffer
      - .offset:         32
        .size:           4
        .value_kind:     by_value
      - .offset:         36
        .size:           4
        .value_kind:     by_value
      - .offset:         40
        .size:           4
        .value_kind:     by_value
      - .offset:         44
        .size:           1
        .value_kind:     by_value
      - .address_space:  global
        .offset:         48
        .size:           8
        .value_kind:     global_buffer
      - .address_space:  global
        .offset:         56
        .size:           8
        .value_kind:     global_buffer
      - .offset:         64
        .size:           4
        .value_kind:     hidden_block_count_x
      - .offset:         68
        .size:           4
        .value_kind:     hidden_block_count_y
      - .offset:         72
        .size:           4
        .value_kind:     hidden_block_count_z
      - .offset:         76
        .size:           2
        .value_kind:     hidden_group_size_x
      - .offset:         78
        .size:           2
        .value_kind:     hidden_group_size_y
      - .offset:         80
        .size:           2
        .value_kind:     hidden_group_size_z
      - .offset:         82
        .size:           2
        .value_kind:     hidden_remainder_x
      - .offset:         84
        .size:           2
        .value_kind:     hidden_remainder_y
      - .offset:         86
        .size:           2
        .value_kind:     hidden_remainder_z
      - .offset:         104
        .size:           8
        .value_kind:     hidden_global_offset_x
      - .offset:         112
        .size:           8
        .value_kind:     hidden_global_offset_y
      - .offset:         120
        .size:           8
        .value_kind:     hidden_global_offset_z
      - .offset:         128
        .size:           2
        .value_kind:     hidden_grid_dims
    .group_segment_fixed_size: 8208
    .kernarg_segment_align: 8
    .kernarg_segment_size: 320
    .language:       OpenCL C
    .language_version:
      - 2
      - 0
    .max_flat_workgroup_size: 128
    .name:           _ZN7rocprim17ROCPRIM_304000_NS6detail35device_block_merge_mergepath_kernelINS1_37wrapped_merge_sort_block_merge_configINS0_14default_configEbN2at4cuda3cub6detail10OpaqueTypeILi8EEEEEPbSC_PSA_SD_jNS1_19radix_merge_compareILb1ELb1EbNS0_19identity_decomposerEEEEEvT0_T1_T2_T3_T4_SL_jT5_PKSL_NS1_7vsmem_tE
    .private_segment_fixed_size: 12
    .sgpr_count:     38
    .sgpr_spill_count: 0
    .symbol:         _ZN7rocprim17ROCPRIM_304000_NS6detail35device_block_merge_mergepath_kernelINS1_37wrapped_merge_sort_block_merge_configINS0_14default_configEbN2at4cuda3cub6detail10OpaqueTypeILi8EEEEEPbSC_PSA_SD_jNS1_19radix_merge_compareILb1ELb1EbNS0_19identity_decomposerEEEEEvT0_T1_T2_T3_T4_SL_jT5_PKSL_NS1_7vsmem_tE.kd
    .uniform_work_group_size: 1
    .uses_dynamic_stack: false
    .vgpr_count:     32
    .vgpr_spill_count: 0
    .wavefront_size: 64
  - .args:
      - .address_space:  global
        .offset:         0
        .size:           8
        .value_kind:     global_buffer
      - .address_space:  global
        .offset:         8
        .size:           8
        .value_kind:     global_buffer
      - .address_space:  global
        .offset:         16
        .size:           8
        .value_kind:     global_buffer
      - .address_space:  global
        .offset:         24
        .size:           8
        .value_kind:     global_buffer
      - .offset:         32
        .size:           4
        .value_kind:     by_value
      - .offset:         36
        .size:           4
        .value_kind:     by_value
      - .offset:         40
        .size:           1
        .value_kind:     by_value
    .group_segment_fixed_size: 512
    .kernarg_segment_align: 8
    .kernarg_segment_size: 44
    .language:       OpenCL C
    .language_version:
      - 2
      - 0
    .max_flat_workgroup_size: 256
    .name:           _ZN7rocprim17ROCPRIM_304000_NS6detail33device_block_merge_oddeven_kernelINS1_37wrapped_merge_sort_block_merge_configINS0_14default_configEbN2at4cuda3cub6detail10OpaqueTypeILi8EEEEEPbSC_PSA_SD_jNS1_19radix_merge_compareILb1ELb1EbNS0_19identity_decomposerEEEEEvT0_T1_T2_T3_T4_SL_T5_
    .private_segment_fixed_size: 0
    .sgpr_count:     28
    .sgpr_spill_count: 0
    .symbol:         _ZN7rocprim17ROCPRIM_304000_NS6detail33device_block_merge_oddeven_kernelINS1_37wrapped_merge_sort_block_merge_configINS0_14default_configEbN2at4cuda3cub6detail10OpaqueTypeILi8EEEEEPbSC_PSA_SD_jNS1_19radix_merge_compareILb1ELb1EbNS0_19identity_decomposerEEEEEvT0_T1_T2_T3_T4_SL_T5_.kd
    .uniform_work_group_size: 1
    .uses_dynamic_stack: false
    .vgpr_count:     12
    .vgpr_spill_count: 0
    .wavefront_size: 64
  - .args:
      - .address_space:  global
        .offset:         0
        .size:           8
        .value_kind:     global_buffer
      - .address_space:  global
        .offset:         8
        .size:           8
        .value_kind:     global_buffer
      - .offset:         16
        .size:           8
        .value_kind:     by_value
      - .offset:         24
        .size:           8
        .value_kind:     by_value
      - .offset:         32
        .size:           1
        .value_kind:     by_value
      - .offset:         36
        .size:           4
        .value_kind:     by_value
      - .offset:         40
        .size:           4
        .value_kind:     by_value
    .group_segment_fixed_size: 4096
    .kernarg_segment_align: 8
    .kernarg_segment_size: 44
    .language:       OpenCL C
    .language_version:
      - 2
      - 0
    .max_flat_workgroup_size: 512
    .name:           _ZN7rocprim17ROCPRIM_304000_NS6detail26onesweep_histograms_kernelINS1_34wrapped_radix_sort_onesweep_configINS0_14default_configEbN2at4cuda3cub6detail10OpaqueTypeILi8EEEEELb1EPKbmNS0_19identity_decomposerEEEvT1_PT2_SG_SG_T3_jj
    .private_segment_fixed_size: 0
    .sgpr_count:     39
    .sgpr_spill_count: 0
    .symbol:         _ZN7rocprim17ROCPRIM_304000_NS6detail26onesweep_histograms_kernelINS1_34wrapped_radix_sort_onesweep_configINS0_14default_configEbN2at4cuda3cub6detail10OpaqueTypeILi8EEEEELb1EPKbmNS0_19identity_decomposerEEEvT1_PT2_SG_SG_T3_jj.kd
    .uniform_work_group_size: 1
    .uses_dynamic_stack: false
    .vgpr_count:     18
    .vgpr_spill_count: 0
    .wavefront_size: 64
  - .args:
      - .address_space:  global
        .offset:         0
        .size:           8
        .value_kind:     global_buffer
    .group_segment_fixed_size: 64
    .kernarg_segment_align: 8
    .kernarg_segment_size: 8
    .language:       OpenCL C
    .language_version:
      - 2
      - 0
    .max_flat_workgroup_size: 512
    .name:           _ZN7rocprim17ROCPRIM_304000_NS6detail31onesweep_scan_histograms_kernelINS1_34wrapped_radix_sort_onesweep_configINS0_14default_configEbN2at4cuda3cub6detail10OpaqueTypeILi8EEEEEmEEvPT0_
    .private_segment_fixed_size: 0
    .sgpr_count:     12
    .sgpr_spill_count: 0
    .symbol:         _ZN7rocprim17ROCPRIM_304000_NS6detail31onesweep_scan_histograms_kernelINS1_34wrapped_radix_sort_onesweep_configINS0_14default_configEbN2at4cuda3cub6detail10OpaqueTypeILi8EEEEEmEEvPT0_.kd
    .uniform_work_group_size: 1
    .uses_dynamic_stack: false
    .vgpr_count:     12
    .vgpr_spill_count: 0
    .wavefront_size: 64
  - .args:
      - .address_space:  global
        .offset:         0
        .size:           8
        .value_kind:     global_buffer
      - .offset:         8
        .size:           8
        .value_kind:     by_value
      - .address_space:  global
        .offset:         16
        .size:           8
        .value_kind:     global_buffer
      - .offset:         24
        .size:           1
        .value_kind:     by_value
      - .offset:         32
        .size:           4
        .value_kind:     hidden_block_count_x
      - .offset:         36
        .size:           4
        .value_kind:     hidden_block_count_y
      - .offset:         40
        .size:           4
        .value_kind:     hidden_block_count_z
      - .offset:         44
        .size:           2
        .value_kind:     hidden_group_size_x
      - .offset:         46
        .size:           2
        .value_kind:     hidden_group_size_y
      - .offset:         48
        .size:           2
        .value_kind:     hidden_group_size_z
      - .offset:         50
        .size:           2
        .value_kind:     hidden_remainder_x
      - .offset:         52
        .size:           2
        .value_kind:     hidden_remainder_y
      - .offset:         54
        .size:           2
        .value_kind:     hidden_remainder_z
      - .offset:         72
        .size:           8
        .value_kind:     hidden_global_offset_x
      - .offset:         80
        .size:           8
        .value_kind:     hidden_global_offset_y
      - .offset:         88
        .size:           8
        .value_kind:     hidden_global_offset_z
      - .offset:         96
        .size:           2
        .value_kind:     hidden_grid_dims
    .group_segment_fixed_size: 0
    .kernarg_segment_align: 8
    .kernarg_segment_size: 288
    .language:       OpenCL C
    .language_version:
      - 2
      - 0
    .max_flat_workgroup_size: 64
    .name:           _ZN7rocprim17ROCPRIM_304000_NS6detail16transform_kernelINS1_24wrapped_transform_configINS0_14default_configEbEEbPKbPbNS0_8identityIbEEEEvT1_mT2_T3_
    .private_segment_fixed_size: 0
    .sgpr_count:     44
    .sgpr_spill_count: 0
    .symbol:         _ZN7rocprim17ROCPRIM_304000_NS6detail16transform_kernelINS1_24wrapped_transform_configINS0_14default_configEbEEbPKbPbNS0_8identityIbEEEEvT1_mT2_T3_.kd
    .uniform_work_group_size: 1
    .uses_dynamic_stack: false
    .vgpr_count:     21
    .vgpr_spill_count: 0
    .wavefront_size: 64
  - .args:
      - .address_space:  global
        .offset:         0
        .size:           8
        .value_kind:     global_buffer
      - .address_space:  global
        .offset:         8
        .size:           8
        .value_kind:     global_buffer
      - .address_space:  global
        .offset:         16
        .size:           8
        .value_kind:     global_buffer
      - .address_space:  global
        .offset:         24
        .size:           8
        .value_kind:     global_buffer
      - .offset:         32
        .size:           4
        .value_kind:     by_value
      - .address_space:  global
        .offset:         40
        .size:           8
        .value_kind:     global_buffer
      - .address_space:  global
        .offset:         48
        .size:           8
        .value_kind:     global_buffer
      - .address_space:  global
        .offset:         56
        .size:           8
        .value_kind:     global_buffer
      - .offset:         64
        .size:           1
        .value_kind:     by_value
      - .offset:         68
        .size:           4
        .value_kind:     by_value
      - .offset:         72
        .size:           4
        .value_kind:     by_value
      - .offset:         76
        .size:           4
        .value_kind:     by_value
      - .offset:         80
        .size:           4
        .value_kind:     hidden_block_count_x
      - .offset:         84
        .size:           4
        .value_kind:     hidden_block_count_y
      - .offset:         88
        .size:           4
        .value_kind:     hidden_block_count_z
      - .offset:         92
        .size:           2
        .value_kind:     hidden_group_size_x
      - .offset:         94
        .size:           2
        .value_kind:     hidden_group_size_y
      - .offset:         96
        .size:           2
        .value_kind:     hidden_group_size_z
      - .offset:         98
        .size:           2
        .value_kind:     hidden_remainder_x
      - .offset:         100
        .size:           2
        .value_kind:     hidden_remainder_y
      - .offset:         102
        .size:           2
        .value_kind:     hidden_remainder_z
      - .offset:         120
        .size:           8
        .value_kind:     hidden_global_offset_x
      - .offset:         128
        .size:           8
        .value_kind:     hidden_global_offset_y
      - .offset:         136
        .size:           8
        .value_kind:     hidden_global_offset_z
      - .offset:         144
        .size:           2
        .value_kind:     hidden_grid_dims
    .group_segment_fixed_size: 26624
    .kernarg_segment_align: 8
    .kernarg_segment_size: 336
    .language:       OpenCL C
    .language_version:
      - 2
      - 0
    .max_flat_workgroup_size: 512
    .name:           _ZN7rocprim17ROCPRIM_304000_NS6detail25onesweep_iteration_kernelINS1_34wrapped_radix_sort_onesweep_configINS0_14default_configEbN2at4cuda3cub6detail10OpaqueTypeILi8EEEEELb1EPKbPbPKSA_PSA_mNS0_19identity_decomposerEEEvT1_T2_T3_T4_jPT5_SO_PNS1_23onesweep_lookback_stateET6_jjj
    .private_segment_fixed_size: 0
    .sgpr_count:     57
    .sgpr_spill_count: 0
    .symbol:         _ZN7rocprim17ROCPRIM_304000_NS6detail25onesweep_iteration_kernelINS1_34wrapped_radix_sort_onesweep_configINS0_14default_configEbN2at4cuda3cub6detail10OpaqueTypeILi8EEEEELb1EPKbPbPKSA_PSA_mNS0_19identity_decomposerEEEvT1_T2_T3_T4_jPT5_SO_PNS1_23onesweep_lookback_stateET6_jjj.kd
    .uniform_work_group_size: 1
    .uses_dynamic_stack: false
    .vgpr_count:     41
    .vgpr_spill_count: 0
    .wavefront_size: 64
  - .args:
      - .address_space:  global
        .offset:         0
        .size:           8
        .value_kind:     global_buffer
      - .address_space:  global
        .offset:         8
        .size:           8
        .value_kind:     global_buffer
      - .address_space:  global
        .offset:         16
        .size:           8
        .value_kind:     global_buffer
      - .address_space:  global
        .offset:         24
        .size:           8
        .value_kind:     global_buffer
      - .offset:         32
        .size:           4
        .value_kind:     by_value
      - .address_space:  global
        .offset:         40
        .size:           8
        .value_kind:     global_buffer
      - .address_space:  global
        .offset:         48
        .size:           8
        .value_kind:     global_buffer
      - .address_space:  global
        .offset:         56
        .size:           8
        .value_kind:     global_buffer
      - .offset:         64
        .size:           1
        .value_kind:     by_value
      - .offset:         68
        .size:           4
        .value_kind:     by_value
      - .offset:         72
        .size:           4
        .value_kind:     by_value
      - .offset:         76
        .size:           4
        .value_kind:     by_value
      - .offset:         80
        .size:           4
        .value_kind:     hidden_block_count_x
      - .offset:         84
        .size:           4
        .value_kind:     hidden_block_count_y
      - .offset:         88
        .size:           4
        .value_kind:     hidden_block_count_z
      - .offset:         92
        .size:           2
        .value_kind:     hidden_group_size_x
      - .offset:         94
        .size:           2
        .value_kind:     hidden_group_size_y
      - .offset:         96
        .size:           2
        .value_kind:     hidden_group_size_z
      - .offset:         98
        .size:           2
        .value_kind:     hidden_remainder_x
      - .offset:         100
        .size:           2
        .value_kind:     hidden_remainder_y
      - .offset:         102
        .size:           2
        .value_kind:     hidden_remainder_z
      - .offset:         120
        .size:           8
        .value_kind:     hidden_global_offset_x
      - .offset:         128
        .size:           8
        .value_kind:     hidden_global_offset_y
      - .offset:         136
        .size:           8
        .value_kind:     hidden_global_offset_z
      - .offset:         144
        .size:           2
        .value_kind:     hidden_grid_dims
    .group_segment_fixed_size: 26624
    .kernarg_segment_align: 8
    .kernarg_segment_size: 336
    .language:       OpenCL C
    .language_version:
      - 2
      - 0
    .max_flat_workgroup_size: 512
    .name:           _ZN7rocprim17ROCPRIM_304000_NS6detail25onesweep_iteration_kernelINS1_34wrapped_radix_sort_onesweep_configINS0_14default_configEbN2at4cuda3cub6detail10OpaqueTypeILi8EEEEELb1EPbSC_PSA_SD_mNS0_19identity_decomposerEEEvT1_T2_T3_T4_jPT5_SK_PNS1_23onesweep_lookback_stateET6_jjj
    .private_segment_fixed_size: 0
    .sgpr_count:     57
    .sgpr_spill_count: 0
    .symbol:         _ZN7rocprim17ROCPRIM_304000_NS6detail25onesweep_iteration_kernelINS1_34wrapped_radix_sort_onesweep_configINS0_14default_configEbN2at4cuda3cub6detail10OpaqueTypeILi8EEEEELb1EPbSC_PSA_SD_mNS0_19identity_decomposerEEEvT1_T2_T3_T4_jPT5_SK_PNS1_23onesweep_lookback_stateET6_jjj.kd
    .uniform_work_group_size: 1
    .uses_dynamic_stack: false
    .vgpr_count:     41
    .vgpr_spill_count: 0
    .wavefront_size: 64
  - .args:
      - .address_space:  global
        .offset:         0
        .size:           8
        .value_kind:     global_buffer
      - .address_space:  global
        .offset:         8
        .size:           8
        .value_kind:     global_buffer
      - .address_space:  global
        .offset:         16
        .size:           8
        .value_kind:     global_buffer
      - .address_space:  global
        .offset:         24
        .size:           8
        .value_kind:     global_buffer
      - .offset:         32
        .size:           4
        .value_kind:     by_value
      - .offset:         36
        .size:           1
        .value_kind:     by_value
      - .offset:         40
        .size:           4
        .value_kind:     by_value
      - .offset:         44
        .size:           4
        .value_kind:     by_value
      - .offset:         48
        .size:           4
        .value_kind:     hidden_block_count_x
      - .offset:         52
        .size:           4
        .value_kind:     hidden_block_count_y
      - .offset:         56
        .size:           4
        .value_kind:     hidden_block_count_z
      - .offset:         60
        .size:           2
        .value_kind:     hidden_group_size_x
      - .offset:         62
        .size:           2
        .value_kind:     hidden_group_size_y
      - .offset:         64
        .size:           2
        .value_kind:     hidden_group_size_z
      - .offset:         66
        .size:           2
        .value_kind:     hidden_remainder_x
      - .offset:         68
        .size:           2
        .value_kind:     hidden_remainder_y
      - .offset:         70
        .size:           2
        .value_kind:     hidden_remainder_z
      - .offset:         88
        .size:           8
        .value_kind:     hidden_global_offset_x
      - .offset:         96
        .size:           8
        .value_kind:     hidden_global_offset_y
      - .offset:         104
        .size:           8
        .value_kind:     hidden_global_offset_z
      - .offset:         112
        .size:           2
        .value_kind:     hidden_grid_dims
    .group_segment_fixed_size: 8192
    .kernarg_segment_align: 8
    .kernarg_segment_size: 304
    .language:       OpenCL C
    .language_version:
      - 2
      - 0
    .max_flat_workgroup_size: 256
    .name:           _ZN7rocprim17ROCPRIM_304000_NS6detail28radix_sort_block_sort_kernelINS1_36wrapped_radix_sort_block_sort_configINS0_13kernel_configILj256ELj4ELj4294967295EEEbN2at4cuda3cub6detail10OpaqueTypeILi8EEEEELb0EPKbPbPKSB_PSB_NS0_19identity_decomposerEEEvT1_T2_T3_T4_jT5_jj
    .private_segment_fixed_size: 0
    .sgpr_count:     48
    .sgpr_spill_count: 0
    .symbol:         _ZN7rocprim17ROCPRIM_304000_NS6detail28radix_sort_block_sort_kernelINS1_36wrapped_radix_sort_block_sort_configINS0_13kernel_configILj256ELj4ELj4294967295EEEbN2at4cuda3cub6detail10OpaqueTypeILi8EEEEELb0EPKbPbPKSB_PSB_NS0_19identity_decomposerEEEvT1_T2_T3_T4_jT5_jj.kd
    .uniform_work_group_size: 1
    .uses_dynamic_stack: false
    .vgpr_count:     51
    .vgpr_spill_count: 0
    .wavefront_size: 64
  - .args:
      - .address_space:  global
        .offset:         0
        .size:           8
        .value_kind:     global_buffer
      - .offset:         8
        .size:           4
        .value_kind:     by_value
      - .offset:         12
        .size:           4
        .value_kind:     by_value
      - .address_space:  global
        .offset:         16
        .size:           8
        .value_kind:     global_buffer
      - .offset:         24
        .size:           1
        .value_kind:     by_value
      - .offset:         28
        .size:           4
        .value_kind:     by_value
    .group_segment_fixed_size: 0
    .kernarg_segment_align: 8
    .kernarg_segment_size: 32
    .language:       OpenCL C
    .language_version:
      - 2
      - 0
    .max_flat_workgroup_size: 128
    .name:           _ZN7rocprim17ROCPRIM_304000_NS6detail45device_block_merge_mergepath_partition_kernelINS1_37wrapped_merge_sort_block_merge_configINS0_14default_configEbN2at4cuda3cub6detail10OpaqueTypeILi8EEEEEPbjNS1_19radix_merge_compareILb0ELb0EbNS0_19identity_decomposerEEEEEvT0_T1_jPSH_T2_SH_
    .private_segment_fixed_size: 0
    .sgpr_count:     11
    .sgpr_spill_count: 0
    .symbol:         _ZN7rocprim17ROCPRIM_304000_NS6detail45device_block_merge_mergepath_partition_kernelINS1_37wrapped_merge_sort_block_merge_configINS0_14default_configEbN2at4cuda3cub6detail10OpaqueTypeILi8EEEEEPbjNS1_19radix_merge_compareILb0ELb0EbNS0_19identity_decomposerEEEEEvT0_T1_jPSH_T2_SH_.kd
    .uniform_work_group_size: 1
    .uses_dynamic_stack: false
    .vgpr_count:     16
    .vgpr_spill_count: 0
    .wavefront_size: 64
  - .args:
      - .address_space:  global
        .offset:         0
        .size:           8
        .value_kind:     global_buffer
      - .address_space:  global
        .offset:         8
        .size:           8
        .value_kind:     global_buffer
      - .address_space:  global
        .offset:         16
        .size:           8
        .value_kind:     global_buffer
      - .address_space:  global
        .offset:         24
        .size:           8
        .value_kind:     global_buffer
      - .offset:         32
        .size:           4
        .value_kind:     by_value
      - .offset:         36
        .size:           4
        .value_kind:     by_value
      - .offset:         40
        .size:           4
        .value_kind:     by_value
      - .offset:         44
        .size:           1
        .value_kind:     by_value
      - .address_space:  global
        .offset:         48
        .size:           8
        .value_kind:     global_buffer
      - .address_space:  global
        .offset:         56
        .size:           8
        .value_kind:     global_buffer
      - .offset:         64
        .size:           4
        .value_kind:     hidden_block_count_x
      - .offset:         68
        .size:           4
        .value_kind:     hidden_block_count_y
      - .offset:         72
        .size:           4
        .value_kind:     hidden_block_count_z
      - .offset:         76
        .size:           2
        .value_kind:     hidden_group_size_x
      - .offset:         78
        .size:           2
        .value_kind:     hidden_group_size_y
      - .offset:         80
        .size:           2
        .value_kind:     hidden_group_size_z
      - .offset:         82
        .size:           2
        .value_kind:     hidden_remainder_x
      - .offset:         84
        .size:           2
        .value_kind:     hidden_remainder_y
      - .offset:         86
        .size:           2
        .value_kind:     hidden_remainder_z
      - .offset:         104
        .size:           8
        .value_kind:     hidden_global_offset_x
      - .offset:         112
        .size:           8
        .value_kind:     hidden_global_offset_y
      - .offset:         120
        .size:           8
        .value_kind:     hidden_global_offset_z
      - .offset:         128
        .size:           2
        .value_kind:     hidden_grid_dims
    .group_segment_fixed_size: 8208
    .kernarg_segment_align: 8
    .kernarg_segment_size: 320
    .language:       OpenCL C
    .language_version:
      - 2
      - 0
    .max_flat_workgroup_size: 128
    .name:           _ZN7rocprim17ROCPRIM_304000_NS6detail35device_block_merge_mergepath_kernelINS1_37wrapped_merge_sort_block_merge_configINS0_14default_configEbN2at4cuda3cub6detail10OpaqueTypeILi8EEEEEPbSC_PSA_SD_jNS1_19radix_merge_compareILb0ELb0EbNS0_19identity_decomposerEEEEEvT0_T1_T2_T3_T4_SL_jT5_PKSL_NS1_7vsmem_tE
    .private_segment_fixed_size: 0
    .sgpr_count:     36
    .sgpr_spill_count: 0
    .symbol:         _ZN7rocprim17ROCPRIM_304000_NS6detail35device_block_merge_mergepath_kernelINS1_37wrapped_merge_sort_block_merge_configINS0_14default_configEbN2at4cuda3cub6detail10OpaqueTypeILi8EEEEEPbSC_PSA_SD_jNS1_19radix_merge_compareILb0ELb0EbNS0_19identity_decomposerEEEEEvT0_T1_T2_T3_T4_SL_jT5_PKSL_NS1_7vsmem_tE.kd
    .uniform_work_group_size: 1
    .uses_dynamic_stack: false
    .vgpr_count:     32
    .vgpr_spill_count: 0
    .wavefront_size: 64
  - .args:
      - .address_space:  global
        .offset:         0
        .size:           8
        .value_kind:     global_buffer
      - .address_space:  global
        .offset:         8
        .size:           8
        .value_kind:     global_buffer
      - .address_space:  global
        .offset:         16
        .size:           8
        .value_kind:     global_buffer
      - .address_space:  global
        .offset:         24
        .size:           8
        .value_kind:     global_buffer
      - .offset:         32
        .size:           4
        .value_kind:     by_value
      - .offset:         36
        .size:           4
        .value_kind:     by_value
      - .offset:         40
        .size:           1
        .value_kind:     by_value
    .group_segment_fixed_size: 0
    .kernarg_segment_align: 8
    .kernarg_segment_size: 44
    .language:       OpenCL C
    .language_version:
      - 2
      - 0
    .max_flat_workgroup_size: 256
    .name:           _ZN7rocprim17ROCPRIM_304000_NS6detail33device_block_merge_oddeven_kernelINS1_37wrapped_merge_sort_block_merge_configINS0_14default_configEbN2at4cuda3cub6detail10OpaqueTypeILi8EEEEEPbSC_PSA_SD_jNS1_19radix_merge_compareILb0ELb0EbNS0_19identity_decomposerEEEEEvT0_T1_T2_T3_T4_SL_T5_
    .private_segment_fixed_size: 0
    .sgpr_count:     26
    .sgpr_spill_count: 0
    .symbol:         _ZN7rocprim17ROCPRIM_304000_NS6detail33device_block_merge_oddeven_kernelINS1_37wrapped_merge_sort_block_merge_configINS0_14default_configEbN2at4cuda3cub6detail10OpaqueTypeILi8EEEEEPbSC_PSA_SD_jNS1_19radix_merge_compareILb0ELb0EbNS0_19identity_decomposerEEEEEvT0_T1_T2_T3_T4_SL_T5_.kd
    .uniform_work_group_size: 1
    .uses_dynamic_stack: false
    .vgpr_count:     10
    .vgpr_spill_count: 0
    .wavefront_size: 64
  - .args:
      - .address_space:  global
        .offset:         0
        .size:           8
        .value_kind:     global_buffer
      - .offset:         8
        .size:           4
        .value_kind:     by_value
      - .offset:         12
        .size:           4
        .value_kind:     by_value
      - .address_space:  global
        .offset:         16
        .size:           8
        .value_kind:     global_buffer
      - .offset:         24
        .size:           1
        .value_kind:     by_value
      - .offset:         28
        .size:           4
        .value_kind:     by_value
    .group_segment_fixed_size: 256
    .kernarg_segment_align: 8
    .kernarg_segment_size: 32
    .language:       OpenCL C
    .language_version:
      - 2
      - 0
    .max_flat_workgroup_size: 128
    .name:           _ZN7rocprim17ROCPRIM_304000_NS6detail45device_block_merge_mergepath_partition_kernelINS1_37wrapped_merge_sort_block_merge_configINS0_14default_configEbN2at4cuda3cub6detail10OpaqueTypeILi8EEEEEPbjNS1_19radix_merge_compareILb0ELb1EbNS0_19identity_decomposerEEEEEvT0_T1_jPSH_T2_SH_
    .private_segment_fixed_size: 0
    .sgpr_count:     16
    .sgpr_spill_count: 0
    .symbol:         _ZN7rocprim17ROCPRIM_304000_NS6detail45device_block_merge_mergepath_partition_kernelINS1_37wrapped_merge_sort_block_merge_configINS0_14default_configEbN2at4cuda3cub6detail10OpaqueTypeILi8EEEEEPbjNS1_19radix_merge_compareILb0ELb1EbNS0_19identity_decomposerEEEEEvT0_T1_jPSH_T2_SH_.kd
    .uniform_work_group_size: 1
    .uses_dynamic_stack: false
    .vgpr_count:     17
    .vgpr_spill_count: 0
    .wavefront_size: 64
  - .args:
      - .address_space:  global
        .offset:         0
        .size:           8
        .value_kind:     global_buffer
      - .address_space:  global
        .offset:         8
        .size:           8
        .value_kind:     global_buffer
      - .address_space:  global
        .offset:         16
        .size:           8
        .value_kind:     global_buffer
      - .address_space:  global
        .offset:         24
        .size:           8
        .value_kind:     global_buffer
      - .offset:         32
        .size:           4
        .value_kind:     by_value
      - .offset:         36
        .size:           4
        .value_kind:     by_value
      - .offset:         40
        .size:           4
        .value_kind:     by_value
      - .offset:         44
        .size:           1
        .value_kind:     by_value
      - .address_space:  global
        .offset:         48
        .size:           8
        .value_kind:     global_buffer
      - .address_space:  global
        .offset:         56
        .size:           8
        .value_kind:     global_buffer
      - .offset:         64
        .size:           4
        .value_kind:     hidden_block_count_x
      - .offset:         68
        .size:           4
        .value_kind:     hidden_block_count_y
      - .offset:         72
        .size:           4
        .value_kind:     hidden_block_count_z
      - .offset:         76
        .size:           2
        .value_kind:     hidden_group_size_x
      - .offset:         78
        .size:           2
        .value_kind:     hidden_group_size_y
      - .offset:         80
        .size:           2
        .value_kind:     hidden_group_size_z
      - .offset:         82
        .size:           2
        .value_kind:     hidden_remainder_x
      - .offset:         84
        .size:           2
        .value_kind:     hidden_remainder_y
      - .offset:         86
        .size:           2
        .value_kind:     hidden_remainder_z
      - .offset:         104
        .size:           8
        .value_kind:     hidden_global_offset_x
      - .offset:         112
        .size:           8
        .value_kind:     hidden_global_offset_y
      - .offset:         120
        .size:           8
        .value_kind:     hidden_global_offset_z
      - .offset:         128
        .size:           2
        .value_kind:     hidden_grid_dims
    .group_segment_fixed_size: 8208
    .kernarg_segment_align: 8
    .kernarg_segment_size: 320
    .language:       OpenCL C
    .language_version:
      - 2
      - 0
    .max_flat_workgroup_size: 128
    .name:           _ZN7rocprim17ROCPRIM_304000_NS6detail35device_block_merge_mergepath_kernelINS1_37wrapped_merge_sort_block_merge_configINS0_14default_configEbN2at4cuda3cub6detail10OpaqueTypeILi8EEEEEPbSC_PSA_SD_jNS1_19radix_merge_compareILb0ELb1EbNS0_19identity_decomposerEEEEEvT0_T1_T2_T3_T4_SL_jT5_PKSL_NS1_7vsmem_tE
    .private_segment_fixed_size: 12
    .sgpr_count:     38
    .sgpr_spill_count: 0
    .symbol:         _ZN7rocprim17ROCPRIM_304000_NS6detail35device_block_merge_mergepath_kernelINS1_37wrapped_merge_sort_block_merge_configINS0_14default_configEbN2at4cuda3cub6detail10OpaqueTypeILi8EEEEEPbSC_PSA_SD_jNS1_19radix_merge_compareILb0ELb1EbNS0_19identity_decomposerEEEEEvT0_T1_T2_T3_T4_SL_jT5_PKSL_NS1_7vsmem_tE.kd
    .uniform_work_group_size: 1
    .uses_dynamic_stack: false
    .vgpr_count:     32
    .vgpr_spill_count: 0
    .wavefront_size: 64
  - .args:
      - .address_space:  global
        .offset:         0
        .size:           8
        .value_kind:     global_buffer
      - .address_space:  global
        .offset:         8
        .size:           8
        .value_kind:     global_buffer
      - .address_space:  global
        .offset:         16
        .size:           8
        .value_kind:     global_buffer
      - .address_space:  global
        .offset:         24
        .size:           8
        .value_kind:     global_buffer
      - .offset:         32
        .size:           4
        .value_kind:     by_value
      - .offset:         36
        .size:           4
        .value_kind:     by_value
      - .offset:         40
        .size:           1
        .value_kind:     by_value
    .group_segment_fixed_size: 512
    .kernarg_segment_align: 8
    .kernarg_segment_size: 44
    .language:       OpenCL C
    .language_version:
      - 2
      - 0
    .max_flat_workgroup_size: 256
    .name:           _ZN7rocprim17ROCPRIM_304000_NS6detail33device_block_merge_oddeven_kernelINS1_37wrapped_merge_sort_block_merge_configINS0_14default_configEbN2at4cuda3cub6detail10OpaqueTypeILi8EEEEEPbSC_PSA_SD_jNS1_19radix_merge_compareILb0ELb1EbNS0_19identity_decomposerEEEEEvT0_T1_T2_T3_T4_SL_T5_
    .private_segment_fixed_size: 0
    .sgpr_count:     28
    .sgpr_spill_count: 0
    .symbol:         _ZN7rocprim17ROCPRIM_304000_NS6detail33device_block_merge_oddeven_kernelINS1_37wrapped_merge_sort_block_merge_configINS0_14default_configEbN2at4cuda3cub6detail10OpaqueTypeILi8EEEEEPbSC_PSA_SD_jNS1_19radix_merge_compareILb0ELb1EbNS0_19identity_decomposerEEEEEvT0_T1_T2_T3_T4_SL_T5_.kd
    .uniform_work_group_size: 1
    .uses_dynamic_stack: false
    .vgpr_count:     12
    .vgpr_spill_count: 0
    .wavefront_size: 64
  - .args:
      - .address_space:  global
        .offset:         0
        .size:           8
        .value_kind:     global_buffer
      - .address_space:  global
        .offset:         8
        .size:           8
        .value_kind:     global_buffer
      - .offset:         16
        .size:           8
        .value_kind:     by_value
      - .offset:         24
        .size:           8
        .value_kind:     by_value
      - .offset:         32
        .size:           1
        .value_kind:     by_value
      - .offset:         36
        .size:           4
        .value_kind:     by_value
      - .offset:         40
        .size:           4
        .value_kind:     by_value
    .group_segment_fixed_size: 4096
    .kernarg_segment_align: 8
    .kernarg_segment_size: 44
    .language:       OpenCL C
    .language_version:
      - 2
      - 0
    .max_flat_workgroup_size: 512
    .name:           _ZN7rocprim17ROCPRIM_304000_NS6detail26onesweep_histograms_kernelINS1_34wrapped_radix_sort_onesweep_configINS0_14default_configEbN2at4cuda3cub6detail10OpaqueTypeILi8EEEEELb0EPKbmNS0_19identity_decomposerEEEvT1_PT2_SG_SG_T3_jj
    .private_segment_fixed_size: 0
    .sgpr_count:     30
    .sgpr_spill_count: 0
    .symbol:         _ZN7rocprim17ROCPRIM_304000_NS6detail26onesweep_histograms_kernelINS1_34wrapped_radix_sort_onesweep_configINS0_14default_configEbN2at4cuda3cub6detail10OpaqueTypeILi8EEEEELb0EPKbmNS0_19identity_decomposerEEEvT1_PT2_SG_SG_T3_jj.kd
    .uniform_work_group_size: 1
    .uses_dynamic_stack: false
    .vgpr_count:     18
    .vgpr_spill_count: 0
    .wavefront_size: 64
  - .args:
      - .address_space:  global
        .offset:         0
        .size:           8
        .value_kind:     global_buffer
      - .address_space:  global
        .offset:         8
        .size:           8
        .value_kind:     global_buffer
      - .address_space:  global
        .offset:         16
        .size:           8
        .value_kind:     global_buffer
      - .address_space:  global
        .offset:         24
        .size:           8
        .value_kind:     global_buffer
      - .offset:         32
        .size:           4
        .value_kind:     by_value
      - .address_space:  global
        .offset:         40
        .size:           8
        .value_kind:     global_buffer
      - .address_space:  global
        .offset:         48
        .size:           8
        .value_kind:     global_buffer
      - .address_space:  global
        .offset:         56
        .size:           8
        .value_kind:     global_buffer
      - .offset:         64
        .size:           1
        .value_kind:     by_value
      - .offset:         68
        .size:           4
        .value_kind:     by_value
      - .offset:         72
        .size:           4
        .value_kind:     by_value
      - .offset:         76
        .size:           4
        .value_kind:     by_value
      - .offset:         80
        .size:           4
        .value_kind:     hidden_block_count_x
      - .offset:         84
        .size:           4
        .value_kind:     hidden_block_count_y
      - .offset:         88
        .size:           4
        .value_kind:     hidden_block_count_z
      - .offset:         92
        .size:           2
        .value_kind:     hidden_group_size_x
      - .offset:         94
        .size:           2
        .value_kind:     hidden_group_size_y
      - .offset:         96
        .size:           2
        .value_kind:     hidden_group_size_z
      - .offset:         98
        .size:           2
        .value_kind:     hidden_remainder_x
      - .offset:         100
        .size:           2
        .value_kind:     hidden_remainder_y
      - .offset:         102
        .size:           2
        .value_kind:     hidden_remainder_z
      - .offset:         120
        .size:           8
        .value_kind:     hidden_global_offset_x
      - .offset:         128
        .size:           8
        .value_kind:     hidden_global_offset_y
      - .offset:         136
        .size:           8
        .value_kind:     hidden_global_offset_z
      - .offset:         144
        .size:           2
        .value_kind:     hidden_grid_dims
    .group_segment_fixed_size: 26624
    .kernarg_segment_align: 8
    .kernarg_segment_size: 336
    .language:       OpenCL C
    .language_version:
      - 2
      - 0
    .max_flat_workgroup_size: 512
    .name:           _ZN7rocprim17ROCPRIM_304000_NS6detail25onesweep_iteration_kernelINS1_34wrapped_radix_sort_onesweep_configINS0_14default_configEbN2at4cuda3cub6detail10OpaqueTypeILi8EEEEELb0EPKbPbPKSA_PSA_mNS0_19identity_decomposerEEEvT1_T2_T3_T4_jPT5_SO_PNS1_23onesweep_lookback_stateET6_jjj
    .private_segment_fixed_size: 0
    .sgpr_count:     56
    .sgpr_spill_count: 0
    .symbol:         _ZN7rocprim17ROCPRIM_304000_NS6detail25onesweep_iteration_kernelINS1_34wrapped_radix_sort_onesweep_configINS0_14default_configEbN2at4cuda3cub6detail10OpaqueTypeILi8EEEEELb0EPKbPbPKSA_PSA_mNS0_19identity_decomposerEEEvT1_T2_T3_T4_jPT5_SO_PNS1_23onesweep_lookback_stateET6_jjj.kd
    .uniform_work_group_size: 1
    .uses_dynamic_stack: false
    .vgpr_count:     42
    .vgpr_spill_count: 0
    .wavefront_size: 64
  - .args:
      - .address_space:  global
        .offset:         0
        .size:           8
        .value_kind:     global_buffer
      - .address_space:  global
        .offset:         8
        .size:           8
        .value_kind:     global_buffer
      - .address_space:  global
        .offset:         16
        .size:           8
        .value_kind:     global_buffer
      - .address_space:  global
        .offset:         24
        .size:           8
        .value_kind:     global_buffer
      - .offset:         32
        .size:           4
        .value_kind:     by_value
      - .address_space:  global
        .offset:         40
        .size:           8
        .value_kind:     global_buffer
      - .address_space:  global
        .offset:         48
        .size:           8
        .value_kind:     global_buffer
      - .address_space:  global
        .offset:         56
        .size:           8
        .value_kind:     global_buffer
      - .offset:         64
        .size:           1
        .value_kind:     by_value
      - .offset:         68
        .size:           4
        .value_kind:     by_value
      - .offset:         72
        .size:           4
        .value_kind:     by_value
      - .offset:         76
        .size:           4
        .value_kind:     by_value
      - .offset:         80
        .size:           4
        .value_kind:     hidden_block_count_x
      - .offset:         84
        .size:           4
        .value_kind:     hidden_block_count_y
      - .offset:         88
        .size:           4
        .value_kind:     hidden_block_count_z
      - .offset:         92
        .size:           2
        .value_kind:     hidden_group_size_x
      - .offset:         94
        .size:           2
        .value_kind:     hidden_group_size_y
      - .offset:         96
        .size:           2
        .value_kind:     hidden_group_size_z
      - .offset:         98
        .size:           2
        .value_kind:     hidden_remainder_x
      - .offset:         100
        .size:           2
        .value_kind:     hidden_remainder_y
      - .offset:         102
        .size:           2
        .value_kind:     hidden_remainder_z
      - .offset:         120
        .size:           8
        .value_kind:     hidden_global_offset_x
      - .offset:         128
        .size:           8
        .value_kind:     hidden_global_offset_y
      - .offset:         136
        .size:           8
        .value_kind:     hidden_global_offset_z
      - .offset:         144
        .size:           2
        .value_kind:     hidden_grid_dims
    .group_segment_fixed_size: 26624
    .kernarg_segment_align: 8
    .kernarg_segment_size: 336
    .language:       OpenCL C
    .language_version:
      - 2
      - 0
    .max_flat_workgroup_size: 512
    .name:           _ZN7rocprim17ROCPRIM_304000_NS6detail25onesweep_iteration_kernelINS1_34wrapped_radix_sort_onesweep_configINS0_14default_configEbN2at4cuda3cub6detail10OpaqueTypeILi8EEEEELb0EPbSC_PSA_SD_mNS0_19identity_decomposerEEEvT1_T2_T3_T4_jPT5_SK_PNS1_23onesweep_lookback_stateET6_jjj
    .private_segment_fixed_size: 0
    .sgpr_count:     56
    .sgpr_spill_count: 0
    .symbol:         _ZN7rocprim17ROCPRIM_304000_NS6detail25onesweep_iteration_kernelINS1_34wrapped_radix_sort_onesweep_configINS0_14default_configEbN2at4cuda3cub6detail10OpaqueTypeILi8EEEEELb0EPbSC_PSA_SD_mNS0_19identity_decomposerEEEvT1_T2_T3_T4_jPT5_SK_PNS1_23onesweep_lookback_stateET6_jjj.kd
    .uniform_work_group_size: 1
    .uses_dynamic_stack: false
    .vgpr_count:     42
    .vgpr_spill_count: 0
    .wavefront_size: 64
  - .args:
      - .address_space:  global
        .offset:         0
        .size:           8
        .value_kind:     global_buffer
      - .address_space:  global
        .offset:         8
        .size:           8
        .value_kind:     global_buffer
      - .address_space:  global
        .offset:         16
        .size:           8
        .value_kind:     global_buffer
      - .address_space:  global
        .offset:         24
        .size:           8
        .value_kind:     global_buffer
      - .offset:         32
        .size:           4
        .value_kind:     by_value
      - .offset:         36
        .size:           1
        .value_kind:     by_value
      - .offset:         40
        .size:           4
        .value_kind:     by_value
      - .offset:         44
        .size:           4
        .value_kind:     by_value
      - .offset:         48
        .size:           4
        .value_kind:     hidden_block_count_x
      - .offset:         52
        .size:           4
        .value_kind:     hidden_block_count_y
      - .offset:         56
        .size:           4
        .value_kind:     hidden_block_count_z
      - .offset:         60
        .size:           2
        .value_kind:     hidden_group_size_x
      - .offset:         62
        .size:           2
        .value_kind:     hidden_group_size_y
      - .offset:         64
        .size:           2
        .value_kind:     hidden_group_size_z
      - .offset:         66
        .size:           2
        .value_kind:     hidden_remainder_x
      - .offset:         68
        .size:           2
        .value_kind:     hidden_remainder_y
      - .offset:         70
        .size:           2
        .value_kind:     hidden_remainder_z
      - .offset:         88
        .size:           8
        .value_kind:     hidden_global_offset_x
      - .offset:         96
        .size:           8
        .value_kind:     hidden_global_offset_y
      - .offset:         104
        .size:           8
        .value_kind:     hidden_global_offset_z
      - .offset:         112
        .size:           2
        .value_kind:     hidden_grid_dims
    .group_segment_fixed_size: 8192
    .kernarg_segment_align: 8
    .kernarg_segment_size: 304
    .language:       OpenCL C
    .language_version:
      - 2
      - 0
    .max_flat_workgroup_size: 256
    .name:           _ZN7rocprim17ROCPRIM_304000_NS6detail28radix_sort_block_sort_kernelINS1_36wrapped_radix_sort_block_sort_configINS0_13kernel_configILj256ELj4ELj4294967295EEE6__halfN2at4cuda3cub6detail10OpaqueTypeILi8EEEEELb1EPKS6_PS6_PKSC_PSC_NS0_19identity_decomposerEEEvT1_T2_T3_T4_jT5_jj
    .private_segment_fixed_size: 0
    .sgpr_count:     52
    .sgpr_spill_count: 0
    .symbol:         _ZN7rocprim17ROCPRIM_304000_NS6detail28radix_sort_block_sort_kernelINS1_36wrapped_radix_sort_block_sort_configINS0_13kernel_configILj256ELj4ELj4294967295EEE6__halfN2at4cuda3cub6detail10OpaqueTypeILi8EEEEELb1EPKS6_PS6_PKSC_PSC_NS0_19identity_decomposerEEEvT1_T2_T3_T4_jT5_jj.kd
    .uniform_work_group_size: 1
    .uses_dynamic_stack: false
    .vgpr_count:     53
    .vgpr_spill_count: 0
    .wavefront_size: 64
  - .args:           []
    .group_segment_fixed_size: 0
    .kernarg_segment_align: 4
    .kernarg_segment_size: 0
    .language:       OpenCL C
    .language_version:
      - 2
      - 0
    .max_flat_workgroup_size: 1024
    .name:           _ZN7rocprim17ROCPRIM_304000_NS6detail39device_merge_sort_compile_time_verifierINS1_36wrapped_merge_sort_block_sort_configINS1_28merge_sort_block_sort_configILj256ELj4ELNS0_20block_sort_algorithmE0EEE6__halfN2at4cuda3cub6detail10OpaqueTypeILi8EEEEENS1_37wrapped_merge_sort_block_merge_configINS0_14default_configES7_SD_EEEEvv
    .private_segment_fixed_size: 0
    .sgpr_count:     4
    .sgpr_spill_count: 0
    .symbol:         _ZN7rocprim17ROCPRIM_304000_NS6detail39device_merge_sort_compile_time_verifierINS1_36wrapped_merge_sort_block_sort_configINS1_28merge_sort_block_sort_configILj256ELj4ELNS0_20block_sort_algorithmE0EEE6__halfN2at4cuda3cub6detail10OpaqueTypeILi8EEEEENS1_37wrapped_merge_sort_block_merge_configINS0_14default_configES7_SD_EEEEvv.kd
    .uniform_work_group_size: 1
    .uses_dynamic_stack: false
    .vgpr_count:     0
    .vgpr_spill_count: 0
    .wavefront_size: 64
  - .args:
      - .address_space:  global
        .offset:         0
        .size:           8
        .value_kind:     global_buffer
      - .offset:         8
        .size:           4
        .value_kind:     by_value
      - .offset:         12
        .size:           4
        .value_kind:     by_value
      - .address_space:  global
        .offset:         16
        .size:           8
        .value_kind:     global_buffer
      - .offset:         24
        .size:           1
        .value_kind:     by_value
      - .offset:         28
        .size:           4
        .value_kind:     by_value
    .group_segment_fixed_size: 0
    .kernarg_segment_align: 8
    .kernarg_segment_size: 32
    .language:       OpenCL C
    .language_version:
      - 2
      - 0
    .max_flat_workgroup_size: 128
    .name:           _ZN7rocprim17ROCPRIM_304000_NS6detail45device_block_merge_mergepath_partition_kernelINS1_37wrapped_merge_sort_block_merge_configINS0_14default_configE6__halfN2at4cuda3cub6detail10OpaqueTypeILi8EEEEEPS5_jNS1_19radix_merge_compareILb1ELb0ES5_NS0_19identity_decomposerEEEEEvT0_T1_jPSI_T2_SI_
    .private_segment_fixed_size: 0
    .sgpr_count:     11
    .sgpr_spill_count: 0
    .symbol:         _ZN7rocprim17ROCPRIM_304000_NS6detail45device_block_merge_mergepath_partition_kernelINS1_37wrapped_merge_sort_block_merge_configINS0_14default_configE6__halfN2at4cuda3cub6detail10OpaqueTypeILi8EEEEEPS5_jNS1_19radix_merge_compareILb1ELb0ES5_NS0_19identity_decomposerEEEEEvT0_T1_jPSI_T2_SI_.kd
    .uniform_work_group_size: 1
    .uses_dynamic_stack: false
    .vgpr_count:     16
    .vgpr_spill_count: 0
    .wavefront_size: 64
  - .args:
      - .address_space:  global
        .offset:         0
        .size:           8
        .value_kind:     global_buffer
      - .address_space:  global
        .offset:         8
        .size:           8
        .value_kind:     global_buffer
      - .address_space:  global
        .offset:         16
        .size:           8
        .value_kind:     global_buffer
      - .address_space:  global
        .offset:         24
        .size:           8
        .value_kind:     global_buffer
      - .offset:         32
        .size:           4
        .value_kind:     by_value
      - .offset:         36
        .size:           4
        .value_kind:     by_value
      - .offset:         40
        .size:           4
        .value_kind:     by_value
      - .offset:         44
        .size:           1
        .value_kind:     by_value
      - .address_space:  global
        .offset:         48
        .size:           8
        .value_kind:     global_buffer
      - .address_space:  global
        .offset:         56
        .size:           8
        .value_kind:     global_buffer
      - .offset:         64
        .size:           4
        .value_kind:     hidden_block_count_x
      - .offset:         68
        .size:           4
        .value_kind:     hidden_block_count_y
      - .offset:         72
        .size:           4
        .value_kind:     hidden_block_count_z
      - .offset:         76
        .size:           2
        .value_kind:     hidden_group_size_x
      - .offset:         78
        .size:           2
        .value_kind:     hidden_group_size_y
      - .offset:         80
        .size:           2
        .value_kind:     hidden_group_size_z
      - .offset:         82
        .size:           2
        .value_kind:     hidden_remainder_x
      - .offset:         84
        .size:           2
        .value_kind:     hidden_remainder_y
      - .offset:         86
        .size:           2
        .value_kind:     hidden_remainder_z
      - .offset:         104
        .size:           8
        .value_kind:     hidden_global_offset_x
      - .offset:         112
        .size:           8
        .value_kind:     hidden_global_offset_y
      - .offset:         120
        .size:           8
        .value_kind:     hidden_global_offset_z
      - .offset:         128
        .size:           2
        .value_kind:     hidden_grid_dims
    .group_segment_fixed_size: 8208
    .kernarg_segment_align: 8
    .kernarg_segment_size: 320
    .language:       OpenCL C
    .language_version:
      - 2
      - 0
    .max_flat_workgroup_size: 256
    .name:           _ZN7rocprim17ROCPRIM_304000_NS6detail35device_block_merge_mergepath_kernelINS1_37wrapped_merge_sort_block_merge_configINS0_14default_configE6__halfN2at4cuda3cub6detail10OpaqueTypeILi8EEEEEPS5_SD_PSB_SE_jNS1_19radix_merge_compareILb1ELb0ES5_NS0_19identity_decomposerEEEEEvT0_T1_T2_T3_T4_SM_jT5_PKSM_NS1_7vsmem_tE
    .private_segment_fixed_size: 0
    .sgpr_count:     35
    .sgpr_spill_count: 0
    .symbol:         _ZN7rocprim17ROCPRIM_304000_NS6detail35device_block_merge_mergepath_kernelINS1_37wrapped_merge_sort_block_merge_configINS0_14default_configE6__halfN2at4cuda3cub6detail10OpaqueTypeILi8EEEEEPS5_SD_PSB_SE_jNS1_19radix_merge_compareILb1ELb0ES5_NS0_19identity_decomposerEEEEEvT0_T1_T2_T3_T4_SM_jT5_PKSM_NS1_7vsmem_tE.kd
    .uniform_work_group_size: 1
    .uses_dynamic_stack: false
    .vgpr_count:     25
    .vgpr_spill_count: 0
    .wavefront_size: 64
  - .args:
      - .address_space:  global
        .offset:         0
        .size:           8
        .value_kind:     global_buffer
      - .address_space:  global
        .offset:         8
        .size:           8
        .value_kind:     global_buffer
      - .address_space:  global
        .offset:         16
        .size:           8
        .value_kind:     global_buffer
      - .address_space:  global
        .offset:         24
        .size:           8
        .value_kind:     global_buffer
      - .offset:         32
        .size:           4
        .value_kind:     by_value
      - .offset:         36
        .size:           4
        .value_kind:     by_value
      - .offset:         40
        .size:           1
        .value_kind:     by_value
    .group_segment_fixed_size: 0
    .kernarg_segment_align: 8
    .kernarg_segment_size: 44
    .language:       OpenCL C
    .language_version:
      - 2
      - 0
    .max_flat_workgroup_size: 256
    .name:           _ZN7rocprim17ROCPRIM_304000_NS6detail33device_block_merge_oddeven_kernelINS1_37wrapped_merge_sort_block_merge_configINS0_14default_configE6__halfN2at4cuda3cub6detail10OpaqueTypeILi8EEEEEPS5_SD_PSB_SE_jNS1_19radix_merge_compareILb1ELb0ES5_NS0_19identity_decomposerEEEEEvT0_T1_T2_T3_T4_SM_T5_
    .private_segment_fixed_size: 0
    .sgpr_count:     26
    .sgpr_spill_count: 0
    .symbol:         _ZN7rocprim17ROCPRIM_304000_NS6detail33device_block_merge_oddeven_kernelINS1_37wrapped_merge_sort_block_merge_configINS0_14default_configE6__halfN2at4cuda3cub6detail10OpaqueTypeILi8EEEEEPS5_SD_PSB_SE_jNS1_19radix_merge_compareILb1ELb0ES5_NS0_19identity_decomposerEEEEEvT0_T1_T2_T3_T4_SM_T5_.kd
    .uniform_work_group_size: 1
    .uses_dynamic_stack: false
    .vgpr_count:     12
    .vgpr_spill_count: 0
    .wavefront_size: 64
  - .args:
      - .address_space:  global
        .offset:         0
        .size:           8
        .value_kind:     global_buffer
      - .offset:         8
        .size:           8
        .value_kind:     by_value
      - .address_space:  global
        .offset:         16
        .size:           8
        .value_kind:     global_buffer
      - .offset:         24
        .size:           1
        .value_kind:     by_value
      - .offset:         32
        .size:           4
        .value_kind:     hidden_block_count_x
      - .offset:         36
        .size:           4
        .value_kind:     hidden_block_count_y
      - .offset:         40
        .size:           4
        .value_kind:     hidden_block_count_z
      - .offset:         44
        .size:           2
        .value_kind:     hidden_group_size_x
      - .offset:         46
        .size:           2
        .value_kind:     hidden_group_size_y
      - .offset:         48
        .size:           2
        .value_kind:     hidden_group_size_z
      - .offset:         50
        .size:           2
        .value_kind:     hidden_remainder_x
      - .offset:         52
        .size:           2
        .value_kind:     hidden_remainder_y
      - .offset:         54
        .size:           2
        .value_kind:     hidden_remainder_z
      - .offset:         72
        .size:           8
        .value_kind:     hidden_global_offset_x
      - .offset:         80
        .size:           8
        .value_kind:     hidden_global_offset_y
      - .offset:         88
        .size:           8
        .value_kind:     hidden_global_offset_z
      - .offset:         96
        .size:           2
        .value_kind:     hidden_grid_dims
    .group_segment_fixed_size: 0
    .kernarg_segment_align: 8
    .kernarg_segment_size: 288
    .language:       OpenCL C
    .language_version:
      - 2
      - 0
    .max_flat_workgroup_size: 512
    .name:           _ZN7rocprim17ROCPRIM_304000_NS6detail16transform_kernelINS1_24wrapped_transform_configINS0_14default_configE6__halfEES5_PS5_S7_NS0_8identityIS5_EEEEvT1_mT2_T3_
    .private_segment_fixed_size: 0
    .sgpr_count:     16
    .sgpr_spill_count: 0
    .symbol:         _ZN7rocprim17ROCPRIM_304000_NS6detail16transform_kernelINS1_24wrapped_transform_configINS0_14default_configE6__halfEES5_PS5_S7_NS0_8identityIS5_EEEEvT1_mT2_T3_.kd
    .uniform_work_group_size: 1
    .uses_dynamic_stack: false
    .vgpr_count:     8
    .vgpr_spill_count: 0
    .wavefront_size: 64
  - .args:
      - .address_space:  global
        .offset:         0
        .size:           8
        .value_kind:     global_buffer
      - .address_space:  global
        .offset:         8
        .size:           8
        .value_kind:     global_buffer
      - .offset:         16
        .size:           8
        .value_kind:     by_value
      - .offset:         24
        .size:           8
        .value_kind:     by_value
      - .offset:         32
        .size:           1
        .value_kind:     by_value
      - .offset:         36
        .size:           4
        .value_kind:     by_value
      - .offset:         40
        .size:           4
        .value_kind:     by_value
    .group_segment_fixed_size: 8192
    .kernarg_segment_align: 8
    .kernarg_segment_size: 44
    .language:       OpenCL C
    .language_version:
      - 2
      - 0
    .max_flat_workgroup_size: 256
    .name:           _ZN7rocprim17ROCPRIM_304000_NS6detail26onesweep_histograms_kernelINS1_34wrapped_radix_sort_onesweep_configINS0_14default_configE6__halfN2at4cuda3cub6detail10OpaqueTypeILi8EEEEELb1EPKS5_mNS0_19identity_decomposerEEEvT1_PT2_SH_SH_T3_jj
    .private_segment_fixed_size: 0
    .sgpr_count:     43
    .sgpr_spill_count: 0
    .symbol:         _ZN7rocprim17ROCPRIM_304000_NS6detail26onesweep_histograms_kernelINS1_34wrapped_radix_sort_onesweep_configINS0_14default_configE6__halfN2at4cuda3cub6detail10OpaqueTypeILi8EEEEELb1EPKS5_mNS0_19identity_decomposerEEEvT1_PT2_SH_SH_T3_jj.kd
    .uniform_work_group_size: 1
    .uses_dynamic_stack: false
    .vgpr_count:     24
    .vgpr_spill_count: 0
    .wavefront_size: 64
  - .args:
      - .address_space:  global
        .offset:         0
        .size:           8
        .value_kind:     global_buffer
    .group_segment_fixed_size: 32
    .kernarg_segment_align: 8
    .kernarg_segment_size: 8
    .language:       OpenCL C
    .language_version:
      - 2
      - 0
    .max_flat_workgroup_size: 256
    .name:           _ZN7rocprim17ROCPRIM_304000_NS6detail31onesweep_scan_histograms_kernelINS1_34wrapped_radix_sort_onesweep_configINS0_14default_configE6__halfN2at4cuda3cub6detail10OpaqueTypeILi8EEEEEmEEvPT0_
    .private_segment_fixed_size: 0
    .sgpr_count:     12
    .sgpr_spill_count: 0
    .symbol:         _ZN7rocprim17ROCPRIM_304000_NS6detail31onesweep_scan_histograms_kernelINS1_34wrapped_radix_sort_onesweep_configINS0_14default_configE6__halfN2at4cuda3cub6detail10OpaqueTypeILi8EEEEEmEEvPT0_.kd
    .uniform_work_group_size: 1
    .uses_dynamic_stack: false
    .vgpr_count:     12
    .vgpr_spill_count: 0
    .wavefront_size: 64
  - .args:
      - .address_space:  global
        .offset:         0
        .size:           8
        .value_kind:     global_buffer
      - .offset:         8
        .size:           8
        .value_kind:     by_value
      - .address_space:  global
        .offset:         16
        .size:           8
        .value_kind:     global_buffer
      - .offset:         24
        .size:           1
        .value_kind:     by_value
      - .offset:         32
        .size:           4
        .value_kind:     hidden_block_count_x
      - .offset:         36
        .size:           4
        .value_kind:     hidden_block_count_y
      - .offset:         40
        .size:           4
        .value_kind:     hidden_block_count_z
      - .offset:         44
        .size:           2
        .value_kind:     hidden_group_size_x
      - .offset:         46
        .size:           2
        .value_kind:     hidden_group_size_y
      - .offset:         48
        .size:           2
        .value_kind:     hidden_group_size_z
      - .offset:         50
        .size:           2
        .value_kind:     hidden_remainder_x
      - .offset:         52
        .size:           2
        .value_kind:     hidden_remainder_y
      - .offset:         54
        .size:           2
        .value_kind:     hidden_remainder_z
      - .offset:         72
        .size:           8
        .value_kind:     hidden_global_offset_x
      - .offset:         80
        .size:           8
        .value_kind:     hidden_global_offset_y
      - .offset:         88
        .size:           8
        .value_kind:     hidden_global_offset_z
      - .offset:         96
        .size:           2
        .value_kind:     hidden_grid_dims
    .group_segment_fixed_size: 0
    .kernarg_segment_align: 8
    .kernarg_segment_size: 288
    .language:       OpenCL C
    .language_version:
      - 2
      - 0
    .max_flat_workgroup_size: 512
    .name:           _ZN7rocprim17ROCPRIM_304000_NS6detail16transform_kernelINS1_24wrapped_transform_configINS0_14default_configE6__halfEES5_PKS5_PS5_NS0_8identityIS5_EEEEvT1_mT2_T3_
    .private_segment_fixed_size: 0
    .sgpr_count:     16
    .sgpr_spill_count: 0
    .symbol:         _ZN7rocprim17ROCPRIM_304000_NS6detail16transform_kernelINS1_24wrapped_transform_configINS0_14default_configE6__halfEES5_PKS5_PS5_NS0_8identityIS5_EEEEvT1_mT2_T3_.kd
    .uniform_work_group_size: 1
    .uses_dynamic_stack: false
    .vgpr_count:     8
    .vgpr_spill_count: 0
    .wavefront_size: 64
  - .args:
      - .address_space:  global
        .offset:         0
        .size:           8
        .value_kind:     global_buffer
      - .address_space:  global
        .offset:         8
        .size:           8
        .value_kind:     global_buffer
      - .address_space:  global
        .offset:         16
        .size:           8
        .value_kind:     global_buffer
      - .address_space:  global
        .offset:         24
        .size:           8
        .value_kind:     global_buffer
      - .offset:         32
        .size:           4
        .value_kind:     by_value
      - .address_space:  global
        .offset:         40
        .size:           8
        .value_kind:     global_buffer
      - .address_space:  global
        .offset:         48
        .size:           8
        .value_kind:     global_buffer
      - .address_space:  global
        .offset:         56
        .size:           8
        .value_kind:     global_buffer
      - .offset:         64
        .size:           1
        .value_kind:     by_value
      - .offset:         68
        .size:           4
        .value_kind:     by_value
      - .offset:         72
        .size:           4
        .value_kind:     by_value
      - .offset:         76
        .size:           4
        .value_kind:     by_value
      - .offset:         80
        .size:           4
        .value_kind:     hidden_block_count_x
      - .offset:         84
        .size:           4
        .value_kind:     hidden_block_count_y
      - .offset:         88
        .size:           4
        .value_kind:     hidden_block_count_z
      - .offset:         92
        .size:           2
        .value_kind:     hidden_group_size_x
      - .offset:         94
        .size:           2
        .value_kind:     hidden_group_size_y
      - .offset:         96
        .size:           2
        .value_kind:     hidden_group_size_z
      - .offset:         98
        .size:           2
        .value_kind:     hidden_remainder_x
      - .offset:         100
        .size:           2
        .value_kind:     hidden_remainder_y
      - .offset:         102
        .size:           2
        .value_kind:     hidden_remainder_z
      - .offset:         120
        .size:           8
        .value_kind:     hidden_global_offset_x
      - .offset:         128
        .size:           8
        .value_kind:     hidden_global_offset_y
      - .offset:         136
        .size:           8
        .value_kind:     hidden_global_offset_z
      - .offset:         144
        .size:           2
        .value_kind:     hidden_grid_dims
    .group_segment_fixed_size: 26624
    .kernarg_segment_align: 8
    .kernarg_segment_size: 336
    .language:       OpenCL C
    .language_version:
      - 2
      - 0
    .max_flat_workgroup_size: 256
    .name:           _ZN7rocprim17ROCPRIM_304000_NS6detail25onesweep_iteration_kernelINS1_34wrapped_radix_sort_onesweep_configINS0_14default_configE6__halfN2at4cuda3cub6detail10OpaqueTypeILi8EEEEELb1EPKS5_PS5_PKSB_PSB_mNS0_19identity_decomposerEEEvT1_T2_T3_T4_jPT5_SP_PNS1_23onesweep_lookback_stateET6_jjj
    .private_segment_fixed_size: 0
    .sgpr_count:     79
    .sgpr_spill_count: 0
    .symbol:         _ZN7rocprim17ROCPRIM_304000_NS6detail25onesweep_iteration_kernelINS1_34wrapped_radix_sort_onesweep_configINS0_14default_configE6__halfN2at4cuda3cub6detail10OpaqueTypeILi8EEEEELb1EPKS5_PS5_PKSB_PSB_mNS0_19identity_decomposerEEEvT1_T2_T3_T4_jPT5_SP_PNS1_23onesweep_lookback_stateET6_jjj.kd
    .uniform_work_group_size: 1
    .uses_dynamic_stack: false
    .vgpr_count:     66
    .vgpr_spill_count: 0
    .wavefront_size: 64
  - .args:
      - .address_space:  global
        .offset:         0
        .size:           8
        .value_kind:     global_buffer
      - .address_space:  global
        .offset:         8
        .size:           8
        .value_kind:     global_buffer
      - .address_space:  global
        .offset:         16
        .size:           8
        .value_kind:     global_buffer
      - .address_space:  global
        .offset:         24
        .size:           8
        .value_kind:     global_buffer
      - .offset:         32
        .size:           4
        .value_kind:     by_value
      - .address_space:  global
        .offset:         40
        .size:           8
        .value_kind:     global_buffer
      - .address_space:  global
        .offset:         48
        .size:           8
        .value_kind:     global_buffer
      - .address_space:  global
        .offset:         56
        .size:           8
        .value_kind:     global_buffer
      - .offset:         64
        .size:           1
        .value_kind:     by_value
      - .offset:         68
        .size:           4
        .value_kind:     by_value
      - .offset:         72
        .size:           4
        .value_kind:     by_value
      - .offset:         76
        .size:           4
        .value_kind:     by_value
      - .offset:         80
        .size:           4
        .value_kind:     hidden_block_count_x
      - .offset:         84
        .size:           4
        .value_kind:     hidden_block_count_y
      - .offset:         88
        .size:           4
        .value_kind:     hidden_block_count_z
      - .offset:         92
        .size:           2
        .value_kind:     hidden_group_size_x
      - .offset:         94
        .size:           2
        .value_kind:     hidden_group_size_y
      - .offset:         96
        .size:           2
        .value_kind:     hidden_group_size_z
      - .offset:         98
        .size:           2
        .value_kind:     hidden_remainder_x
      - .offset:         100
        .size:           2
        .value_kind:     hidden_remainder_y
      - .offset:         102
        .size:           2
        .value_kind:     hidden_remainder_z
      - .offset:         120
        .size:           8
        .value_kind:     hidden_global_offset_x
      - .offset:         128
        .size:           8
        .value_kind:     hidden_global_offset_y
      - .offset:         136
        .size:           8
        .value_kind:     hidden_global_offset_z
      - .offset:         144
        .size:           2
        .value_kind:     hidden_grid_dims
    .group_segment_fixed_size: 26624
    .kernarg_segment_align: 8
    .kernarg_segment_size: 336
    .language:       OpenCL C
    .language_version:
      - 2
      - 0
    .max_flat_workgroup_size: 256
    .name:           _ZN7rocprim17ROCPRIM_304000_NS6detail25onesweep_iteration_kernelINS1_34wrapped_radix_sort_onesweep_configINS0_14default_configE6__halfN2at4cuda3cub6detail10OpaqueTypeILi8EEEEELb1EPS5_SD_PSB_SE_mNS0_19identity_decomposerEEEvT1_T2_T3_T4_jPT5_SL_PNS1_23onesweep_lookback_stateET6_jjj
    .private_segment_fixed_size: 0
    .sgpr_count:     79
    .sgpr_spill_count: 0
    .symbol:         _ZN7rocprim17ROCPRIM_304000_NS6detail25onesweep_iteration_kernelINS1_34wrapped_radix_sort_onesweep_configINS0_14default_configE6__halfN2at4cuda3cub6detail10OpaqueTypeILi8EEEEELb1EPS5_SD_PSB_SE_mNS0_19identity_decomposerEEEvT1_T2_T3_T4_jPT5_SL_PNS1_23onesweep_lookback_stateET6_jjj.kd
    .uniform_work_group_size: 1
    .uses_dynamic_stack: false
    .vgpr_count:     66
    .vgpr_spill_count: 0
    .wavefront_size: 64
  - .args:
      - .address_space:  global
        .offset:         0
        .size:           8
        .value_kind:     global_buffer
      - .address_space:  global
        .offset:         8
        .size:           8
        .value_kind:     global_buffer
      - .address_space:  global
        .offset:         16
        .size:           8
        .value_kind:     global_buffer
      - .address_space:  global
        .offset:         24
        .size:           8
        .value_kind:     global_buffer
      - .offset:         32
        .size:           4
        .value_kind:     by_value
      - .offset:         36
        .size:           1
        .value_kind:     by_value
      - .offset:         40
        .size:           4
        .value_kind:     by_value
      - .offset:         44
        .size:           4
        .value_kind:     by_value
      - .offset:         48
        .size:           4
        .value_kind:     hidden_block_count_x
      - .offset:         52
        .size:           4
        .value_kind:     hidden_block_count_y
      - .offset:         56
        .size:           4
        .value_kind:     hidden_block_count_z
      - .offset:         60
        .size:           2
        .value_kind:     hidden_group_size_x
      - .offset:         62
        .size:           2
        .value_kind:     hidden_group_size_y
      - .offset:         64
        .size:           2
        .value_kind:     hidden_group_size_z
      - .offset:         66
        .size:           2
        .value_kind:     hidden_remainder_x
      - .offset:         68
        .size:           2
        .value_kind:     hidden_remainder_y
      - .offset:         70
        .size:           2
        .value_kind:     hidden_remainder_z
      - .offset:         88
        .size:           8
        .value_kind:     hidden_global_offset_x
      - .offset:         96
        .size:           8
        .value_kind:     hidden_global_offset_y
      - .offset:         104
        .size:           8
        .value_kind:     hidden_global_offset_z
      - .offset:         112
        .size:           2
        .value_kind:     hidden_grid_dims
    .group_segment_fixed_size: 8192
    .kernarg_segment_align: 8
    .kernarg_segment_size: 304
    .language:       OpenCL C
    .language_version:
      - 2
      - 0
    .max_flat_workgroup_size: 256
    .name:           _ZN7rocprim17ROCPRIM_304000_NS6detail28radix_sort_block_sort_kernelINS1_36wrapped_radix_sort_block_sort_configINS0_13kernel_configILj256ELj4ELj4294967295EEE6__halfN2at4cuda3cub6detail10OpaqueTypeILi8EEEEELb0EPKS6_PS6_PKSC_PSC_NS0_19identity_decomposerEEEvT1_T2_T3_T4_jT5_jj
    .private_segment_fixed_size: 0
    .sgpr_count:     52
    .sgpr_spill_count: 0
    .symbol:         _ZN7rocprim17ROCPRIM_304000_NS6detail28radix_sort_block_sort_kernelINS1_36wrapped_radix_sort_block_sort_configINS0_13kernel_configILj256ELj4ELj4294967295EEE6__halfN2at4cuda3cub6detail10OpaqueTypeILi8EEEEELb0EPKS6_PS6_PKSC_PSC_NS0_19identity_decomposerEEEvT1_T2_T3_T4_jT5_jj.kd
    .uniform_work_group_size: 1
    .uses_dynamic_stack: false
    .vgpr_count:     53
    .vgpr_spill_count: 0
    .wavefront_size: 64
  - .args:
      - .address_space:  global
        .offset:         0
        .size:           8
        .value_kind:     global_buffer
      - .offset:         8
        .size:           4
        .value_kind:     by_value
      - .offset:         12
        .size:           4
        .value_kind:     by_value
      - .address_space:  global
        .offset:         16
        .size:           8
        .value_kind:     global_buffer
      - .offset:         24
        .size:           1
        .value_kind:     by_value
      - .offset:         28
        .size:           4
        .value_kind:     by_value
    .group_segment_fixed_size: 0
    .kernarg_segment_align: 8
    .kernarg_segment_size: 32
    .language:       OpenCL C
    .language_version:
      - 2
      - 0
    .max_flat_workgroup_size: 128
    .name:           _ZN7rocprim17ROCPRIM_304000_NS6detail45device_block_merge_mergepath_partition_kernelINS1_37wrapped_merge_sort_block_merge_configINS0_14default_configE6__halfN2at4cuda3cub6detail10OpaqueTypeILi8EEEEEPS5_jNS1_19radix_merge_compareILb0ELb0ES5_NS0_19identity_decomposerEEEEEvT0_T1_jPSI_T2_SI_
    .private_segment_fixed_size: 0
    .sgpr_count:     11
    .sgpr_spill_count: 0
    .symbol:         _ZN7rocprim17ROCPRIM_304000_NS6detail45device_block_merge_mergepath_partition_kernelINS1_37wrapped_merge_sort_block_merge_configINS0_14default_configE6__halfN2at4cuda3cub6detail10OpaqueTypeILi8EEEEEPS5_jNS1_19radix_merge_compareILb0ELb0ES5_NS0_19identity_decomposerEEEEEvT0_T1_jPSI_T2_SI_.kd
    .uniform_work_group_size: 1
    .uses_dynamic_stack: false
    .vgpr_count:     16
    .vgpr_spill_count: 0
    .wavefront_size: 64
  - .args:
      - .address_space:  global
        .offset:         0
        .size:           8
        .value_kind:     global_buffer
      - .address_space:  global
        .offset:         8
        .size:           8
        .value_kind:     global_buffer
      - .address_space:  global
        .offset:         16
        .size:           8
        .value_kind:     global_buffer
      - .address_space:  global
        .offset:         24
        .size:           8
        .value_kind:     global_buffer
      - .offset:         32
        .size:           4
        .value_kind:     by_value
      - .offset:         36
        .size:           4
        .value_kind:     by_value
      - .offset:         40
        .size:           4
        .value_kind:     by_value
      - .offset:         44
        .size:           1
        .value_kind:     by_value
      - .address_space:  global
        .offset:         48
        .size:           8
        .value_kind:     global_buffer
      - .address_space:  global
        .offset:         56
        .size:           8
        .value_kind:     global_buffer
      - .offset:         64
        .size:           4
        .value_kind:     hidden_block_count_x
      - .offset:         68
        .size:           4
        .value_kind:     hidden_block_count_y
      - .offset:         72
        .size:           4
        .value_kind:     hidden_block_count_z
      - .offset:         76
        .size:           2
        .value_kind:     hidden_group_size_x
      - .offset:         78
        .size:           2
        .value_kind:     hidden_group_size_y
      - .offset:         80
        .size:           2
        .value_kind:     hidden_group_size_z
      - .offset:         82
        .size:           2
        .value_kind:     hidden_remainder_x
      - .offset:         84
        .size:           2
        .value_kind:     hidden_remainder_y
      - .offset:         86
        .size:           2
        .value_kind:     hidden_remainder_z
      - .offset:         104
        .size:           8
        .value_kind:     hidden_global_offset_x
      - .offset:         112
        .size:           8
        .value_kind:     hidden_global_offset_y
      - .offset:         120
        .size:           8
        .value_kind:     hidden_global_offset_z
      - .offset:         128
        .size:           2
        .value_kind:     hidden_grid_dims
    .group_segment_fixed_size: 8208
    .kernarg_segment_align: 8
    .kernarg_segment_size: 320
    .language:       OpenCL C
    .language_version:
      - 2
      - 0
    .max_flat_workgroup_size: 256
    .name:           _ZN7rocprim17ROCPRIM_304000_NS6detail35device_block_merge_mergepath_kernelINS1_37wrapped_merge_sort_block_merge_configINS0_14default_configE6__halfN2at4cuda3cub6detail10OpaqueTypeILi8EEEEEPS5_SD_PSB_SE_jNS1_19radix_merge_compareILb0ELb0ES5_NS0_19identity_decomposerEEEEEvT0_T1_T2_T3_T4_SM_jT5_PKSM_NS1_7vsmem_tE
    .private_segment_fixed_size: 0
    .sgpr_count:     35
    .sgpr_spill_count: 0
    .symbol:         _ZN7rocprim17ROCPRIM_304000_NS6detail35device_block_merge_mergepath_kernelINS1_37wrapped_merge_sort_block_merge_configINS0_14default_configE6__halfN2at4cuda3cub6detail10OpaqueTypeILi8EEEEEPS5_SD_PSB_SE_jNS1_19radix_merge_compareILb0ELb0ES5_NS0_19identity_decomposerEEEEEvT0_T1_T2_T3_T4_SM_jT5_PKSM_NS1_7vsmem_tE.kd
    .uniform_work_group_size: 1
    .uses_dynamic_stack: false
    .vgpr_count:     25
    .vgpr_spill_count: 0
    .wavefront_size: 64
  - .args:
      - .address_space:  global
        .offset:         0
        .size:           8
        .value_kind:     global_buffer
      - .address_space:  global
        .offset:         8
        .size:           8
        .value_kind:     global_buffer
      - .address_space:  global
        .offset:         16
        .size:           8
        .value_kind:     global_buffer
      - .address_space:  global
        .offset:         24
        .size:           8
        .value_kind:     global_buffer
      - .offset:         32
        .size:           4
        .value_kind:     by_value
      - .offset:         36
        .size:           4
        .value_kind:     by_value
      - .offset:         40
        .size:           1
        .value_kind:     by_value
    .group_segment_fixed_size: 0
    .kernarg_segment_align: 8
    .kernarg_segment_size: 44
    .language:       OpenCL C
    .language_version:
      - 2
      - 0
    .max_flat_workgroup_size: 256
    .name:           _ZN7rocprim17ROCPRIM_304000_NS6detail33device_block_merge_oddeven_kernelINS1_37wrapped_merge_sort_block_merge_configINS0_14default_configE6__halfN2at4cuda3cub6detail10OpaqueTypeILi8EEEEEPS5_SD_PSB_SE_jNS1_19radix_merge_compareILb0ELb0ES5_NS0_19identity_decomposerEEEEEvT0_T1_T2_T3_T4_SM_T5_
    .private_segment_fixed_size: 0
    .sgpr_count:     26
    .sgpr_spill_count: 0
    .symbol:         _ZN7rocprim17ROCPRIM_304000_NS6detail33device_block_merge_oddeven_kernelINS1_37wrapped_merge_sort_block_merge_configINS0_14default_configE6__halfN2at4cuda3cub6detail10OpaqueTypeILi8EEEEEPS5_SD_PSB_SE_jNS1_19radix_merge_compareILb0ELb0ES5_NS0_19identity_decomposerEEEEEvT0_T1_T2_T3_T4_SM_T5_.kd
    .uniform_work_group_size: 1
    .uses_dynamic_stack: false
    .vgpr_count:     12
    .vgpr_spill_count: 0
    .wavefront_size: 64
  - .args:
      - .address_space:  global
        .offset:         0
        .size:           8
        .value_kind:     global_buffer
      - .address_space:  global
        .offset:         8
        .size:           8
        .value_kind:     global_buffer
      - .offset:         16
        .size:           8
        .value_kind:     by_value
      - .offset:         24
        .size:           8
        .value_kind:     by_value
      - .offset:         32
        .size:           1
        .value_kind:     by_value
      - .offset:         36
        .size:           4
        .value_kind:     by_value
      - .offset:         40
        .size:           4
        .value_kind:     by_value
    .group_segment_fixed_size: 8192
    .kernarg_segment_align: 8
    .kernarg_segment_size: 44
    .language:       OpenCL C
    .language_version:
      - 2
      - 0
    .max_flat_workgroup_size: 256
    .name:           _ZN7rocprim17ROCPRIM_304000_NS6detail26onesweep_histograms_kernelINS1_34wrapped_radix_sort_onesweep_configINS0_14default_configE6__halfN2at4cuda3cub6detail10OpaqueTypeILi8EEEEELb0EPKS5_mNS0_19identity_decomposerEEEvT1_PT2_SH_SH_T3_jj
    .private_segment_fixed_size: 0
    .sgpr_count:     43
    .sgpr_spill_count: 0
    .symbol:         _ZN7rocprim17ROCPRIM_304000_NS6detail26onesweep_histograms_kernelINS1_34wrapped_radix_sort_onesweep_configINS0_14default_configE6__halfN2at4cuda3cub6detail10OpaqueTypeILi8EEEEELb0EPKS5_mNS0_19identity_decomposerEEEvT1_PT2_SH_SH_T3_jj.kd
    .uniform_work_group_size: 1
    .uses_dynamic_stack: false
    .vgpr_count:     24
    .vgpr_spill_count: 0
    .wavefront_size: 64
  - .args:
      - .address_space:  global
        .offset:         0
        .size:           8
        .value_kind:     global_buffer
      - .address_space:  global
        .offset:         8
        .size:           8
        .value_kind:     global_buffer
      - .address_space:  global
        .offset:         16
        .size:           8
        .value_kind:     global_buffer
      - .address_space:  global
        .offset:         24
        .size:           8
        .value_kind:     global_buffer
      - .offset:         32
        .size:           4
        .value_kind:     by_value
      - .address_space:  global
        .offset:         40
        .size:           8
        .value_kind:     global_buffer
      - .address_space:  global
        .offset:         48
        .size:           8
        .value_kind:     global_buffer
      - .address_space:  global
        .offset:         56
        .size:           8
        .value_kind:     global_buffer
      - .offset:         64
        .size:           1
        .value_kind:     by_value
      - .offset:         68
        .size:           4
        .value_kind:     by_value
      - .offset:         72
        .size:           4
        .value_kind:     by_value
      - .offset:         76
        .size:           4
        .value_kind:     by_value
      - .offset:         80
        .size:           4
        .value_kind:     hidden_block_count_x
      - .offset:         84
        .size:           4
        .value_kind:     hidden_block_count_y
      - .offset:         88
        .size:           4
        .value_kind:     hidden_block_count_z
      - .offset:         92
        .size:           2
        .value_kind:     hidden_group_size_x
      - .offset:         94
        .size:           2
        .value_kind:     hidden_group_size_y
      - .offset:         96
        .size:           2
        .value_kind:     hidden_group_size_z
      - .offset:         98
        .size:           2
        .value_kind:     hidden_remainder_x
      - .offset:         100
        .size:           2
        .value_kind:     hidden_remainder_y
      - .offset:         102
        .size:           2
        .value_kind:     hidden_remainder_z
      - .offset:         120
        .size:           8
        .value_kind:     hidden_global_offset_x
      - .offset:         128
        .size:           8
        .value_kind:     hidden_global_offset_y
      - .offset:         136
        .size:           8
        .value_kind:     hidden_global_offset_z
      - .offset:         144
        .size:           2
        .value_kind:     hidden_grid_dims
    .group_segment_fixed_size: 26624
    .kernarg_segment_align: 8
    .kernarg_segment_size: 336
    .language:       OpenCL C
    .language_version:
      - 2
      - 0
    .max_flat_workgroup_size: 256
    .name:           _ZN7rocprim17ROCPRIM_304000_NS6detail25onesweep_iteration_kernelINS1_34wrapped_radix_sort_onesweep_configINS0_14default_configE6__halfN2at4cuda3cub6detail10OpaqueTypeILi8EEEEELb0EPKS5_PS5_PKSB_PSB_mNS0_19identity_decomposerEEEvT1_T2_T3_T4_jPT5_SP_PNS1_23onesweep_lookback_stateET6_jjj
    .private_segment_fixed_size: 0
    .sgpr_count:     79
    .sgpr_spill_count: 0
    .symbol:         _ZN7rocprim17ROCPRIM_304000_NS6detail25onesweep_iteration_kernelINS1_34wrapped_radix_sort_onesweep_configINS0_14default_configE6__halfN2at4cuda3cub6detail10OpaqueTypeILi8EEEEELb0EPKS5_PS5_PKSB_PSB_mNS0_19identity_decomposerEEEvT1_T2_T3_T4_jPT5_SP_PNS1_23onesweep_lookback_stateET6_jjj.kd
    .uniform_work_group_size: 1
    .uses_dynamic_stack: false
    .vgpr_count:     66
    .vgpr_spill_count: 0
    .wavefront_size: 64
  - .args:
      - .address_space:  global
        .offset:         0
        .size:           8
        .value_kind:     global_buffer
      - .address_space:  global
        .offset:         8
        .size:           8
        .value_kind:     global_buffer
      - .address_space:  global
        .offset:         16
        .size:           8
        .value_kind:     global_buffer
      - .address_space:  global
        .offset:         24
        .size:           8
        .value_kind:     global_buffer
      - .offset:         32
        .size:           4
        .value_kind:     by_value
      - .address_space:  global
        .offset:         40
        .size:           8
        .value_kind:     global_buffer
      - .address_space:  global
        .offset:         48
        .size:           8
        .value_kind:     global_buffer
      - .address_space:  global
        .offset:         56
        .size:           8
        .value_kind:     global_buffer
      - .offset:         64
        .size:           1
        .value_kind:     by_value
      - .offset:         68
        .size:           4
        .value_kind:     by_value
      - .offset:         72
        .size:           4
        .value_kind:     by_value
      - .offset:         76
        .size:           4
        .value_kind:     by_value
      - .offset:         80
        .size:           4
        .value_kind:     hidden_block_count_x
      - .offset:         84
        .size:           4
        .value_kind:     hidden_block_count_y
      - .offset:         88
        .size:           4
        .value_kind:     hidden_block_count_z
      - .offset:         92
        .size:           2
        .value_kind:     hidden_group_size_x
      - .offset:         94
        .size:           2
        .value_kind:     hidden_group_size_y
      - .offset:         96
        .size:           2
        .value_kind:     hidden_group_size_z
      - .offset:         98
        .size:           2
        .value_kind:     hidden_remainder_x
      - .offset:         100
        .size:           2
        .value_kind:     hidden_remainder_y
      - .offset:         102
        .size:           2
        .value_kind:     hidden_remainder_z
      - .offset:         120
        .size:           8
        .value_kind:     hidden_global_offset_x
      - .offset:         128
        .size:           8
        .value_kind:     hidden_global_offset_y
      - .offset:         136
        .size:           8
        .value_kind:     hidden_global_offset_z
      - .offset:         144
        .size:           2
        .value_kind:     hidden_grid_dims
    .group_segment_fixed_size: 26624
    .kernarg_segment_align: 8
    .kernarg_segment_size: 336
    .language:       OpenCL C
    .language_version:
      - 2
      - 0
    .max_flat_workgroup_size: 256
    .name:           _ZN7rocprim17ROCPRIM_304000_NS6detail25onesweep_iteration_kernelINS1_34wrapped_radix_sort_onesweep_configINS0_14default_configE6__halfN2at4cuda3cub6detail10OpaqueTypeILi8EEEEELb0EPS5_SD_PSB_SE_mNS0_19identity_decomposerEEEvT1_T2_T3_T4_jPT5_SL_PNS1_23onesweep_lookback_stateET6_jjj
    .private_segment_fixed_size: 0
    .sgpr_count:     79
    .sgpr_spill_count: 0
    .symbol:         _ZN7rocprim17ROCPRIM_304000_NS6detail25onesweep_iteration_kernelINS1_34wrapped_radix_sort_onesweep_configINS0_14default_configE6__halfN2at4cuda3cub6detail10OpaqueTypeILi8EEEEELb0EPS5_SD_PSB_SE_mNS0_19identity_decomposerEEEvT1_T2_T3_T4_jPT5_SL_PNS1_23onesweep_lookback_stateET6_jjj.kd
    .uniform_work_group_size: 1
    .uses_dynamic_stack: false
    .vgpr_count:     66
    .vgpr_spill_count: 0
    .wavefront_size: 64
amdhsa.target:   amdgcn-amd-amdhsa--gfx906
amdhsa.version:
  - 1
  - 2
...

	.end_amdgpu_metadata
